;; amdgpu-corpus repo=ROCm/rocSPARSE kind=compiled arch=gfx906 opt=O3
	.amdgcn_target "amdgcn-amd-amdhsa--gfx906"
	.amdhsa_code_object_version 6
	.section	.text._ZN9rocsparseL19gebsrmvn_2xn_kernelILj128ELj1ELj4EfEEvi20rocsparse_direction_NS_24const_host_device_scalarIT2_EEPKiS6_PKS3_S8_S4_PS3_21rocsparse_index_base_b,"axG",@progbits,_ZN9rocsparseL19gebsrmvn_2xn_kernelILj128ELj1ELj4EfEEvi20rocsparse_direction_NS_24const_host_device_scalarIT2_EEPKiS6_PKS3_S8_S4_PS3_21rocsparse_index_base_b,comdat
	.globl	_ZN9rocsparseL19gebsrmvn_2xn_kernelILj128ELj1ELj4EfEEvi20rocsparse_direction_NS_24const_host_device_scalarIT2_EEPKiS6_PKS3_S8_S4_PS3_21rocsparse_index_base_b ; -- Begin function _ZN9rocsparseL19gebsrmvn_2xn_kernelILj128ELj1ELj4EfEEvi20rocsparse_direction_NS_24const_host_device_scalarIT2_EEPKiS6_PKS3_S8_S4_PS3_21rocsparse_index_base_b
	.p2align	8
	.type	_ZN9rocsparseL19gebsrmvn_2xn_kernelILj128ELj1ELj4EfEEvi20rocsparse_direction_NS_24const_host_device_scalarIT2_EEPKiS6_PKS3_S8_S4_PS3_21rocsparse_index_base_b,@function
_ZN9rocsparseL19gebsrmvn_2xn_kernelILj128ELj1ELj4EfEEvi20rocsparse_direction_NS_24const_host_device_scalarIT2_EEPKiS6_PKS3_S8_S4_PS3_21rocsparse_index_base_b: ; @_ZN9rocsparseL19gebsrmvn_2xn_kernelILj128ELj1ELj4EfEEvi20rocsparse_direction_NS_24const_host_device_scalarIT2_EEPKiS6_PKS3_S8_S4_PS3_21rocsparse_index_base_b
; %bb.0:
	s_load_dwordx2 s[18:19], s[4:5], 0x40
	s_load_dwordx2 s[16:17], s[4:5], 0x8
	;; [unrolled: 1-line block ×3, first 2 shown]
	s_waitcnt lgkmcnt(0)
	s_bitcmp1_b32 s19, 0
	s_cselect_b64 s[8:9], -1, 0
	s_xor_b64 s[0:1], s[8:9], -1
	s_and_b64 vcc, exec, s[8:9]
	s_cbranch_vccnz .LBB0_2
; %bb.1:
	s_load_dword s16, s[16:17], 0x0
.LBB0_2:
	s_andn2_b64 vcc, exec, s[0:1]
	s_cbranch_vccnz .LBB0_4
; %bb.3:
	s_load_dword s2, s[2:3], 0x0
.LBB0_4:
	s_waitcnt lgkmcnt(0)
	v_cmp_eq_f32_e64 s[0:1], s16, 0
	v_cmp_eq_f32_e64 s[8:9], s2, 1.0
	s_and_b64 s[0:1], s[0:1], s[8:9]
	s_and_b64 vcc, exec, s[0:1]
	s_cbranch_vccnz .LBB0_22
; %bb.5:
	s_load_dwordx2 s[0:1], s[4:5], 0x0
	v_lshrrev_b32_e32 v1, 2, v0
	v_lshl_or_b32 v1, s6, 5, v1
	s_waitcnt lgkmcnt(0)
	v_cmp_gt_i32_e32 vcc, s0, v1
	s_and_saveexec_b64 s[6:7], vcc
	s_cbranch_execz .LBB0_22
; %bb.6:
	s_load_dwordx8 s[8:15], s[4:5], 0x10
	v_ashrrev_i32_e32 v2, 31, v1
	v_lshlrev_b64 v[2:3], 2, v[1:2]
	v_and_b32_e32 v0, 3, v0
	s_cmp_lg_u32 s1, 0
	s_waitcnt lgkmcnt(0)
	v_mov_b32_e32 v4, s9
	v_add_co_u32_e32 v2, vcc, s8, v2
	v_addc_co_u32_e32 v3, vcc, v4, v3, vcc
	global_load_dwordx2 v[2:3], v[2:3], off
	s_waitcnt vmcnt(0)
	v_subrev_u32_e32 v2, s18, v2
	v_subrev_u32_e32 v7, s18, v3
	v_add_u32_e32 v2, v2, v0
	v_cmp_lt_i32_e64 s[0:1], v2, v7
	s_cbranch_scc0 .LBB0_12
; %bb.7:
	v_mov_b32_e32 v8, 0
	v_mov_b32_e32 v9, 0
	s_and_saveexec_b64 s[6:7], s[0:1]
	s_cbranch_execz .LBB0_11
; %bb.8:
	v_mov_b32_e32 v4, 0
	v_lshlrev_b32_e32 v3, 1, v2
	s_mov_b64 s[8:9], 0
	v_mov_b32_e32 v10, s11
	v_mov_b32_e32 v11, s13
	;; [unrolled: 1-line block ×6, first 2 shown]
.LBB0_9:                                ; =>This Inner Loop Header: Depth=1
	v_ashrrev_i32_e32 v6, 31, v5
	v_lshlrev_b64 v[13:14], 2, v[5:6]
	v_mov_b32_e32 v15, v4
	v_add_co_u32_e32 v13, vcc, s10, v13
	v_addc_co_u32_e32 v14, vcc, v10, v14, vcc
	global_load_dword v6, v[13:14], off
	v_lshlrev_b64 v[13:14], 2, v[3:4]
	v_add_u32_e32 v5, 4, v5
	v_add_co_u32_e32 v13, vcc, s12, v13
	v_addc_co_u32_e32 v14, vcc, v11, v14, vcc
	global_load_dwordx2 v[16:17], v[13:14], off
	v_add_u32_e32 v3, 8, v3
	s_waitcnt vmcnt(1)
	v_subrev_u32_e32 v14, s18, v6
	v_lshlrev_b64 v[13:14], 2, v[14:15]
	v_add_co_u32_e32 v13, vcc, s14, v13
	v_addc_co_u32_e32 v14, vcc, v12, v14, vcc
	global_load_dword v6, v[13:14], off
	v_cmp_ge_i32_e32 vcc, v5, v7
	s_or_b64 s[8:9], vcc, s[8:9]
	s_waitcnt vmcnt(0)
	v_fmac_f32_e32 v8, v16, v6
	v_fmac_f32_e32 v9, v17, v6
	s_andn2_b64 exec, exec, s[8:9]
	s_cbranch_execnz .LBB0_9
; %bb.10:
	s_or_b64 exec, exec, s[8:9]
.LBB0_11:
	s_or_b64 exec, exec, s[6:7]
	s_cbranch_execz .LBB0_13
	s_branch .LBB0_18
.LBB0_12:
                                        ; implicit-def: $vgpr8
                                        ; implicit-def: $vgpr9
.LBB0_13:
	v_mov_b32_e32 v8, 0
	v_mov_b32_e32 v9, 0
	s_and_saveexec_b64 s[6:7], s[0:1]
	s_cbranch_execz .LBB0_17
; %bb.14:
	v_mov_b32_e32 v5, 0
	v_lshlrev_b32_e32 v4, 1, v2
	s_mov_b64 s[0:1], 0
	v_mov_b32_e32 v6, s11
	v_mov_b32_e32 v10, s13
	;; [unrolled: 1-line block ×5, first 2 shown]
.LBB0_15:                               ; =>This Inner Loop Header: Depth=1
	v_ashrrev_i32_e32 v3, 31, v2
	v_lshlrev_b64 v[12:13], 2, v[2:3]
	v_mov_b32_e32 v14, v5
	v_add_co_u32_e32 v12, vcc, s10, v12
	v_addc_co_u32_e32 v13, vcc, v6, v13, vcc
	global_load_dword v3, v[12:13], off
	v_lshlrev_b64 v[12:13], 2, v[4:5]
	v_add_u32_e32 v2, 4, v2
	v_add_co_u32_e32 v12, vcc, s12, v12
	v_addc_co_u32_e32 v13, vcc, v10, v13, vcc
	global_load_dwordx2 v[15:16], v[12:13], off
	v_add_u32_e32 v4, 8, v4
	s_waitcnt vmcnt(1)
	v_subrev_u32_e32 v13, s18, v3
	v_lshlrev_b64 v[12:13], 2, v[13:14]
	v_add_co_u32_e32 v12, vcc, s14, v12
	v_addc_co_u32_e32 v13, vcc, v11, v13, vcc
	global_load_dword v3, v[12:13], off
	v_cmp_ge_i32_e32 vcc, v2, v7
	s_or_b64 s[0:1], vcc, s[0:1]
	s_waitcnt vmcnt(0)
	v_fmac_f32_e32 v8, v15, v3
	v_fmac_f32_e32 v9, v16, v3
	s_andn2_b64 exec, exec, s[0:1]
	s_cbranch_execnz .LBB0_15
; %bb.16:
	s_or_b64 exec, exec, s[0:1]
.LBB0_17:
	s_or_b64 exec, exec, s[6:7]
.LBB0_18:
	v_mov_b32_dpp v2, v8 row_shr:1 row_mask:0xf bank_mask:0xf
	v_mov_b32_dpp v4, v9 row_shr:1 row_mask:0xf bank_mask:0xf
	v_add_f32_e32 v2, v8, v2
	v_add_f32_e32 v4, v9, v4
	v_cmp_eq_u32_e32 vcc, 3, v0
	v_mov_b32_dpp v3, v2 row_shr:2 row_mask:0xf bank_mask:0xf
	v_mov_b32_dpp v5, v4 row_shr:2 row_mask:0xf bank_mask:0xf
	s_and_b64 exec, exec, vcc
	s_cbranch_execz .LBB0_22
; %bb.19:
	s_load_dwordx2 s[0:1], s[4:5], 0x38
	v_add_f32_e32 v0, v2, v3
	v_add_f32_e32 v3, v4, v5
	v_cmp_eq_f32_e64 s[4:5], s2, 0
	s_and_b64 vcc, exec, s[4:5]
	v_mul_f32_e32 v2, s16, v0
	v_mul_f32_e32 v3, s16, v3
	v_lshlrev_b32_e32 v0, 1, v1
	s_cbranch_vccz .LBB0_23
; %bb.20:
	v_ashrrev_i32_e32 v1, 31, v0
	v_lshlrev_b64 v[4:5], 2, v[0:1]
	s_waitcnt lgkmcnt(0)
	v_mov_b32_e32 v1, s1
	v_add_co_u32_e32 v4, vcc, s0, v4
	v_addc_co_u32_e32 v5, vcc, v1, v5, vcc
	global_store_dwordx2 v[4:5], v[2:3], off
	s_cbranch_execnz .LBB0_22
.LBB0_21:
	v_ashrrev_i32_e32 v1, 31, v0
	v_lshlrev_b64 v[0:1], 2, v[0:1]
	s_waitcnt lgkmcnt(0)
	v_mov_b32_e32 v4, s1
	v_add_co_u32_e32 v0, vcc, s0, v0
	v_addc_co_u32_e32 v1, vcc, v4, v1, vcc
	global_load_dwordx2 v[4:5], v[0:1], off
	s_waitcnt vmcnt(0)
	v_fmac_f32_e32 v2, s2, v4
	v_fmac_f32_e32 v3, s2, v5
	global_store_dwordx2 v[0:1], v[2:3], off
.LBB0_22:
	s_endpgm
.LBB0_23:
	s_branch .LBB0_21
	.section	.rodata,"a",@progbits
	.p2align	6, 0x0
	.amdhsa_kernel _ZN9rocsparseL19gebsrmvn_2xn_kernelILj128ELj1ELj4EfEEvi20rocsparse_direction_NS_24const_host_device_scalarIT2_EEPKiS6_PKS3_S8_S4_PS3_21rocsparse_index_base_b
		.amdhsa_group_segment_fixed_size 0
		.amdhsa_private_segment_fixed_size 0
		.amdhsa_kernarg_size 72
		.amdhsa_user_sgpr_count 6
		.amdhsa_user_sgpr_private_segment_buffer 1
		.amdhsa_user_sgpr_dispatch_ptr 0
		.amdhsa_user_sgpr_queue_ptr 0
		.amdhsa_user_sgpr_kernarg_segment_ptr 1
		.amdhsa_user_sgpr_dispatch_id 0
		.amdhsa_user_sgpr_flat_scratch_init 0
		.amdhsa_user_sgpr_private_segment_size 0
		.amdhsa_uses_dynamic_stack 0
		.amdhsa_system_sgpr_private_segment_wavefront_offset 0
		.amdhsa_system_sgpr_workgroup_id_x 1
		.amdhsa_system_sgpr_workgroup_id_y 0
		.amdhsa_system_sgpr_workgroup_id_z 0
		.amdhsa_system_sgpr_workgroup_info 0
		.amdhsa_system_vgpr_workitem_id 0
		.amdhsa_next_free_vgpr 18
		.amdhsa_next_free_sgpr 20
		.amdhsa_reserve_vcc 1
		.amdhsa_reserve_flat_scratch 0
		.amdhsa_float_round_mode_32 0
		.amdhsa_float_round_mode_16_64 0
		.amdhsa_float_denorm_mode_32 3
		.amdhsa_float_denorm_mode_16_64 3
		.amdhsa_dx10_clamp 1
		.amdhsa_ieee_mode 1
		.amdhsa_fp16_overflow 0
		.amdhsa_exception_fp_ieee_invalid_op 0
		.amdhsa_exception_fp_denorm_src 0
		.amdhsa_exception_fp_ieee_div_zero 0
		.amdhsa_exception_fp_ieee_overflow 0
		.amdhsa_exception_fp_ieee_underflow 0
		.amdhsa_exception_fp_ieee_inexact 0
		.amdhsa_exception_int_div_zero 0
	.end_amdhsa_kernel
	.section	.text._ZN9rocsparseL19gebsrmvn_2xn_kernelILj128ELj1ELj4EfEEvi20rocsparse_direction_NS_24const_host_device_scalarIT2_EEPKiS6_PKS3_S8_S4_PS3_21rocsparse_index_base_b,"axG",@progbits,_ZN9rocsparseL19gebsrmvn_2xn_kernelILj128ELj1ELj4EfEEvi20rocsparse_direction_NS_24const_host_device_scalarIT2_EEPKiS6_PKS3_S8_S4_PS3_21rocsparse_index_base_b,comdat
.Lfunc_end0:
	.size	_ZN9rocsparseL19gebsrmvn_2xn_kernelILj128ELj1ELj4EfEEvi20rocsparse_direction_NS_24const_host_device_scalarIT2_EEPKiS6_PKS3_S8_S4_PS3_21rocsparse_index_base_b, .Lfunc_end0-_ZN9rocsparseL19gebsrmvn_2xn_kernelILj128ELj1ELj4EfEEvi20rocsparse_direction_NS_24const_host_device_scalarIT2_EEPKiS6_PKS3_S8_S4_PS3_21rocsparse_index_base_b
                                        ; -- End function
	.set _ZN9rocsparseL19gebsrmvn_2xn_kernelILj128ELj1ELj4EfEEvi20rocsparse_direction_NS_24const_host_device_scalarIT2_EEPKiS6_PKS3_S8_S4_PS3_21rocsparse_index_base_b.num_vgpr, 18
	.set _ZN9rocsparseL19gebsrmvn_2xn_kernelILj128ELj1ELj4EfEEvi20rocsparse_direction_NS_24const_host_device_scalarIT2_EEPKiS6_PKS3_S8_S4_PS3_21rocsparse_index_base_b.num_agpr, 0
	.set _ZN9rocsparseL19gebsrmvn_2xn_kernelILj128ELj1ELj4EfEEvi20rocsparse_direction_NS_24const_host_device_scalarIT2_EEPKiS6_PKS3_S8_S4_PS3_21rocsparse_index_base_b.numbered_sgpr, 20
	.set _ZN9rocsparseL19gebsrmvn_2xn_kernelILj128ELj1ELj4EfEEvi20rocsparse_direction_NS_24const_host_device_scalarIT2_EEPKiS6_PKS3_S8_S4_PS3_21rocsparse_index_base_b.num_named_barrier, 0
	.set _ZN9rocsparseL19gebsrmvn_2xn_kernelILj128ELj1ELj4EfEEvi20rocsparse_direction_NS_24const_host_device_scalarIT2_EEPKiS6_PKS3_S8_S4_PS3_21rocsparse_index_base_b.private_seg_size, 0
	.set _ZN9rocsparseL19gebsrmvn_2xn_kernelILj128ELj1ELj4EfEEvi20rocsparse_direction_NS_24const_host_device_scalarIT2_EEPKiS6_PKS3_S8_S4_PS3_21rocsparse_index_base_b.uses_vcc, 1
	.set _ZN9rocsparseL19gebsrmvn_2xn_kernelILj128ELj1ELj4EfEEvi20rocsparse_direction_NS_24const_host_device_scalarIT2_EEPKiS6_PKS3_S8_S4_PS3_21rocsparse_index_base_b.uses_flat_scratch, 0
	.set _ZN9rocsparseL19gebsrmvn_2xn_kernelILj128ELj1ELj4EfEEvi20rocsparse_direction_NS_24const_host_device_scalarIT2_EEPKiS6_PKS3_S8_S4_PS3_21rocsparse_index_base_b.has_dyn_sized_stack, 0
	.set _ZN9rocsparseL19gebsrmvn_2xn_kernelILj128ELj1ELj4EfEEvi20rocsparse_direction_NS_24const_host_device_scalarIT2_EEPKiS6_PKS3_S8_S4_PS3_21rocsparse_index_base_b.has_recursion, 0
	.set _ZN9rocsparseL19gebsrmvn_2xn_kernelILj128ELj1ELj4EfEEvi20rocsparse_direction_NS_24const_host_device_scalarIT2_EEPKiS6_PKS3_S8_S4_PS3_21rocsparse_index_base_b.has_indirect_call, 0
	.section	.AMDGPU.csdata,"",@progbits
; Kernel info:
; codeLenInByte = 792
; TotalNumSgprs: 24
; NumVgprs: 18
; ScratchSize: 0
; MemoryBound: 0
; FloatMode: 240
; IeeeMode: 1
; LDSByteSize: 0 bytes/workgroup (compile time only)
; SGPRBlocks: 2
; VGPRBlocks: 4
; NumSGPRsForWavesPerEU: 24
; NumVGPRsForWavesPerEU: 18
; Occupancy: 10
; WaveLimiterHint : 1
; COMPUTE_PGM_RSRC2:SCRATCH_EN: 0
; COMPUTE_PGM_RSRC2:USER_SGPR: 6
; COMPUTE_PGM_RSRC2:TRAP_HANDLER: 0
; COMPUTE_PGM_RSRC2:TGID_X_EN: 1
; COMPUTE_PGM_RSRC2:TGID_Y_EN: 0
; COMPUTE_PGM_RSRC2:TGID_Z_EN: 0
; COMPUTE_PGM_RSRC2:TIDIG_COMP_CNT: 0
	.section	.text._ZN9rocsparseL19gebsrmvn_2xn_kernelILj128ELj1ELj8EfEEvi20rocsparse_direction_NS_24const_host_device_scalarIT2_EEPKiS6_PKS3_S8_S4_PS3_21rocsparse_index_base_b,"axG",@progbits,_ZN9rocsparseL19gebsrmvn_2xn_kernelILj128ELj1ELj8EfEEvi20rocsparse_direction_NS_24const_host_device_scalarIT2_EEPKiS6_PKS3_S8_S4_PS3_21rocsparse_index_base_b,comdat
	.globl	_ZN9rocsparseL19gebsrmvn_2xn_kernelILj128ELj1ELj8EfEEvi20rocsparse_direction_NS_24const_host_device_scalarIT2_EEPKiS6_PKS3_S8_S4_PS3_21rocsparse_index_base_b ; -- Begin function _ZN9rocsparseL19gebsrmvn_2xn_kernelILj128ELj1ELj8EfEEvi20rocsparse_direction_NS_24const_host_device_scalarIT2_EEPKiS6_PKS3_S8_S4_PS3_21rocsparse_index_base_b
	.p2align	8
	.type	_ZN9rocsparseL19gebsrmvn_2xn_kernelILj128ELj1ELj8EfEEvi20rocsparse_direction_NS_24const_host_device_scalarIT2_EEPKiS6_PKS3_S8_S4_PS3_21rocsparse_index_base_b,@function
_ZN9rocsparseL19gebsrmvn_2xn_kernelILj128ELj1ELj8EfEEvi20rocsparse_direction_NS_24const_host_device_scalarIT2_EEPKiS6_PKS3_S8_S4_PS3_21rocsparse_index_base_b: ; @_ZN9rocsparseL19gebsrmvn_2xn_kernelILj128ELj1ELj8EfEEvi20rocsparse_direction_NS_24const_host_device_scalarIT2_EEPKiS6_PKS3_S8_S4_PS3_21rocsparse_index_base_b
; %bb.0:
	s_load_dwordx2 s[18:19], s[4:5], 0x40
	s_load_dwordx2 s[16:17], s[4:5], 0x8
	;; [unrolled: 1-line block ×3, first 2 shown]
	s_waitcnt lgkmcnt(0)
	s_bitcmp1_b32 s19, 0
	s_cselect_b64 s[8:9], -1, 0
	s_xor_b64 s[0:1], s[8:9], -1
	s_and_b64 vcc, exec, s[8:9]
	s_cbranch_vccnz .LBB1_2
; %bb.1:
	s_load_dword s16, s[16:17], 0x0
.LBB1_2:
	s_andn2_b64 vcc, exec, s[0:1]
	s_cbranch_vccnz .LBB1_4
; %bb.3:
	s_load_dword s2, s[2:3], 0x0
.LBB1_4:
	s_waitcnt lgkmcnt(0)
	v_cmp_eq_f32_e64 s[0:1], s16, 0
	v_cmp_eq_f32_e64 s[8:9], s2, 1.0
	s_and_b64 s[0:1], s[0:1], s[8:9]
	s_and_b64 vcc, exec, s[0:1]
	s_cbranch_vccnz .LBB1_22
; %bb.5:
	s_load_dwordx2 s[0:1], s[4:5], 0x0
	v_lshrrev_b32_e32 v1, 3, v0
	v_lshl_or_b32 v1, s6, 4, v1
	s_waitcnt lgkmcnt(0)
	v_cmp_gt_i32_e32 vcc, s0, v1
	s_and_saveexec_b64 s[6:7], vcc
	s_cbranch_execz .LBB1_22
; %bb.6:
	s_load_dwordx8 s[8:15], s[4:5], 0x10
	v_ashrrev_i32_e32 v2, 31, v1
	v_lshlrev_b64 v[2:3], 2, v[1:2]
	v_and_b32_e32 v0, 7, v0
	s_cmp_lg_u32 s1, 0
	s_waitcnt lgkmcnt(0)
	v_mov_b32_e32 v4, s9
	v_add_co_u32_e32 v2, vcc, s8, v2
	v_addc_co_u32_e32 v3, vcc, v4, v3, vcc
	global_load_dwordx2 v[2:3], v[2:3], off
	s_waitcnt vmcnt(0)
	v_subrev_u32_e32 v2, s18, v2
	v_subrev_u32_e32 v7, s18, v3
	v_add_u32_e32 v2, v2, v0
	v_cmp_lt_i32_e64 s[0:1], v2, v7
	s_cbranch_scc0 .LBB1_12
; %bb.7:
	v_mov_b32_e32 v8, 0
	v_mov_b32_e32 v9, 0
	s_and_saveexec_b64 s[6:7], s[0:1]
	s_cbranch_execz .LBB1_11
; %bb.8:
	v_mov_b32_e32 v4, 0
	v_lshlrev_b32_e32 v3, 1, v2
	s_mov_b64 s[8:9], 0
	v_mov_b32_e32 v10, s11
	v_mov_b32_e32 v11, s13
	;; [unrolled: 1-line block ×6, first 2 shown]
.LBB1_9:                                ; =>This Inner Loop Header: Depth=1
	v_ashrrev_i32_e32 v6, 31, v5
	v_lshlrev_b64 v[13:14], 2, v[5:6]
	v_mov_b32_e32 v15, v4
	v_add_co_u32_e32 v13, vcc, s10, v13
	v_addc_co_u32_e32 v14, vcc, v10, v14, vcc
	global_load_dword v6, v[13:14], off
	v_lshlrev_b64 v[13:14], 2, v[3:4]
	v_add_u32_e32 v5, 8, v5
	v_add_co_u32_e32 v13, vcc, s12, v13
	v_addc_co_u32_e32 v14, vcc, v11, v14, vcc
	global_load_dwordx2 v[16:17], v[13:14], off
	v_add_u32_e32 v3, 16, v3
	s_waitcnt vmcnt(1)
	v_subrev_u32_e32 v14, s18, v6
	v_lshlrev_b64 v[13:14], 2, v[14:15]
	v_add_co_u32_e32 v13, vcc, s14, v13
	v_addc_co_u32_e32 v14, vcc, v12, v14, vcc
	global_load_dword v6, v[13:14], off
	v_cmp_ge_i32_e32 vcc, v5, v7
	s_or_b64 s[8:9], vcc, s[8:9]
	s_waitcnt vmcnt(0)
	v_fmac_f32_e32 v8, v16, v6
	v_fmac_f32_e32 v9, v17, v6
	s_andn2_b64 exec, exec, s[8:9]
	s_cbranch_execnz .LBB1_9
; %bb.10:
	s_or_b64 exec, exec, s[8:9]
.LBB1_11:
	s_or_b64 exec, exec, s[6:7]
	s_cbranch_execz .LBB1_13
	s_branch .LBB1_18
.LBB1_12:
                                        ; implicit-def: $vgpr8
                                        ; implicit-def: $vgpr9
.LBB1_13:
	v_mov_b32_e32 v8, 0
	v_mov_b32_e32 v9, 0
	s_and_saveexec_b64 s[6:7], s[0:1]
	s_cbranch_execz .LBB1_17
; %bb.14:
	v_mov_b32_e32 v5, 0
	v_lshlrev_b32_e32 v4, 1, v2
	s_mov_b64 s[0:1], 0
	v_mov_b32_e32 v6, s11
	v_mov_b32_e32 v10, s13
	;; [unrolled: 1-line block ×5, first 2 shown]
.LBB1_15:                               ; =>This Inner Loop Header: Depth=1
	v_ashrrev_i32_e32 v3, 31, v2
	v_lshlrev_b64 v[12:13], 2, v[2:3]
	v_mov_b32_e32 v14, v5
	v_add_co_u32_e32 v12, vcc, s10, v12
	v_addc_co_u32_e32 v13, vcc, v6, v13, vcc
	global_load_dword v3, v[12:13], off
	v_lshlrev_b64 v[12:13], 2, v[4:5]
	v_add_u32_e32 v2, 8, v2
	v_add_co_u32_e32 v12, vcc, s12, v12
	v_addc_co_u32_e32 v13, vcc, v10, v13, vcc
	global_load_dwordx2 v[15:16], v[12:13], off
	v_add_u32_e32 v4, 16, v4
	s_waitcnt vmcnt(1)
	v_subrev_u32_e32 v13, s18, v3
	v_lshlrev_b64 v[12:13], 2, v[13:14]
	v_add_co_u32_e32 v12, vcc, s14, v12
	v_addc_co_u32_e32 v13, vcc, v11, v13, vcc
	global_load_dword v3, v[12:13], off
	v_cmp_ge_i32_e32 vcc, v2, v7
	s_or_b64 s[0:1], vcc, s[0:1]
	s_waitcnt vmcnt(0)
	v_fmac_f32_e32 v8, v15, v3
	v_fmac_f32_e32 v9, v16, v3
	s_andn2_b64 exec, exec, s[0:1]
	s_cbranch_execnz .LBB1_15
; %bb.16:
	s_or_b64 exec, exec, s[0:1]
.LBB1_17:
	s_or_b64 exec, exec, s[6:7]
.LBB1_18:
	v_mov_b32_dpp v2, v8 row_shr:1 row_mask:0xf bank_mask:0xf
	v_mov_b32_dpp v4, v9 row_shr:1 row_mask:0xf bank_mask:0xf
	v_add_f32_e32 v2, v8, v2
	v_add_f32_e32 v4, v9, v4
	v_cmp_eq_u32_e32 vcc, 7, v0
	v_mov_b32_dpp v3, v2 row_shr:2 row_mask:0xf bank_mask:0xf
	v_mov_b32_dpp v5, v4 row_shr:2 row_mask:0xf bank_mask:0xf
	v_add_f32_e32 v2, v2, v3
	v_add_f32_e32 v4, v4, v5
	s_nop 0
	v_mov_b32_dpp v3, v2 row_shr:4 row_mask:0xf bank_mask:0xe
	v_mov_b32_dpp v5, v4 row_shr:4 row_mask:0xf bank_mask:0xe
	s_and_b64 exec, exec, vcc
	s_cbranch_execz .LBB1_22
; %bb.19:
	s_load_dwordx2 s[0:1], s[4:5], 0x38
	v_add_f32_e32 v0, v2, v3
	v_add_f32_e32 v3, v4, v5
	v_cmp_eq_f32_e64 s[4:5], s2, 0
	s_and_b64 vcc, exec, s[4:5]
	v_mul_f32_e32 v2, s16, v0
	v_mul_f32_e32 v3, s16, v3
	v_lshlrev_b32_e32 v0, 1, v1
	s_cbranch_vccz .LBB1_23
; %bb.20:
	v_ashrrev_i32_e32 v1, 31, v0
	v_lshlrev_b64 v[4:5], 2, v[0:1]
	s_waitcnt lgkmcnt(0)
	v_mov_b32_e32 v1, s1
	v_add_co_u32_e32 v4, vcc, s0, v4
	v_addc_co_u32_e32 v5, vcc, v1, v5, vcc
	global_store_dwordx2 v[4:5], v[2:3], off
	s_cbranch_execnz .LBB1_22
.LBB1_21:
	v_ashrrev_i32_e32 v1, 31, v0
	v_lshlrev_b64 v[0:1], 2, v[0:1]
	s_waitcnt lgkmcnt(0)
	v_mov_b32_e32 v4, s1
	v_add_co_u32_e32 v0, vcc, s0, v0
	v_addc_co_u32_e32 v1, vcc, v4, v1, vcc
	global_load_dwordx2 v[4:5], v[0:1], off
	s_waitcnt vmcnt(0)
	v_fmac_f32_e32 v2, s2, v4
	v_fmac_f32_e32 v3, s2, v5
	global_store_dwordx2 v[0:1], v[2:3], off
.LBB1_22:
	s_endpgm
.LBB1_23:
	s_branch .LBB1_21
	.section	.rodata,"a",@progbits
	.p2align	6, 0x0
	.amdhsa_kernel _ZN9rocsparseL19gebsrmvn_2xn_kernelILj128ELj1ELj8EfEEvi20rocsparse_direction_NS_24const_host_device_scalarIT2_EEPKiS6_PKS3_S8_S4_PS3_21rocsparse_index_base_b
		.amdhsa_group_segment_fixed_size 0
		.amdhsa_private_segment_fixed_size 0
		.amdhsa_kernarg_size 72
		.amdhsa_user_sgpr_count 6
		.amdhsa_user_sgpr_private_segment_buffer 1
		.amdhsa_user_sgpr_dispatch_ptr 0
		.amdhsa_user_sgpr_queue_ptr 0
		.amdhsa_user_sgpr_kernarg_segment_ptr 1
		.amdhsa_user_sgpr_dispatch_id 0
		.amdhsa_user_sgpr_flat_scratch_init 0
		.amdhsa_user_sgpr_private_segment_size 0
		.amdhsa_uses_dynamic_stack 0
		.amdhsa_system_sgpr_private_segment_wavefront_offset 0
		.amdhsa_system_sgpr_workgroup_id_x 1
		.amdhsa_system_sgpr_workgroup_id_y 0
		.amdhsa_system_sgpr_workgroup_id_z 0
		.amdhsa_system_sgpr_workgroup_info 0
		.amdhsa_system_vgpr_workitem_id 0
		.amdhsa_next_free_vgpr 18
		.amdhsa_next_free_sgpr 20
		.amdhsa_reserve_vcc 1
		.amdhsa_reserve_flat_scratch 0
		.amdhsa_float_round_mode_32 0
		.amdhsa_float_round_mode_16_64 0
		.amdhsa_float_denorm_mode_32 3
		.amdhsa_float_denorm_mode_16_64 3
		.amdhsa_dx10_clamp 1
		.amdhsa_ieee_mode 1
		.amdhsa_fp16_overflow 0
		.amdhsa_exception_fp_ieee_invalid_op 0
		.amdhsa_exception_fp_denorm_src 0
		.amdhsa_exception_fp_ieee_div_zero 0
		.amdhsa_exception_fp_ieee_overflow 0
		.amdhsa_exception_fp_ieee_underflow 0
		.amdhsa_exception_fp_ieee_inexact 0
		.amdhsa_exception_int_div_zero 0
	.end_amdhsa_kernel
	.section	.text._ZN9rocsparseL19gebsrmvn_2xn_kernelILj128ELj1ELj8EfEEvi20rocsparse_direction_NS_24const_host_device_scalarIT2_EEPKiS6_PKS3_S8_S4_PS3_21rocsparse_index_base_b,"axG",@progbits,_ZN9rocsparseL19gebsrmvn_2xn_kernelILj128ELj1ELj8EfEEvi20rocsparse_direction_NS_24const_host_device_scalarIT2_EEPKiS6_PKS3_S8_S4_PS3_21rocsparse_index_base_b,comdat
.Lfunc_end1:
	.size	_ZN9rocsparseL19gebsrmvn_2xn_kernelILj128ELj1ELj8EfEEvi20rocsparse_direction_NS_24const_host_device_scalarIT2_EEPKiS6_PKS3_S8_S4_PS3_21rocsparse_index_base_b, .Lfunc_end1-_ZN9rocsparseL19gebsrmvn_2xn_kernelILj128ELj1ELj8EfEEvi20rocsparse_direction_NS_24const_host_device_scalarIT2_EEPKiS6_PKS3_S8_S4_PS3_21rocsparse_index_base_b
                                        ; -- End function
	.set _ZN9rocsparseL19gebsrmvn_2xn_kernelILj128ELj1ELj8EfEEvi20rocsparse_direction_NS_24const_host_device_scalarIT2_EEPKiS6_PKS3_S8_S4_PS3_21rocsparse_index_base_b.num_vgpr, 18
	.set _ZN9rocsparseL19gebsrmvn_2xn_kernelILj128ELj1ELj8EfEEvi20rocsparse_direction_NS_24const_host_device_scalarIT2_EEPKiS6_PKS3_S8_S4_PS3_21rocsparse_index_base_b.num_agpr, 0
	.set _ZN9rocsparseL19gebsrmvn_2xn_kernelILj128ELj1ELj8EfEEvi20rocsparse_direction_NS_24const_host_device_scalarIT2_EEPKiS6_PKS3_S8_S4_PS3_21rocsparse_index_base_b.numbered_sgpr, 20
	.set _ZN9rocsparseL19gebsrmvn_2xn_kernelILj128ELj1ELj8EfEEvi20rocsparse_direction_NS_24const_host_device_scalarIT2_EEPKiS6_PKS3_S8_S4_PS3_21rocsparse_index_base_b.num_named_barrier, 0
	.set _ZN9rocsparseL19gebsrmvn_2xn_kernelILj128ELj1ELj8EfEEvi20rocsparse_direction_NS_24const_host_device_scalarIT2_EEPKiS6_PKS3_S8_S4_PS3_21rocsparse_index_base_b.private_seg_size, 0
	.set _ZN9rocsparseL19gebsrmvn_2xn_kernelILj128ELj1ELj8EfEEvi20rocsparse_direction_NS_24const_host_device_scalarIT2_EEPKiS6_PKS3_S8_S4_PS3_21rocsparse_index_base_b.uses_vcc, 1
	.set _ZN9rocsparseL19gebsrmvn_2xn_kernelILj128ELj1ELj8EfEEvi20rocsparse_direction_NS_24const_host_device_scalarIT2_EEPKiS6_PKS3_S8_S4_PS3_21rocsparse_index_base_b.uses_flat_scratch, 0
	.set _ZN9rocsparseL19gebsrmvn_2xn_kernelILj128ELj1ELj8EfEEvi20rocsparse_direction_NS_24const_host_device_scalarIT2_EEPKiS6_PKS3_S8_S4_PS3_21rocsparse_index_base_b.has_dyn_sized_stack, 0
	.set _ZN9rocsparseL19gebsrmvn_2xn_kernelILj128ELj1ELj8EfEEvi20rocsparse_direction_NS_24const_host_device_scalarIT2_EEPKiS6_PKS3_S8_S4_PS3_21rocsparse_index_base_b.has_recursion, 0
	.set _ZN9rocsparseL19gebsrmvn_2xn_kernelILj128ELj1ELj8EfEEvi20rocsparse_direction_NS_24const_host_device_scalarIT2_EEPKiS6_PKS3_S8_S4_PS3_21rocsparse_index_base_b.has_indirect_call, 0
	.section	.AMDGPU.csdata,"",@progbits
; Kernel info:
; codeLenInByte = 820
; TotalNumSgprs: 24
; NumVgprs: 18
; ScratchSize: 0
; MemoryBound: 0
; FloatMode: 240
; IeeeMode: 1
; LDSByteSize: 0 bytes/workgroup (compile time only)
; SGPRBlocks: 2
; VGPRBlocks: 4
; NumSGPRsForWavesPerEU: 24
; NumVGPRsForWavesPerEU: 18
; Occupancy: 10
; WaveLimiterHint : 1
; COMPUTE_PGM_RSRC2:SCRATCH_EN: 0
; COMPUTE_PGM_RSRC2:USER_SGPR: 6
; COMPUTE_PGM_RSRC2:TRAP_HANDLER: 0
; COMPUTE_PGM_RSRC2:TGID_X_EN: 1
; COMPUTE_PGM_RSRC2:TGID_Y_EN: 0
; COMPUTE_PGM_RSRC2:TGID_Z_EN: 0
; COMPUTE_PGM_RSRC2:TIDIG_COMP_CNT: 0
	.section	.text._ZN9rocsparseL19gebsrmvn_2xn_kernelILj128ELj1ELj16EfEEvi20rocsparse_direction_NS_24const_host_device_scalarIT2_EEPKiS6_PKS3_S8_S4_PS3_21rocsparse_index_base_b,"axG",@progbits,_ZN9rocsparseL19gebsrmvn_2xn_kernelILj128ELj1ELj16EfEEvi20rocsparse_direction_NS_24const_host_device_scalarIT2_EEPKiS6_PKS3_S8_S4_PS3_21rocsparse_index_base_b,comdat
	.globl	_ZN9rocsparseL19gebsrmvn_2xn_kernelILj128ELj1ELj16EfEEvi20rocsparse_direction_NS_24const_host_device_scalarIT2_EEPKiS6_PKS3_S8_S4_PS3_21rocsparse_index_base_b ; -- Begin function _ZN9rocsparseL19gebsrmvn_2xn_kernelILj128ELj1ELj16EfEEvi20rocsparse_direction_NS_24const_host_device_scalarIT2_EEPKiS6_PKS3_S8_S4_PS3_21rocsparse_index_base_b
	.p2align	8
	.type	_ZN9rocsparseL19gebsrmvn_2xn_kernelILj128ELj1ELj16EfEEvi20rocsparse_direction_NS_24const_host_device_scalarIT2_EEPKiS6_PKS3_S8_S4_PS3_21rocsparse_index_base_b,@function
_ZN9rocsparseL19gebsrmvn_2xn_kernelILj128ELj1ELj16EfEEvi20rocsparse_direction_NS_24const_host_device_scalarIT2_EEPKiS6_PKS3_S8_S4_PS3_21rocsparse_index_base_b: ; @_ZN9rocsparseL19gebsrmvn_2xn_kernelILj128ELj1ELj16EfEEvi20rocsparse_direction_NS_24const_host_device_scalarIT2_EEPKiS6_PKS3_S8_S4_PS3_21rocsparse_index_base_b
; %bb.0:
	s_load_dwordx2 s[18:19], s[4:5], 0x40
	s_load_dwordx2 s[16:17], s[4:5], 0x8
	;; [unrolled: 1-line block ×3, first 2 shown]
	s_waitcnt lgkmcnt(0)
	s_bitcmp1_b32 s19, 0
	s_cselect_b64 s[8:9], -1, 0
	s_xor_b64 s[0:1], s[8:9], -1
	s_and_b64 vcc, exec, s[8:9]
	s_cbranch_vccnz .LBB2_2
; %bb.1:
	s_load_dword s16, s[16:17], 0x0
.LBB2_2:
	s_andn2_b64 vcc, exec, s[0:1]
	s_cbranch_vccnz .LBB2_4
; %bb.3:
	s_load_dword s2, s[2:3], 0x0
.LBB2_4:
	s_waitcnt lgkmcnt(0)
	v_cmp_eq_f32_e64 s[0:1], s16, 0
	v_cmp_eq_f32_e64 s[8:9], s2, 1.0
	s_and_b64 s[0:1], s[0:1], s[8:9]
	s_and_b64 vcc, exec, s[0:1]
	s_cbranch_vccnz .LBB2_22
; %bb.5:
	s_load_dwordx2 s[0:1], s[4:5], 0x0
	v_lshrrev_b32_e32 v1, 4, v0
	v_lshl_or_b32 v1, s6, 3, v1
	s_waitcnt lgkmcnt(0)
	v_cmp_gt_i32_e32 vcc, s0, v1
	s_and_saveexec_b64 s[6:7], vcc
	s_cbranch_execz .LBB2_22
; %bb.6:
	s_load_dwordx8 s[8:15], s[4:5], 0x10
	v_ashrrev_i32_e32 v2, 31, v1
	v_lshlrev_b64 v[2:3], 2, v[1:2]
	v_and_b32_e32 v0, 15, v0
	s_cmp_lg_u32 s1, 0
	s_waitcnt lgkmcnt(0)
	v_mov_b32_e32 v4, s9
	v_add_co_u32_e32 v2, vcc, s8, v2
	v_addc_co_u32_e32 v3, vcc, v4, v3, vcc
	global_load_dwordx2 v[2:3], v[2:3], off
	s_waitcnt vmcnt(0)
	v_subrev_u32_e32 v2, s18, v2
	v_subrev_u32_e32 v7, s18, v3
	v_add_u32_e32 v2, v2, v0
	v_cmp_lt_i32_e64 s[0:1], v2, v7
	s_cbranch_scc0 .LBB2_12
; %bb.7:
	v_mov_b32_e32 v8, 0
	v_mov_b32_e32 v9, 0
	s_and_saveexec_b64 s[6:7], s[0:1]
	s_cbranch_execz .LBB2_11
; %bb.8:
	v_mov_b32_e32 v4, 0
	v_lshlrev_b32_e32 v3, 1, v2
	s_mov_b64 s[8:9], 0
	v_mov_b32_e32 v10, s11
	v_mov_b32_e32 v11, s13
	;; [unrolled: 1-line block ×6, first 2 shown]
.LBB2_9:                                ; =>This Inner Loop Header: Depth=1
	v_ashrrev_i32_e32 v6, 31, v5
	v_lshlrev_b64 v[13:14], 2, v[5:6]
	v_mov_b32_e32 v15, v4
	v_add_co_u32_e32 v13, vcc, s10, v13
	v_addc_co_u32_e32 v14, vcc, v10, v14, vcc
	global_load_dword v6, v[13:14], off
	v_lshlrev_b64 v[13:14], 2, v[3:4]
	v_add_u32_e32 v5, 16, v5
	v_add_co_u32_e32 v13, vcc, s12, v13
	v_addc_co_u32_e32 v14, vcc, v11, v14, vcc
	global_load_dwordx2 v[16:17], v[13:14], off
	v_add_u32_e32 v3, 32, v3
	s_waitcnt vmcnt(1)
	v_subrev_u32_e32 v14, s18, v6
	v_lshlrev_b64 v[13:14], 2, v[14:15]
	v_add_co_u32_e32 v13, vcc, s14, v13
	v_addc_co_u32_e32 v14, vcc, v12, v14, vcc
	global_load_dword v6, v[13:14], off
	v_cmp_ge_i32_e32 vcc, v5, v7
	s_or_b64 s[8:9], vcc, s[8:9]
	s_waitcnt vmcnt(0)
	v_fmac_f32_e32 v8, v16, v6
	v_fmac_f32_e32 v9, v17, v6
	s_andn2_b64 exec, exec, s[8:9]
	s_cbranch_execnz .LBB2_9
; %bb.10:
	s_or_b64 exec, exec, s[8:9]
.LBB2_11:
	s_or_b64 exec, exec, s[6:7]
	s_cbranch_execz .LBB2_13
	s_branch .LBB2_18
.LBB2_12:
                                        ; implicit-def: $vgpr8
                                        ; implicit-def: $vgpr9
.LBB2_13:
	v_mov_b32_e32 v8, 0
	v_mov_b32_e32 v9, 0
	s_and_saveexec_b64 s[6:7], s[0:1]
	s_cbranch_execz .LBB2_17
; %bb.14:
	v_mov_b32_e32 v5, 0
	v_lshlrev_b32_e32 v4, 1, v2
	s_mov_b64 s[0:1], 0
	v_mov_b32_e32 v6, s11
	v_mov_b32_e32 v10, s13
	;; [unrolled: 1-line block ×5, first 2 shown]
.LBB2_15:                               ; =>This Inner Loop Header: Depth=1
	v_ashrrev_i32_e32 v3, 31, v2
	v_lshlrev_b64 v[12:13], 2, v[2:3]
	v_mov_b32_e32 v14, v5
	v_add_co_u32_e32 v12, vcc, s10, v12
	v_addc_co_u32_e32 v13, vcc, v6, v13, vcc
	global_load_dword v3, v[12:13], off
	v_lshlrev_b64 v[12:13], 2, v[4:5]
	v_add_u32_e32 v2, 16, v2
	v_add_co_u32_e32 v12, vcc, s12, v12
	v_addc_co_u32_e32 v13, vcc, v10, v13, vcc
	global_load_dwordx2 v[15:16], v[12:13], off
	v_add_u32_e32 v4, 32, v4
	s_waitcnt vmcnt(1)
	v_subrev_u32_e32 v13, s18, v3
	v_lshlrev_b64 v[12:13], 2, v[13:14]
	v_add_co_u32_e32 v12, vcc, s14, v12
	v_addc_co_u32_e32 v13, vcc, v11, v13, vcc
	global_load_dword v3, v[12:13], off
	v_cmp_ge_i32_e32 vcc, v2, v7
	s_or_b64 s[0:1], vcc, s[0:1]
	s_waitcnt vmcnt(0)
	v_fmac_f32_e32 v8, v15, v3
	v_fmac_f32_e32 v9, v16, v3
	s_andn2_b64 exec, exec, s[0:1]
	s_cbranch_execnz .LBB2_15
; %bb.16:
	s_or_b64 exec, exec, s[0:1]
.LBB2_17:
	s_or_b64 exec, exec, s[6:7]
.LBB2_18:
	v_mov_b32_dpp v2, v8 row_shr:1 row_mask:0xf bank_mask:0xf
	v_mov_b32_dpp v4, v9 row_shr:1 row_mask:0xf bank_mask:0xf
	v_add_f32_e32 v2, v8, v2
	v_add_f32_e32 v4, v9, v4
	v_cmp_eq_u32_e32 vcc, 15, v0
	v_mov_b32_dpp v3, v2 row_shr:2 row_mask:0xf bank_mask:0xf
	v_mov_b32_dpp v5, v4 row_shr:2 row_mask:0xf bank_mask:0xf
	v_add_f32_e32 v2, v2, v3
	v_add_f32_e32 v4, v4, v5
	s_nop 0
	v_mov_b32_dpp v3, v2 row_shr:4 row_mask:0xf bank_mask:0xe
	v_mov_b32_dpp v5, v4 row_shr:4 row_mask:0xf bank_mask:0xe
	v_add_f32_e32 v2, v2, v3
	v_add_f32_e32 v4, v4, v5
	s_nop 0
	v_mov_b32_dpp v3, v2 row_shr:8 row_mask:0xf bank_mask:0xc
	v_mov_b32_dpp v5, v4 row_shr:8 row_mask:0xf bank_mask:0xc
	s_and_b64 exec, exec, vcc
	s_cbranch_execz .LBB2_22
; %bb.19:
	s_load_dwordx2 s[0:1], s[4:5], 0x38
	v_add_f32_e32 v0, v2, v3
	v_add_f32_e32 v3, v4, v5
	v_cmp_eq_f32_e64 s[4:5], s2, 0
	s_and_b64 vcc, exec, s[4:5]
	v_mul_f32_e32 v2, s16, v0
	v_mul_f32_e32 v3, s16, v3
	v_lshlrev_b32_e32 v0, 1, v1
	s_cbranch_vccz .LBB2_23
; %bb.20:
	v_ashrrev_i32_e32 v1, 31, v0
	v_lshlrev_b64 v[4:5], 2, v[0:1]
	s_waitcnt lgkmcnt(0)
	v_mov_b32_e32 v1, s1
	v_add_co_u32_e32 v4, vcc, s0, v4
	v_addc_co_u32_e32 v5, vcc, v1, v5, vcc
	global_store_dwordx2 v[4:5], v[2:3], off
	s_cbranch_execnz .LBB2_22
.LBB2_21:
	v_ashrrev_i32_e32 v1, 31, v0
	v_lshlrev_b64 v[0:1], 2, v[0:1]
	s_waitcnt lgkmcnt(0)
	v_mov_b32_e32 v4, s1
	v_add_co_u32_e32 v0, vcc, s0, v0
	v_addc_co_u32_e32 v1, vcc, v4, v1, vcc
	global_load_dwordx2 v[4:5], v[0:1], off
	s_waitcnt vmcnt(0)
	v_fmac_f32_e32 v2, s2, v4
	v_fmac_f32_e32 v3, s2, v5
	global_store_dwordx2 v[0:1], v[2:3], off
.LBB2_22:
	s_endpgm
.LBB2_23:
	s_branch .LBB2_21
	.section	.rodata,"a",@progbits
	.p2align	6, 0x0
	.amdhsa_kernel _ZN9rocsparseL19gebsrmvn_2xn_kernelILj128ELj1ELj16EfEEvi20rocsparse_direction_NS_24const_host_device_scalarIT2_EEPKiS6_PKS3_S8_S4_PS3_21rocsparse_index_base_b
		.amdhsa_group_segment_fixed_size 0
		.amdhsa_private_segment_fixed_size 0
		.amdhsa_kernarg_size 72
		.amdhsa_user_sgpr_count 6
		.amdhsa_user_sgpr_private_segment_buffer 1
		.amdhsa_user_sgpr_dispatch_ptr 0
		.amdhsa_user_sgpr_queue_ptr 0
		.amdhsa_user_sgpr_kernarg_segment_ptr 1
		.amdhsa_user_sgpr_dispatch_id 0
		.amdhsa_user_sgpr_flat_scratch_init 0
		.amdhsa_user_sgpr_private_segment_size 0
		.amdhsa_uses_dynamic_stack 0
		.amdhsa_system_sgpr_private_segment_wavefront_offset 0
		.amdhsa_system_sgpr_workgroup_id_x 1
		.amdhsa_system_sgpr_workgroup_id_y 0
		.amdhsa_system_sgpr_workgroup_id_z 0
		.amdhsa_system_sgpr_workgroup_info 0
		.amdhsa_system_vgpr_workitem_id 0
		.amdhsa_next_free_vgpr 18
		.amdhsa_next_free_sgpr 20
		.amdhsa_reserve_vcc 1
		.amdhsa_reserve_flat_scratch 0
		.amdhsa_float_round_mode_32 0
		.amdhsa_float_round_mode_16_64 0
		.amdhsa_float_denorm_mode_32 3
		.amdhsa_float_denorm_mode_16_64 3
		.amdhsa_dx10_clamp 1
		.amdhsa_ieee_mode 1
		.amdhsa_fp16_overflow 0
		.amdhsa_exception_fp_ieee_invalid_op 0
		.amdhsa_exception_fp_denorm_src 0
		.amdhsa_exception_fp_ieee_div_zero 0
		.amdhsa_exception_fp_ieee_overflow 0
		.amdhsa_exception_fp_ieee_underflow 0
		.amdhsa_exception_fp_ieee_inexact 0
		.amdhsa_exception_int_div_zero 0
	.end_amdhsa_kernel
	.section	.text._ZN9rocsparseL19gebsrmvn_2xn_kernelILj128ELj1ELj16EfEEvi20rocsparse_direction_NS_24const_host_device_scalarIT2_EEPKiS6_PKS3_S8_S4_PS3_21rocsparse_index_base_b,"axG",@progbits,_ZN9rocsparseL19gebsrmvn_2xn_kernelILj128ELj1ELj16EfEEvi20rocsparse_direction_NS_24const_host_device_scalarIT2_EEPKiS6_PKS3_S8_S4_PS3_21rocsparse_index_base_b,comdat
.Lfunc_end2:
	.size	_ZN9rocsparseL19gebsrmvn_2xn_kernelILj128ELj1ELj16EfEEvi20rocsparse_direction_NS_24const_host_device_scalarIT2_EEPKiS6_PKS3_S8_S4_PS3_21rocsparse_index_base_b, .Lfunc_end2-_ZN9rocsparseL19gebsrmvn_2xn_kernelILj128ELj1ELj16EfEEvi20rocsparse_direction_NS_24const_host_device_scalarIT2_EEPKiS6_PKS3_S8_S4_PS3_21rocsparse_index_base_b
                                        ; -- End function
	.set _ZN9rocsparseL19gebsrmvn_2xn_kernelILj128ELj1ELj16EfEEvi20rocsparse_direction_NS_24const_host_device_scalarIT2_EEPKiS6_PKS3_S8_S4_PS3_21rocsparse_index_base_b.num_vgpr, 18
	.set _ZN9rocsparseL19gebsrmvn_2xn_kernelILj128ELj1ELj16EfEEvi20rocsparse_direction_NS_24const_host_device_scalarIT2_EEPKiS6_PKS3_S8_S4_PS3_21rocsparse_index_base_b.num_agpr, 0
	.set _ZN9rocsparseL19gebsrmvn_2xn_kernelILj128ELj1ELj16EfEEvi20rocsparse_direction_NS_24const_host_device_scalarIT2_EEPKiS6_PKS3_S8_S4_PS3_21rocsparse_index_base_b.numbered_sgpr, 20
	.set _ZN9rocsparseL19gebsrmvn_2xn_kernelILj128ELj1ELj16EfEEvi20rocsparse_direction_NS_24const_host_device_scalarIT2_EEPKiS6_PKS3_S8_S4_PS3_21rocsparse_index_base_b.num_named_barrier, 0
	.set _ZN9rocsparseL19gebsrmvn_2xn_kernelILj128ELj1ELj16EfEEvi20rocsparse_direction_NS_24const_host_device_scalarIT2_EEPKiS6_PKS3_S8_S4_PS3_21rocsparse_index_base_b.private_seg_size, 0
	.set _ZN9rocsparseL19gebsrmvn_2xn_kernelILj128ELj1ELj16EfEEvi20rocsparse_direction_NS_24const_host_device_scalarIT2_EEPKiS6_PKS3_S8_S4_PS3_21rocsparse_index_base_b.uses_vcc, 1
	.set _ZN9rocsparseL19gebsrmvn_2xn_kernelILj128ELj1ELj16EfEEvi20rocsparse_direction_NS_24const_host_device_scalarIT2_EEPKiS6_PKS3_S8_S4_PS3_21rocsparse_index_base_b.uses_flat_scratch, 0
	.set _ZN9rocsparseL19gebsrmvn_2xn_kernelILj128ELj1ELj16EfEEvi20rocsparse_direction_NS_24const_host_device_scalarIT2_EEPKiS6_PKS3_S8_S4_PS3_21rocsparse_index_base_b.has_dyn_sized_stack, 0
	.set _ZN9rocsparseL19gebsrmvn_2xn_kernelILj128ELj1ELj16EfEEvi20rocsparse_direction_NS_24const_host_device_scalarIT2_EEPKiS6_PKS3_S8_S4_PS3_21rocsparse_index_base_b.has_recursion, 0
	.set _ZN9rocsparseL19gebsrmvn_2xn_kernelILj128ELj1ELj16EfEEvi20rocsparse_direction_NS_24const_host_device_scalarIT2_EEPKiS6_PKS3_S8_S4_PS3_21rocsparse_index_base_b.has_indirect_call, 0
	.section	.AMDGPU.csdata,"",@progbits
; Kernel info:
; codeLenInByte = 848
; TotalNumSgprs: 24
; NumVgprs: 18
; ScratchSize: 0
; MemoryBound: 0
; FloatMode: 240
; IeeeMode: 1
; LDSByteSize: 0 bytes/workgroup (compile time only)
; SGPRBlocks: 2
; VGPRBlocks: 4
; NumSGPRsForWavesPerEU: 24
; NumVGPRsForWavesPerEU: 18
; Occupancy: 10
; WaveLimiterHint : 1
; COMPUTE_PGM_RSRC2:SCRATCH_EN: 0
; COMPUTE_PGM_RSRC2:USER_SGPR: 6
; COMPUTE_PGM_RSRC2:TRAP_HANDLER: 0
; COMPUTE_PGM_RSRC2:TGID_X_EN: 1
; COMPUTE_PGM_RSRC2:TGID_Y_EN: 0
; COMPUTE_PGM_RSRC2:TGID_Z_EN: 0
; COMPUTE_PGM_RSRC2:TIDIG_COMP_CNT: 0
	.section	.text._ZN9rocsparseL19gebsrmvn_2xn_kernelILj128ELj1ELj32EfEEvi20rocsparse_direction_NS_24const_host_device_scalarIT2_EEPKiS6_PKS3_S8_S4_PS3_21rocsparse_index_base_b,"axG",@progbits,_ZN9rocsparseL19gebsrmvn_2xn_kernelILj128ELj1ELj32EfEEvi20rocsparse_direction_NS_24const_host_device_scalarIT2_EEPKiS6_PKS3_S8_S4_PS3_21rocsparse_index_base_b,comdat
	.globl	_ZN9rocsparseL19gebsrmvn_2xn_kernelILj128ELj1ELj32EfEEvi20rocsparse_direction_NS_24const_host_device_scalarIT2_EEPKiS6_PKS3_S8_S4_PS3_21rocsparse_index_base_b ; -- Begin function _ZN9rocsparseL19gebsrmvn_2xn_kernelILj128ELj1ELj32EfEEvi20rocsparse_direction_NS_24const_host_device_scalarIT2_EEPKiS6_PKS3_S8_S4_PS3_21rocsparse_index_base_b
	.p2align	8
	.type	_ZN9rocsparseL19gebsrmvn_2xn_kernelILj128ELj1ELj32EfEEvi20rocsparse_direction_NS_24const_host_device_scalarIT2_EEPKiS6_PKS3_S8_S4_PS3_21rocsparse_index_base_b,@function
_ZN9rocsparseL19gebsrmvn_2xn_kernelILj128ELj1ELj32EfEEvi20rocsparse_direction_NS_24const_host_device_scalarIT2_EEPKiS6_PKS3_S8_S4_PS3_21rocsparse_index_base_b: ; @_ZN9rocsparseL19gebsrmvn_2xn_kernelILj128ELj1ELj32EfEEvi20rocsparse_direction_NS_24const_host_device_scalarIT2_EEPKiS6_PKS3_S8_S4_PS3_21rocsparse_index_base_b
; %bb.0:
	s_load_dwordx2 s[18:19], s[4:5], 0x40
	s_load_dwordx2 s[16:17], s[4:5], 0x8
	;; [unrolled: 1-line block ×3, first 2 shown]
	s_waitcnt lgkmcnt(0)
	s_bitcmp1_b32 s19, 0
	s_cselect_b64 s[8:9], -1, 0
	s_xor_b64 s[0:1], s[8:9], -1
	s_and_b64 vcc, exec, s[8:9]
	s_cbranch_vccnz .LBB3_2
; %bb.1:
	s_load_dword s16, s[16:17], 0x0
.LBB3_2:
	s_andn2_b64 vcc, exec, s[0:1]
	s_cbranch_vccnz .LBB3_4
; %bb.3:
	s_load_dword s2, s[2:3], 0x0
.LBB3_4:
	s_waitcnt lgkmcnt(0)
	v_cmp_eq_f32_e64 s[0:1], s16, 0
	v_cmp_eq_f32_e64 s[8:9], s2, 1.0
	s_and_b64 s[0:1], s[0:1], s[8:9]
	s_and_b64 vcc, exec, s[0:1]
	s_cbranch_vccnz .LBB3_22
; %bb.5:
	s_load_dwordx2 s[0:1], s[4:5], 0x0
	v_lshrrev_b32_e32 v1, 5, v0
	v_lshl_or_b32 v1, s6, 2, v1
	s_waitcnt lgkmcnt(0)
	v_cmp_gt_i32_e32 vcc, s0, v1
	s_and_saveexec_b64 s[6:7], vcc
	s_cbranch_execz .LBB3_22
; %bb.6:
	s_load_dwordx8 s[8:15], s[4:5], 0x10
	v_ashrrev_i32_e32 v2, 31, v1
	v_lshlrev_b64 v[2:3], 2, v[1:2]
	v_and_b32_e32 v0, 31, v0
	s_cmp_lg_u32 s1, 0
	s_waitcnt lgkmcnt(0)
	v_mov_b32_e32 v4, s9
	v_add_co_u32_e32 v2, vcc, s8, v2
	v_addc_co_u32_e32 v3, vcc, v4, v3, vcc
	global_load_dwordx2 v[2:3], v[2:3], off
	s_waitcnt vmcnt(0)
	v_subrev_u32_e32 v2, s18, v2
	v_subrev_u32_e32 v7, s18, v3
	v_add_u32_e32 v2, v2, v0
	v_cmp_lt_i32_e64 s[0:1], v2, v7
	s_cbranch_scc0 .LBB3_12
; %bb.7:
	v_mov_b32_e32 v9, 0
	v_mov_b32_e32 v8, 0
	s_and_saveexec_b64 s[6:7], s[0:1]
	s_cbranch_execz .LBB3_11
; %bb.8:
	v_mov_b32_e32 v4, 0
	v_lshlrev_b32_e32 v3, 1, v2
	s_mov_b64 s[8:9], 0
	v_mov_b32_e32 v10, s11
	v_mov_b32_e32 v11, s13
	;; [unrolled: 1-line block ×6, first 2 shown]
.LBB3_9:                                ; =>This Inner Loop Header: Depth=1
	v_ashrrev_i32_e32 v6, 31, v5
	v_lshlrev_b64 v[13:14], 2, v[5:6]
	v_mov_b32_e32 v15, v4
	v_add_co_u32_e32 v13, vcc, s10, v13
	v_addc_co_u32_e32 v14, vcc, v10, v14, vcc
	global_load_dword v6, v[13:14], off
	v_lshlrev_b64 v[13:14], 2, v[3:4]
	v_add_u32_e32 v5, 32, v5
	v_add_co_u32_e32 v13, vcc, s12, v13
	v_addc_co_u32_e32 v14, vcc, v11, v14, vcc
	global_load_dwordx2 v[16:17], v[13:14], off
	v_add_u32_e32 v3, 64, v3
	s_waitcnt vmcnt(1)
	v_subrev_u32_e32 v14, s18, v6
	v_lshlrev_b64 v[13:14], 2, v[14:15]
	v_add_co_u32_e32 v13, vcc, s14, v13
	v_addc_co_u32_e32 v14, vcc, v12, v14, vcc
	global_load_dword v6, v[13:14], off
	v_cmp_ge_i32_e32 vcc, v5, v7
	s_or_b64 s[8:9], vcc, s[8:9]
	s_waitcnt vmcnt(0)
	v_fmac_f32_e32 v9, v16, v6
	v_fmac_f32_e32 v8, v17, v6
	s_andn2_b64 exec, exec, s[8:9]
	s_cbranch_execnz .LBB3_9
; %bb.10:
	s_or_b64 exec, exec, s[8:9]
.LBB3_11:
	s_or_b64 exec, exec, s[6:7]
	s_cbranch_execz .LBB3_13
	s_branch .LBB3_18
.LBB3_12:
                                        ; implicit-def: $vgpr9
                                        ; implicit-def: $vgpr8
.LBB3_13:
	v_mov_b32_e32 v9, 0
	v_mov_b32_e32 v8, 0
	s_and_saveexec_b64 s[6:7], s[0:1]
	s_cbranch_execz .LBB3_17
; %bb.14:
	v_mov_b32_e32 v5, 0
	v_lshlrev_b32_e32 v4, 1, v2
	s_mov_b64 s[0:1], 0
	v_mov_b32_e32 v6, s11
	v_mov_b32_e32 v10, s13
	;; [unrolled: 1-line block ×5, first 2 shown]
.LBB3_15:                               ; =>This Inner Loop Header: Depth=1
	v_ashrrev_i32_e32 v3, 31, v2
	v_lshlrev_b64 v[12:13], 2, v[2:3]
	v_mov_b32_e32 v14, v5
	v_add_co_u32_e32 v12, vcc, s10, v12
	v_addc_co_u32_e32 v13, vcc, v6, v13, vcc
	global_load_dword v3, v[12:13], off
	v_lshlrev_b64 v[12:13], 2, v[4:5]
	v_add_u32_e32 v2, 32, v2
	v_add_co_u32_e32 v12, vcc, s12, v12
	v_addc_co_u32_e32 v13, vcc, v10, v13, vcc
	global_load_dwordx2 v[15:16], v[12:13], off
	v_add_u32_e32 v4, 64, v4
	s_waitcnt vmcnt(1)
	v_subrev_u32_e32 v13, s18, v3
	v_lshlrev_b64 v[12:13], 2, v[13:14]
	v_add_co_u32_e32 v12, vcc, s14, v12
	v_addc_co_u32_e32 v13, vcc, v11, v13, vcc
	global_load_dword v3, v[12:13], off
	v_cmp_ge_i32_e32 vcc, v2, v7
	s_or_b64 s[0:1], vcc, s[0:1]
	s_waitcnt vmcnt(0)
	v_fmac_f32_e32 v9, v15, v3
	v_fmac_f32_e32 v8, v16, v3
	s_andn2_b64 exec, exec, s[0:1]
	s_cbranch_execnz .LBB3_15
; %bb.16:
	s_or_b64 exec, exec, s[0:1]
.LBB3_17:
	s_or_b64 exec, exec, s[6:7]
.LBB3_18:
	v_mov_b32_dpp v2, v9 row_shr:1 row_mask:0xf bank_mask:0xf
	v_mov_b32_dpp v4, v8 row_shr:1 row_mask:0xf bank_mask:0xf
	v_add_f32_e32 v2, v9, v2
	v_add_f32_e32 v4, v8, v4
	v_cmp_eq_u32_e32 vcc, 31, v0
	v_mov_b32_dpp v3, v2 row_shr:2 row_mask:0xf bank_mask:0xf
	v_mov_b32_dpp v5, v4 row_shr:2 row_mask:0xf bank_mask:0xf
	v_add_f32_e32 v2, v2, v3
	v_add_f32_e32 v4, v4, v5
	s_nop 0
	v_mov_b32_dpp v3, v2 row_shr:4 row_mask:0xf bank_mask:0xe
	v_mov_b32_dpp v5, v4 row_shr:4 row_mask:0xf bank_mask:0xe
	v_add_f32_e32 v2, v2, v3
	v_add_f32_e32 v4, v4, v5
	s_nop 0
	v_mov_b32_dpp v3, v2 row_shr:8 row_mask:0xf bank_mask:0xc
	v_mov_b32_dpp v5, v4 row_shr:8 row_mask:0xf bank_mask:0xc
	v_add_f32_e32 v2, v2, v3
	v_add_f32_e32 v4, v4, v5
	s_nop 0
	v_mov_b32_dpp v3, v2 row_bcast:15 row_mask:0xa bank_mask:0xf
	v_mov_b32_dpp v5, v4 row_bcast:15 row_mask:0xa bank_mask:0xf
	s_and_b64 exec, exec, vcc
	s_cbranch_execz .LBB3_22
; %bb.19:
	s_load_dwordx2 s[0:1], s[4:5], 0x38
	v_add_f32_e32 v0, v2, v3
	v_add_f32_e32 v3, v4, v5
	v_cmp_eq_f32_e64 s[4:5], s2, 0
	s_and_b64 vcc, exec, s[4:5]
	v_mul_f32_e32 v2, s16, v0
	v_mul_f32_e32 v3, s16, v3
	v_lshlrev_b32_e32 v0, 1, v1
	s_cbranch_vccz .LBB3_23
; %bb.20:
	v_ashrrev_i32_e32 v1, 31, v0
	v_lshlrev_b64 v[4:5], 2, v[0:1]
	s_waitcnt lgkmcnt(0)
	v_mov_b32_e32 v1, s1
	v_add_co_u32_e32 v4, vcc, s0, v4
	v_addc_co_u32_e32 v5, vcc, v1, v5, vcc
	global_store_dwordx2 v[4:5], v[2:3], off
	s_cbranch_execnz .LBB3_22
.LBB3_21:
	v_ashrrev_i32_e32 v1, 31, v0
	v_lshlrev_b64 v[0:1], 2, v[0:1]
	s_waitcnt lgkmcnt(0)
	v_mov_b32_e32 v4, s1
	v_add_co_u32_e32 v0, vcc, s0, v0
	v_addc_co_u32_e32 v1, vcc, v4, v1, vcc
	global_load_dwordx2 v[4:5], v[0:1], off
	s_waitcnt vmcnt(0)
	v_fmac_f32_e32 v2, s2, v4
	v_fmac_f32_e32 v3, s2, v5
	global_store_dwordx2 v[0:1], v[2:3], off
.LBB3_22:
	s_endpgm
.LBB3_23:
	s_branch .LBB3_21
	.section	.rodata,"a",@progbits
	.p2align	6, 0x0
	.amdhsa_kernel _ZN9rocsparseL19gebsrmvn_2xn_kernelILj128ELj1ELj32EfEEvi20rocsparse_direction_NS_24const_host_device_scalarIT2_EEPKiS6_PKS3_S8_S4_PS3_21rocsparse_index_base_b
		.amdhsa_group_segment_fixed_size 0
		.amdhsa_private_segment_fixed_size 0
		.amdhsa_kernarg_size 72
		.amdhsa_user_sgpr_count 6
		.amdhsa_user_sgpr_private_segment_buffer 1
		.amdhsa_user_sgpr_dispatch_ptr 0
		.amdhsa_user_sgpr_queue_ptr 0
		.amdhsa_user_sgpr_kernarg_segment_ptr 1
		.amdhsa_user_sgpr_dispatch_id 0
		.amdhsa_user_sgpr_flat_scratch_init 0
		.amdhsa_user_sgpr_private_segment_size 0
		.amdhsa_uses_dynamic_stack 0
		.amdhsa_system_sgpr_private_segment_wavefront_offset 0
		.amdhsa_system_sgpr_workgroup_id_x 1
		.amdhsa_system_sgpr_workgroup_id_y 0
		.amdhsa_system_sgpr_workgroup_id_z 0
		.amdhsa_system_sgpr_workgroup_info 0
		.amdhsa_system_vgpr_workitem_id 0
		.amdhsa_next_free_vgpr 18
		.amdhsa_next_free_sgpr 20
		.amdhsa_reserve_vcc 1
		.amdhsa_reserve_flat_scratch 0
		.amdhsa_float_round_mode_32 0
		.amdhsa_float_round_mode_16_64 0
		.amdhsa_float_denorm_mode_32 3
		.amdhsa_float_denorm_mode_16_64 3
		.amdhsa_dx10_clamp 1
		.amdhsa_ieee_mode 1
		.amdhsa_fp16_overflow 0
		.amdhsa_exception_fp_ieee_invalid_op 0
		.amdhsa_exception_fp_denorm_src 0
		.amdhsa_exception_fp_ieee_div_zero 0
		.amdhsa_exception_fp_ieee_overflow 0
		.amdhsa_exception_fp_ieee_underflow 0
		.amdhsa_exception_fp_ieee_inexact 0
		.amdhsa_exception_int_div_zero 0
	.end_amdhsa_kernel
	.section	.text._ZN9rocsparseL19gebsrmvn_2xn_kernelILj128ELj1ELj32EfEEvi20rocsparse_direction_NS_24const_host_device_scalarIT2_EEPKiS6_PKS3_S8_S4_PS3_21rocsparse_index_base_b,"axG",@progbits,_ZN9rocsparseL19gebsrmvn_2xn_kernelILj128ELj1ELj32EfEEvi20rocsparse_direction_NS_24const_host_device_scalarIT2_EEPKiS6_PKS3_S8_S4_PS3_21rocsparse_index_base_b,comdat
.Lfunc_end3:
	.size	_ZN9rocsparseL19gebsrmvn_2xn_kernelILj128ELj1ELj32EfEEvi20rocsparse_direction_NS_24const_host_device_scalarIT2_EEPKiS6_PKS3_S8_S4_PS3_21rocsparse_index_base_b, .Lfunc_end3-_ZN9rocsparseL19gebsrmvn_2xn_kernelILj128ELj1ELj32EfEEvi20rocsparse_direction_NS_24const_host_device_scalarIT2_EEPKiS6_PKS3_S8_S4_PS3_21rocsparse_index_base_b
                                        ; -- End function
	.set _ZN9rocsparseL19gebsrmvn_2xn_kernelILj128ELj1ELj32EfEEvi20rocsparse_direction_NS_24const_host_device_scalarIT2_EEPKiS6_PKS3_S8_S4_PS3_21rocsparse_index_base_b.num_vgpr, 18
	.set _ZN9rocsparseL19gebsrmvn_2xn_kernelILj128ELj1ELj32EfEEvi20rocsparse_direction_NS_24const_host_device_scalarIT2_EEPKiS6_PKS3_S8_S4_PS3_21rocsparse_index_base_b.num_agpr, 0
	.set _ZN9rocsparseL19gebsrmvn_2xn_kernelILj128ELj1ELj32EfEEvi20rocsparse_direction_NS_24const_host_device_scalarIT2_EEPKiS6_PKS3_S8_S4_PS3_21rocsparse_index_base_b.numbered_sgpr, 20
	.set _ZN9rocsparseL19gebsrmvn_2xn_kernelILj128ELj1ELj32EfEEvi20rocsparse_direction_NS_24const_host_device_scalarIT2_EEPKiS6_PKS3_S8_S4_PS3_21rocsparse_index_base_b.num_named_barrier, 0
	.set _ZN9rocsparseL19gebsrmvn_2xn_kernelILj128ELj1ELj32EfEEvi20rocsparse_direction_NS_24const_host_device_scalarIT2_EEPKiS6_PKS3_S8_S4_PS3_21rocsparse_index_base_b.private_seg_size, 0
	.set _ZN9rocsparseL19gebsrmvn_2xn_kernelILj128ELj1ELj32EfEEvi20rocsparse_direction_NS_24const_host_device_scalarIT2_EEPKiS6_PKS3_S8_S4_PS3_21rocsparse_index_base_b.uses_vcc, 1
	.set _ZN9rocsparseL19gebsrmvn_2xn_kernelILj128ELj1ELj32EfEEvi20rocsparse_direction_NS_24const_host_device_scalarIT2_EEPKiS6_PKS3_S8_S4_PS3_21rocsparse_index_base_b.uses_flat_scratch, 0
	.set _ZN9rocsparseL19gebsrmvn_2xn_kernelILj128ELj1ELj32EfEEvi20rocsparse_direction_NS_24const_host_device_scalarIT2_EEPKiS6_PKS3_S8_S4_PS3_21rocsparse_index_base_b.has_dyn_sized_stack, 0
	.set _ZN9rocsparseL19gebsrmvn_2xn_kernelILj128ELj1ELj32EfEEvi20rocsparse_direction_NS_24const_host_device_scalarIT2_EEPKiS6_PKS3_S8_S4_PS3_21rocsparse_index_base_b.has_recursion, 0
	.set _ZN9rocsparseL19gebsrmvn_2xn_kernelILj128ELj1ELj32EfEEvi20rocsparse_direction_NS_24const_host_device_scalarIT2_EEPKiS6_PKS3_S8_S4_PS3_21rocsparse_index_base_b.has_indirect_call, 0
	.section	.AMDGPU.csdata,"",@progbits
; Kernel info:
; codeLenInByte = 876
; TotalNumSgprs: 24
; NumVgprs: 18
; ScratchSize: 0
; MemoryBound: 0
; FloatMode: 240
; IeeeMode: 1
; LDSByteSize: 0 bytes/workgroup (compile time only)
; SGPRBlocks: 2
; VGPRBlocks: 4
; NumSGPRsForWavesPerEU: 24
; NumVGPRsForWavesPerEU: 18
; Occupancy: 10
; WaveLimiterHint : 1
; COMPUTE_PGM_RSRC2:SCRATCH_EN: 0
; COMPUTE_PGM_RSRC2:USER_SGPR: 6
; COMPUTE_PGM_RSRC2:TRAP_HANDLER: 0
; COMPUTE_PGM_RSRC2:TGID_X_EN: 1
; COMPUTE_PGM_RSRC2:TGID_Y_EN: 0
; COMPUTE_PGM_RSRC2:TGID_Z_EN: 0
; COMPUTE_PGM_RSRC2:TIDIG_COMP_CNT: 0
	.section	.text._ZN9rocsparseL19gebsrmvn_2xn_kernelILj128ELj1ELj64EfEEvi20rocsparse_direction_NS_24const_host_device_scalarIT2_EEPKiS6_PKS3_S8_S4_PS3_21rocsparse_index_base_b,"axG",@progbits,_ZN9rocsparseL19gebsrmvn_2xn_kernelILj128ELj1ELj64EfEEvi20rocsparse_direction_NS_24const_host_device_scalarIT2_EEPKiS6_PKS3_S8_S4_PS3_21rocsparse_index_base_b,comdat
	.globl	_ZN9rocsparseL19gebsrmvn_2xn_kernelILj128ELj1ELj64EfEEvi20rocsparse_direction_NS_24const_host_device_scalarIT2_EEPKiS6_PKS3_S8_S4_PS3_21rocsparse_index_base_b ; -- Begin function _ZN9rocsparseL19gebsrmvn_2xn_kernelILj128ELj1ELj64EfEEvi20rocsparse_direction_NS_24const_host_device_scalarIT2_EEPKiS6_PKS3_S8_S4_PS3_21rocsparse_index_base_b
	.p2align	8
	.type	_ZN9rocsparseL19gebsrmvn_2xn_kernelILj128ELj1ELj64EfEEvi20rocsparse_direction_NS_24const_host_device_scalarIT2_EEPKiS6_PKS3_S8_S4_PS3_21rocsparse_index_base_b,@function
_ZN9rocsparseL19gebsrmvn_2xn_kernelILj128ELj1ELj64EfEEvi20rocsparse_direction_NS_24const_host_device_scalarIT2_EEPKiS6_PKS3_S8_S4_PS3_21rocsparse_index_base_b: ; @_ZN9rocsparseL19gebsrmvn_2xn_kernelILj128ELj1ELj64EfEEvi20rocsparse_direction_NS_24const_host_device_scalarIT2_EEPKiS6_PKS3_S8_S4_PS3_21rocsparse_index_base_b
; %bb.0:
	s_load_dwordx2 s[18:19], s[4:5], 0x40
	s_load_dwordx2 s[16:17], s[4:5], 0x8
	;; [unrolled: 1-line block ×3, first 2 shown]
	s_waitcnt lgkmcnt(0)
	s_bitcmp1_b32 s19, 0
	s_cselect_b64 s[8:9], -1, 0
	s_xor_b64 s[0:1], s[8:9], -1
	s_and_b64 vcc, exec, s[8:9]
	s_cbranch_vccnz .LBB4_2
; %bb.1:
	s_load_dword s16, s[16:17], 0x0
.LBB4_2:
	s_andn2_b64 vcc, exec, s[0:1]
	s_cbranch_vccnz .LBB4_4
; %bb.3:
	s_load_dword s2, s[2:3], 0x0
.LBB4_4:
	s_waitcnt lgkmcnt(0)
	v_cmp_eq_f32_e64 s[0:1], s16, 0
	v_cmp_eq_f32_e64 s[8:9], s2, 1.0
	s_and_b64 s[0:1], s[0:1], s[8:9]
	s_and_b64 vcc, exec, s[0:1]
	s_cbranch_vccnz .LBB4_22
; %bb.5:
	s_load_dwordx2 s[0:1], s[4:5], 0x0
	v_lshrrev_b32_e32 v1, 6, v0
	v_lshl_or_b32 v1, s6, 1, v1
	s_waitcnt lgkmcnt(0)
	v_cmp_gt_i32_e32 vcc, s0, v1
	s_and_saveexec_b64 s[6:7], vcc
	s_cbranch_execz .LBB4_22
; %bb.6:
	s_load_dwordx8 s[8:15], s[4:5], 0x10
	v_ashrrev_i32_e32 v2, 31, v1
	v_lshlrev_b64 v[2:3], 2, v[1:2]
	v_and_b32_e32 v0, 63, v0
	s_cmp_lg_u32 s1, 0
	s_waitcnt lgkmcnt(0)
	v_mov_b32_e32 v4, s9
	v_add_co_u32_e32 v2, vcc, s8, v2
	v_addc_co_u32_e32 v3, vcc, v4, v3, vcc
	global_load_dwordx2 v[2:3], v[2:3], off
	s_waitcnt vmcnt(0)
	v_subrev_u32_e32 v2, s18, v2
	v_subrev_u32_e32 v7, s18, v3
	v_add_u32_e32 v2, v2, v0
	v_cmp_lt_i32_e64 s[0:1], v2, v7
	s_cbranch_scc0 .LBB4_12
; %bb.7:
	v_mov_b32_e32 v9, 0
	v_mov_b32_e32 v8, 0
	s_and_saveexec_b64 s[6:7], s[0:1]
	s_cbranch_execz .LBB4_11
; %bb.8:
	v_mov_b32_e32 v4, 0
	v_lshlrev_b32_e32 v3, 1, v2
	s_mov_b64 s[8:9], 0
	v_mov_b32_e32 v10, s11
	v_mov_b32_e32 v11, s13
	v_mov_b32_e32 v12, s15
	v_mov_b32_e32 v5, v2
	v_mov_b32_e32 v9, v4
	v_mov_b32_e32 v8, v4
.LBB4_9:                                ; =>This Inner Loop Header: Depth=1
	v_ashrrev_i32_e32 v6, 31, v5
	v_lshlrev_b64 v[13:14], 2, v[5:6]
	v_mov_b32_e32 v15, v4
	v_add_co_u32_e32 v13, vcc, s10, v13
	v_addc_co_u32_e32 v14, vcc, v10, v14, vcc
	global_load_dword v6, v[13:14], off
	v_lshlrev_b64 v[13:14], 2, v[3:4]
	v_add_u32_e32 v5, 64, v5
	v_add_co_u32_e32 v13, vcc, s12, v13
	v_addc_co_u32_e32 v14, vcc, v11, v14, vcc
	global_load_dwordx2 v[16:17], v[13:14], off
	v_add_u32_e32 v3, 0x80, v3
	s_waitcnt vmcnt(1)
	v_subrev_u32_e32 v14, s18, v6
	v_lshlrev_b64 v[13:14], 2, v[14:15]
	v_add_co_u32_e32 v13, vcc, s14, v13
	v_addc_co_u32_e32 v14, vcc, v12, v14, vcc
	global_load_dword v6, v[13:14], off
	v_cmp_ge_i32_e32 vcc, v5, v7
	s_or_b64 s[8:9], vcc, s[8:9]
	s_waitcnt vmcnt(0)
	v_fmac_f32_e32 v9, v16, v6
	v_fmac_f32_e32 v8, v17, v6
	s_andn2_b64 exec, exec, s[8:9]
	s_cbranch_execnz .LBB4_9
; %bb.10:
	s_or_b64 exec, exec, s[8:9]
.LBB4_11:
	s_or_b64 exec, exec, s[6:7]
	s_cbranch_execz .LBB4_13
	s_branch .LBB4_18
.LBB4_12:
                                        ; implicit-def: $vgpr9
                                        ; implicit-def: $vgpr8
.LBB4_13:
	v_mov_b32_e32 v9, 0
	v_mov_b32_e32 v8, 0
	s_and_saveexec_b64 s[6:7], s[0:1]
	s_cbranch_execz .LBB4_17
; %bb.14:
	v_mov_b32_e32 v5, 0
	v_lshlrev_b32_e32 v4, 1, v2
	s_mov_b64 s[0:1], 0
	v_mov_b32_e32 v6, s11
	v_mov_b32_e32 v10, s13
	;; [unrolled: 1-line block ×5, first 2 shown]
.LBB4_15:                               ; =>This Inner Loop Header: Depth=1
	v_ashrrev_i32_e32 v3, 31, v2
	v_lshlrev_b64 v[12:13], 2, v[2:3]
	v_mov_b32_e32 v14, v5
	v_add_co_u32_e32 v12, vcc, s10, v12
	v_addc_co_u32_e32 v13, vcc, v6, v13, vcc
	global_load_dword v3, v[12:13], off
	v_lshlrev_b64 v[12:13], 2, v[4:5]
	v_add_u32_e32 v2, 64, v2
	v_add_co_u32_e32 v12, vcc, s12, v12
	v_addc_co_u32_e32 v13, vcc, v10, v13, vcc
	global_load_dwordx2 v[15:16], v[12:13], off
	v_add_u32_e32 v4, 0x80, v4
	s_waitcnt vmcnt(1)
	v_subrev_u32_e32 v13, s18, v3
	v_lshlrev_b64 v[12:13], 2, v[13:14]
	v_add_co_u32_e32 v12, vcc, s14, v12
	v_addc_co_u32_e32 v13, vcc, v11, v13, vcc
	global_load_dword v3, v[12:13], off
	v_cmp_ge_i32_e32 vcc, v2, v7
	s_or_b64 s[0:1], vcc, s[0:1]
	s_waitcnt vmcnt(0)
	v_fmac_f32_e32 v9, v15, v3
	v_fmac_f32_e32 v8, v16, v3
	s_andn2_b64 exec, exec, s[0:1]
	s_cbranch_execnz .LBB4_15
; %bb.16:
	s_or_b64 exec, exec, s[0:1]
.LBB4_17:
	s_or_b64 exec, exec, s[6:7]
.LBB4_18:
	v_mov_b32_dpp v2, v9 row_shr:1 row_mask:0xf bank_mask:0xf
	v_mov_b32_dpp v4, v8 row_shr:1 row_mask:0xf bank_mask:0xf
	v_add_f32_e32 v2, v9, v2
	v_add_f32_e32 v4, v8, v4
	v_cmp_eq_u32_e32 vcc, 63, v0
	v_mov_b32_dpp v3, v2 row_shr:2 row_mask:0xf bank_mask:0xf
	v_mov_b32_dpp v5, v4 row_shr:2 row_mask:0xf bank_mask:0xf
	v_add_f32_e32 v2, v2, v3
	v_add_f32_e32 v4, v4, v5
	s_nop 0
	v_mov_b32_dpp v3, v2 row_shr:4 row_mask:0xf bank_mask:0xe
	v_mov_b32_dpp v5, v4 row_shr:4 row_mask:0xf bank_mask:0xe
	v_add_f32_e32 v2, v2, v3
	v_add_f32_e32 v4, v4, v5
	s_nop 0
	;; [unrolled: 5-line block ×3, first 2 shown]
	v_mov_b32_dpp v3, v2 row_bcast:15 row_mask:0xa bank_mask:0xf
	v_mov_b32_dpp v5, v4 row_bcast:15 row_mask:0xa bank_mask:0xf
	v_add_f32_e32 v2, v2, v3
	v_add_f32_e32 v4, v4, v5
	s_nop 0
	v_mov_b32_dpp v3, v2 row_bcast:31 row_mask:0xc bank_mask:0xf
	v_mov_b32_dpp v5, v4 row_bcast:31 row_mask:0xc bank_mask:0xf
	s_and_b64 exec, exec, vcc
	s_cbranch_execz .LBB4_22
; %bb.19:
	s_load_dwordx2 s[0:1], s[4:5], 0x38
	v_add_f32_e32 v0, v2, v3
	v_add_f32_e32 v3, v4, v5
	v_cmp_eq_f32_e64 s[4:5], s2, 0
	s_and_b64 vcc, exec, s[4:5]
	v_mul_f32_e32 v2, s16, v0
	v_mul_f32_e32 v3, s16, v3
	v_lshlrev_b32_e32 v0, 1, v1
	s_cbranch_vccz .LBB4_23
; %bb.20:
	v_ashrrev_i32_e32 v1, 31, v0
	v_lshlrev_b64 v[4:5], 2, v[0:1]
	s_waitcnt lgkmcnt(0)
	v_mov_b32_e32 v1, s1
	v_add_co_u32_e32 v4, vcc, s0, v4
	v_addc_co_u32_e32 v5, vcc, v1, v5, vcc
	global_store_dwordx2 v[4:5], v[2:3], off
	s_cbranch_execnz .LBB4_22
.LBB4_21:
	v_ashrrev_i32_e32 v1, 31, v0
	v_lshlrev_b64 v[0:1], 2, v[0:1]
	s_waitcnt lgkmcnt(0)
	v_mov_b32_e32 v4, s1
	v_add_co_u32_e32 v0, vcc, s0, v0
	v_addc_co_u32_e32 v1, vcc, v4, v1, vcc
	global_load_dwordx2 v[4:5], v[0:1], off
	s_waitcnt vmcnt(0)
	v_fmac_f32_e32 v2, s2, v4
	v_fmac_f32_e32 v3, s2, v5
	global_store_dwordx2 v[0:1], v[2:3], off
.LBB4_22:
	s_endpgm
.LBB4_23:
	s_branch .LBB4_21
	.section	.rodata,"a",@progbits
	.p2align	6, 0x0
	.amdhsa_kernel _ZN9rocsparseL19gebsrmvn_2xn_kernelILj128ELj1ELj64EfEEvi20rocsparse_direction_NS_24const_host_device_scalarIT2_EEPKiS6_PKS3_S8_S4_PS3_21rocsparse_index_base_b
		.amdhsa_group_segment_fixed_size 0
		.amdhsa_private_segment_fixed_size 0
		.amdhsa_kernarg_size 72
		.amdhsa_user_sgpr_count 6
		.amdhsa_user_sgpr_private_segment_buffer 1
		.amdhsa_user_sgpr_dispatch_ptr 0
		.amdhsa_user_sgpr_queue_ptr 0
		.amdhsa_user_sgpr_kernarg_segment_ptr 1
		.amdhsa_user_sgpr_dispatch_id 0
		.amdhsa_user_sgpr_flat_scratch_init 0
		.amdhsa_user_sgpr_private_segment_size 0
		.amdhsa_uses_dynamic_stack 0
		.amdhsa_system_sgpr_private_segment_wavefront_offset 0
		.amdhsa_system_sgpr_workgroup_id_x 1
		.amdhsa_system_sgpr_workgroup_id_y 0
		.amdhsa_system_sgpr_workgroup_id_z 0
		.amdhsa_system_sgpr_workgroup_info 0
		.amdhsa_system_vgpr_workitem_id 0
		.amdhsa_next_free_vgpr 18
		.amdhsa_next_free_sgpr 20
		.amdhsa_reserve_vcc 1
		.amdhsa_reserve_flat_scratch 0
		.amdhsa_float_round_mode_32 0
		.amdhsa_float_round_mode_16_64 0
		.amdhsa_float_denorm_mode_32 3
		.amdhsa_float_denorm_mode_16_64 3
		.amdhsa_dx10_clamp 1
		.amdhsa_ieee_mode 1
		.amdhsa_fp16_overflow 0
		.amdhsa_exception_fp_ieee_invalid_op 0
		.amdhsa_exception_fp_denorm_src 0
		.amdhsa_exception_fp_ieee_div_zero 0
		.amdhsa_exception_fp_ieee_overflow 0
		.amdhsa_exception_fp_ieee_underflow 0
		.amdhsa_exception_fp_ieee_inexact 0
		.amdhsa_exception_int_div_zero 0
	.end_amdhsa_kernel
	.section	.text._ZN9rocsparseL19gebsrmvn_2xn_kernelILj128ELj1ELj64EfEEvi20rocsparse_direction_NS_24const_host_device_scalarIT2_EEPKiS6_PKS3_S8_S4_PS3_21rocsparse_index_base_b,"axG",@progbits,_ZN9rocsparseL19gebsrmvn_2xn_kernelILj128ELj1ELj64EfEEvi20rocsparse_direction_NS_24const_host_device_scalarIT2_EEPKiS6_PKS3_S8_S4_PS3_21rocsparse_index_base_b,comdat
.Lfunc_end4:
	.size	_ZN9rocsparseL19gebsrmvn_2xn_kernelILj128ELj1ELj64EfEEvi20rocsparse_direction_NS_24const_host_device_scalarIT2_EEPKiS6_PKS3_S8_S4_PS3_21rocsparse_index_base_b, .Lfunc_end4-_ZN9rocsparseL19gebsrmvn_2xn_kernelILj128ELj1ELj64EfEEvi20rocsparse_direction_NS_24const_host_device_scalarIT2_EEPKiS6_PKS3_S8_S4_PS3_21rocsparse_index_base_b
                                        ; -- End function
	.set _ZN9rocsparseL19gebsrmvn_2xn_kernelILj128ELj1ELj64EfEEvi20rocsparse_direction_NS_24const_host_device_scalarIT2_EEPKiS6_PKS3_S8_S4_PS3_21rocsparse_index_base_b.num_vgpr, 18
	.set _ZN9rocsparseL19gebsrmvn_2xn_kernelILj128ELj1ELj64EfEEvi20rocsparse_direction_NS_24const_host_device_scalarIT2_EEPKiS6_PKS3_S8_S4_PS3_21rocsparse_index_base_b.num_agpr, 0
	.set _ZN9rocsparseL19gebsrmvn_2xn_kernelILj128ELj1ELj64EfEEvi20rocsparse_direction_NS_24const_host_device_scalarIT2_EEPKiS6_PKS3_S8_S4_PS3_21rocsparse_index_base_b.numbered_sgpr, 20
	.set _ZN9rocsparseL19gebsrmvn_2xn_kernelILj128ELj1ELj64EfEEvi20rocsparse_direction_NS_24const_host_device_scalarIT2_EEPKiS6_PKS3_S8_S4_PS3_21rocsparse_index_base_b.num_named_barrier, 0
	.set _ZN9rocsparseL19gebsrmvn_2xn_kernelILj128ELj1ELj64EfEEvi20rocsparse_direction_NS_24const_host_device_scalarIT2_EEPKiS6_PKS3_S8_S4_PS3_21rocsparse_index_base_b.private_seg_size, 0
	.set _ZN9rocsparseL19gebsrmvn_2xn_kernelILj128ELj1ELj64EfEEvi20rocsparse_direction_NS_24const_host_device_scalarIT2_EEPKiS6_PKS3_S8_S4_PS3_21rocsparse_index_base_b.uses_vcc, 1
	.set _ZN9rocsparseL19gebsrmvn_2xn_kernelILj128ELj1ELj64EfEEvi20rocsparse_direction_NS_24const_host_device_scalarIT2_EEPKiS6_PKS3_S8_S4_PS3_21rocsparse_index_base_b.uses_flat_scratch, 0
	.set _ZN9rocsparseL19gebsrmvn_2xn_kernelILj128ELj1ELj64EfEEvi20rocsparse_direction_NS_24const_host_device_scalarIT2_EEPKiS6_PKS3_S8_S4_PS3_21rocsparse_index_base_b.has_dyn_sized_stack, 0
	.set _ZN9rocsparseL19gebsrmvn_2xn_kernelILj128ELj1ELj64EfEEvi20rocsparse_direction_NS_24const_host_device_scalarIT2_EEPKiS6_PKS3_S8_S4_PS3_21rocsparse_index_base_b.has_recursion, 0
	.set _ZN9rocsparseL19gebsrmvn_2xn_kernelILj128ELj1ELj64EfEEvi20rocsparse_direction_NS_24const_host_device_scalarIT2_EEPKiS6_PKS3_S8_S4_PS3_21rocsparse_index_base_b.has_indirect_call, 0
	.section	.AMDGPU.csdata,"",@progbits
; Kernel info:
; codeLenInByte = 912
; TotalNumSgprs: 24
; NumVgprs: 18
; ScratchSize: 0
; MemoryBound: 0
; FloatMode: 240
; IeeeMode: 1
; LDSByteSize: 0 bytes/workgroup (compile time only)
; SGPRBlocks: 2
; VGPRBlocks: 4
; NumSGPRsForWavesPerEU: 24
; NumVGPRsForWavesPerEU: 18
; Occupancy: 10
; WaveLimiterHint : 1
; COMPUTE_PGM_RSRC2:SCRATCH_EN: 0
; COMPUTE_PGM_RSRC2:USER_SGPR: 6
; COMPUTE_PGM_RSRC2:TRAP_HANDLER: 0
; COMPUTE_PGM_RSRC2:TGID_X_EN: 1
; COMPUTE_PGM_RSRC2:TGID_Y_EN: 0
; COMPUTE_PGM_RSRC2:TGID_Z_EN: 0
; COMPUTE_PGM_RSRC2:TIDIG_COMP_CNT: 0
	.section	.text._ZN9rocsparseL19gebsrmvn_2xn_kernelILj128ELj3ELj4EfEEvi20rocsparse_direction_NS_24const_host_device_scalarIT2_EEPKiS6_PKS3_S8_S4_PS3_21rocsparse_index_base_b,"axG",@progbits,_ZN9rocsparseL19gebsrmvn_2xn_kernelILj128ELj3ELj4EfEEvi20rocsparse_direction_NS_24const_host_device_scalarIT2_EEPKiS6_PKS3_S8_S4_PS3_21rocsparse_index_base_b,comdat
	.globl	_ZN9rocsparseL19gebsrmvn_2xn_kernelILj128ELj3ELj4EfEEvi20rocsparse_direction_NS_24const_host_device_scalarIT2_EEPKiS6_PKS3_S8_S4_PS3_21rocsparse_index_base_b ; -- Begin function _ZN9rocsparseL19gebsrmvn_2xn_kernelILj128ELj3ELj4EfEEvi20rocsparse_direction_NS_24const_host_device_scalarIT2_EEPKiS6_PKS3_S8_S4_PS3_21rocsparse_index_base_b
	.p2align	8
	.type	_ZN9rocsparseL19gebsrmvn_2xn_kernelILj128ELj3ELj4EfEEvi20rocsparse_direction_NS_24const_host_device_scalarIT2_EEPKiS6_PKS3_S8_S4_PS3_21rocsparse_index_base_b,@function
_ZN9rocsparseL19gebsrmvn_2xn_kernelILj128ELj3ELj4EfEEvi20rocsparse_direction_NS_24const_host_device_scalarIT2_EEPKiS6_PKS3_S8_S4_PS3_21rocsparse_index_base_b: ; @_ZN9rocsparseL19gebsrmvn_2xn_kernelILj128ELj3ELj4EfEEvi20rocsparse_direction_NS_24const_host_device_scalarIT2_EEPKiS6_PKS3_S8_S4_PS3_21rocsparse_index_base_b
; %bb.0:
	s_load_dwordx2 s[18:19], s[4:5], 0x40
	s_load_dwordx2 s[16:17], s[4:5], 0x8
	;; [unrolled: 1-line block ×3, first 2 shown]
	s_waitcnt lgkmcnt(0)
	s_bitcmp1_b32 s19, 0
	s_cselect_b64 s[8:9], -1, 0
	s_xor_b64 s[0:1], s[8:9], -1
	s_and_b64 vcc, exec, s[8:9]
	s_cbranch_vccnz .LBB5_2
; %bb.1:
	s_load_dword s16, s[16:17], 0x0
.LBB5_2:
	s_andn2_b64 vcc, exec, s[0:1]
	s_cbranch_vccnz .LBB5_4
; %bb.3:
	s_load_dword s2, s[2:3], 0x0
.LBB5_4:
	s_waitcnt lgkmcnt(0)
	v_cmp_eq_f32_e64 s[0:1], s16, 0
	v_cmp_eq_f32_e64 s[8:9], s2, 1.0
	s_and_b64 s[0:1], s[0:1], s[8:9]
	s_and_b64 vcc, exec, s[0:1]
	s_cbranch_vccnz .LBB5_22
; %bb.5:
	s_load_dwordx2 s[0:1], s[4:5], 0x0
	v_lshrrev_b32_e32 v1, 2, v0
	v_lshl_or_b32 v1, s6, 5, v1
	s_waitcnt lgkmcnt(0)
	v_cmp_gt_i32_e32 vcc, s0, v1
	s_and_saveexec_b64 s[6:7], vcc
	s_cbranch_execz .LBB5_22
; %bb.6:
	s_load_dwordx8 s[8:15], s[4:5], 0x10
	v_ashrrev_i32_e32 v2, 31, v1
	v_lshlrev_b64 v[2:3], 2, v[1:2]
	v_and_b32_e32 v0, 3, v0
	s_cmp_lg_u32 s1, 0
	s_waitcnt lgkmcnt(0)
	v_mov_b32_e32 v4, s9
	v_add_co_u32_e32 v2, vcc, s8, v2
	v_addc_co_u32_e32 v3, vcc, v4, v3, vcc
	global_load_dwordx2 v[2:3], v[2:3], off
	s_waitcnt vmcnt(0)
	v_subrev_u32_e32 v2, s18, v2
	v_subrev_u32_e32 v8, s18, v3
	v_add_u32_e32 v2, v2, v0
	v_cmp_lt_i32_e64 s[0:1], v2, v8
	s_cbranch_scc0 .LBB5_12
; %bb.7:
	v_mov_b32_e32 v9, 0
	v_mov_b32_e32 v10, 0
	s_and_saveexec_b64 s[6:7], s[0:1]
	s_cbranch_execz .LBB5_11
; %bb.8:
	v_mul_lo_u32 v3, v2, 6
	v_mov_b32_e32 v4, 0
	s_mov_b64 s[8:9], 0
	v_mov_b32_e32 v7, s11
	v_mov_b32_e32 v11, s13
	;; [unrolled: 1-line block ×6, first 2 shown]
.LBB5_9:                                ; =>This Inner Loop Header: Depth=1
	v_ashrrev_i32_e32 v6, 31, v5
	v_lshlrev_b64 v[13:14], 2, v[5:6]
	v_add_u32_e32 v16, 2, v3
	v_add_co_u32_e32 v13, vcc, s10, v13
	v_addc_co_u32_e32 v14, vcc, v7, v14, vcc
	global_load_dword v6, v[13:14], off
	v_lshlrev_b64 v[13:14], 2, v[3:4]
	v_mov_b32_e32 v17, v4
	v_lshlrev_b64 v[16:17], 2, v[16:17]
	v_add_co_u32_e32 v13, vcc, s12, v13
	v_add_u32_e32 v19, 4, v3
	v_mov_b32_e32 v20, v4
	v_addc_co_u32_e32 v14, vcc, v11, v14, vcc
	v_lshlrev_b64 v[19:20], 2, v[19:20]
	v_add_co_u32_e32 v16, vcc, s12, v16
	v_addc_co_u32_e32 v17, vcc, v11, v17, vcc
	v_add_co_u32_e32 v19, vcc, s12, v19
	v_mov_b32_e32 v15, v4
	v_addc_co_u32_e32 v20, vcc, v11, v20, vcc
	global_load_dwordx2 v[22:23], v[13:14], off
	global_load_dwordx2 v[24:25], v[16:17], off
	global_load_dwordx2 v[26:27], v[19:20], off
	v_mov_b32_e32 v18, v4
	v_mov_b32_e32 v21, v4
	v_add_u32_e32 v5, 4, v5
	v_add_u32_e32 v3, 24, v3
	s_waitcnt vmcnt(3)
	v_subrev_u32_e32 v6, s18, v6
	v_lshl_add_u32 v14, v6, 1, v6
	v_lshlrev_b64 v[15:16], 2, v[14:15]
	v_add_u32_e32 v17, 1, v14
	v_add_u32_e32 v20, 2, v14
	v_lshlrev_b64 v[13:14], 2, v[17:18]
	v_add_co_u32_e32 v15, vcc, s14, v15
	v_addc_co_u32_e32 v16, vcc, v12, v16, vcc
	v_lshlrev_b64 v[17:18], 2, v[20:21]
	v_add_co_u32_e32 v13, vcc, s14, v13
	global_load_dword v6, v[15:16], off
	v_addc_co_u32_e32 v14, vcc, v12, v14, vcc
	v_add_co_u32_e32 v15, vcc, s14, v17
	v_addc_co_u32_e32 v16, vcc, v12, v18, vcc
	global_load_dword v17, v[13:14], off
	global_load_dword v18, v[15:16], off
	v_cmp_ge_i32_e32 vcc, v5, v8
	s_or_b64 s[8:9], vcc, s[8:9]
	s_waitcnt vmcnt(2)
	v_fmac_f32_e32 v9, v22, v6
	v_fmac_f32_e32 v10, v23, v6
	s_waitcnt vmcnt(1)
	v_fmac_f32_e32 v9, v24, v17
	v_fmac_f32_e32 v10, v25, v17
	;; [unrolled: 3-line block ×3, first 2 shown]
	s_andn2_b64 exec, exec, s[8:9]
	s_cbranch_execnz .LBB5_9
; %bb.10:
	s_or_b64 exec, exec, s[8:9]
.LBB5_11:
	s_or_b64 exec, exec, s[6:7]
	s_cbranch_execz .LBB5_13
	s_branch .LBB5_18
.LBB5_12:
                                        ; implicit-def: $vgpr9
                                        ; implicit-def: $vgpr10
.LBB5_13:
	v_mov_b32_e32 v9, 0
	v_mov_b32_e32 v10, 0
	s_and_saveexec_b64 s[6:7], s[0:1]
	s_cbranch_execz .LBB5_17
; %bb.14:
	v_mad_u64_u32 v[4:5], s[0:1], v2, 6, 5
	v_mov_b32_e32 v7, 0
	s_mov_b64 s[0:1], 0
	v_mov_b32_e32 v11, s11
	v_mov_b32_e32 v12, s13
	;; [unrolled: 1-line block ×5, first 2 shown]
.LBB5_15:                               ; =>This Inner Loop Header: Depth=1
	v_ashrrev_i32_e32 v3, 31, v2
	v_lshlrev_b64 v[5:6], 2, v[2:3]
	v_add_u32_e32 v14, -2, v4
	v_add_co_u32_e32 v5, vcc, s10, v5
	v_addc_co_u32_e32 v6, vcc, v11, v6, vcc
	global_load_dword v3, v[5:6], off
	v_add_u32_e32 v6, -5, v4
	v_lshlrev_b64 v[17:18], 2, v[6:7]
	v_mov_b32_e32 v15, v7
	v_lshlrev_b64 v[14:15], 2, v[14:15]
	v_add_co_u32_e32 v17, vcc, s12, v17
	v_mov_b32_e32 v5, v7
	v_addc_co_u32_e32 v18, vcc, v12, v18, vcc
	v_lshlrev_b64 v[5:6], 2, v[4:5]
	v_add_co_u32_e32 v19, vcc, s12, v14
	v_mov_b32_e32 v16, v7
	v_addc_co_u32_e32 v20, vcc, v12, v15, vcc
	v_add_co_u32_e32 v21, vcc, s12, v5
	v_addc_co_u32_e32 v22, vcc, v12, v6, vcc
	v_add_u32_e32 v2, 4, v2
	s_waitcnt vmcnt(0)
	v_subrev_u32_e32 v3, s18, v3
	v_lshl_add_u32 v15, v3, 1, v3
	v_lshlrev_b64 v[23:24], 2, v[15:16]
	v_add_u32_e32 v6, 1, v15
	v_add_co_u32_e32 v23, vcc, s14, v23
	v_lshlrev_b64 v[25:26], 2, v[6:7]
	v_addc_co_u32_e32 v24, vcc, v13, v24, vcc
	v_add_u32_e32 v6, -1, v4
	v_lshlrev_b64 v[27:28], 2, v[6:7]
	v_add_u32_e32 v6, -3, v4
	v_add_co_u32_e32 v14, vcc, s14, v25
	v_lshlrev_b64 v[29:30], 2, v[6:7]
	v_add_u32_e32 v6, 2, v15
	v_addc_co_u32_e32 v15, vcc, v13, v26, vcc
	v_add_co_u32_e32 v25, vcc, s12, v27
	v_addc_co_u32_e32 v26, vcc, v12, v28, vcc
	v_add_co_u32_e32 v27, vcc, s12, v29
	v_lshlrev_b64 v[5:6], 2, v[6:7]
	v_addc_co_u32_e32 v28, vcc, v12, v30, vcc
	v_add_co_u32_e32 v5, vcc, s14, v5
	v_addc_co_u32_e32 v6, vcc, v13, v6, vcc
	global_load_dword v3, v[19:20], off
	global_load_dword v16, v[21:22], off
	;; [unrolled: 1-line block ×4, first 2 shown]
	global_load_dwordx2 v[29:30], v[17:18], off
	global_load_dword v33, v[25:26], off
	global_load_dword v34, v[27:28], off
	;; [unrolled: 1-line block ×3, first 2 shown]
	v_cmp_ge_i32_e32 vcc, v2, v8
	s_or_b64 s[0:1], vcc, s[0:1]
	v_add_u32_e32 v4, 24, v4
	s_waitcnt vmcnt(5)
	v_fmac_f32_e32 v10, v3, v31
	s_waitcnt vmcnt(3)
	v_fmac_f32_e32 v9, v29, v31
	v_fmac_f32_e32 v9, v30, v32
	s_waitcnt vmcnt(2)
	v_fmac_f32_e32 v10, v33, v32
	s_waitcnt vmcnt(0)
	v_fmac_f32_e32 v9, v34, v35
	v_fmac_f32_e32 v10, v16, v35
	s_andn2_b64 exec, exec, s[0:1]
	s_cbranch_execnz .LBB5_15
; %bb.16:
	s_or_b64 exec, exec, s[0:1]
.LBB5_17:
	s_or_b64 exec, exec, s[6:7]
.LBB5_18:
	v_mov_b32_dpp v2, v9 row_shr:1 row_mask:0xf bank_mask:0xf
	v_mov_b32_dpp v4, v10 row_shr:1 row_mask:0xf bank_mask:0xf
	v_add_f32_e32 v2, v9, v2
	v_add_f32_e32 v4, v10, v4
	v_cmp_eq_u32_e32 vcc, 3, v0
	v_mov_b32_dpp v3, v2 row_shr:2 row_mask:0xf bank_mask:0xf
	v_mov_b32_dpp v5, v4 row_shr:2 row_mask:0xf bank_mask:0xf
	s_and_b64 exec, exec, vcc
	s_cbranch_execz .LBB5_22
; %bb.19:
	s_load_dwordx2 s[0:1], s[4:5], 0x38
	v_add_f32_e32 v0, v2, v3
	v_add_f32_e32 v3, v4, v5
	v_cmp_eq_f32_e64 s[4:5], s2, 0
	s_and_b64 vcc, exec, s[4:5]
	v_mul_f32_e32 v2, s16, v0
	v_mul_f32_e32 v3, s16, v3
	v_lshlrev_b32_e32 v0, 1, v1
	s_cbranch_vccz .LBB5_23
; %bb.20:
	v_ashrrev_i32_e32 v1, 31, v0
	v_lshlrev_b64 v[4:5], 2, v[0:1]
	s_waitcnt lgkmcnt(0)
	v_mov_b32_e32 v1, s1
	v_add_co_u32_e32 v4, vcc, s0, v4
	v_addc_co_u32_e32 v5, vcc, v1, v5, vcc
	global_store_dwordx2 v[4:5], v[2:3], off
	s_cbranch_execnz .LBB5_22
.LBB5_21:
	v_ashrrev_i32_e32 v1, 31, v0
	v_lshlrev_b64 v[0:1], 2, v[0:1]
	s_waitcnt lgkmcnt(0)
	v_mov_b32_e32 v4, s1
	v_add_co_u32_e32 v0, vcc, s0, v0
	v_addc_co_u32_e32 v1, vcc, v4, v1, vcc
	global_load_dwordx2 v[4:5], v[0:1], off
	s_waitcnt vmcnt(0)
	v_fmac_f32_e32 v2, s2, v4
	v_fmac_f32_e32 v3, s2, v5
	global_store_dwordx2 v[0:1], v[2:3], off
.LBB5_22:
	s_endpgm
.LBB5_23:
	s_branch .LBB5_21
	.section	.rodata,"a",@progbits
	.p2align	6, 0x0
	.amdhsa_kernel _ZN9rocsparseL19gebsrmvn_2xn_kernelILj128ELj3ELj4EfEEvi20rocsparse_direction_NS_24const_host_device_scalarIT2_EEPKiS6_PKS3_S8_S4_PS3_21rocsparse_index_base_b
		.amdhsa_group_segment_fixed_size 0
		.amdhsa_private_segment_fixed_size 0
		.amdhsa_kernarg_size 72
		.amdhsa_user_sgpr_count 6
		.amdhsa_user_sgpr_private_segment_buffer 1
		.amdhsa_user_sgpr_dispatch_ptr 0
		.amdhsa_user_sgpr_queue_ptr 0
		.amdhsa_user_sgpr_kernarg_segment_ptr 1
		.amdhsa_user_sgpr_dispatch_id 0
		.amdhsa_user_sgpr_flat_scratch_init 0
		.amdhsa_user_sgpr_private_segment_size 0
		.amdhsa_uses_dynamic_stack 0
		.amdhsa_system_sgpr_private_segment_wavefront_offset 0
		.amdhsa_system_sgpr_workgroup_id_x 1
		.amdhsa_system_sgpr_workgroup_id_y 0
		.amdhsa_system_sgpr_workgroup_id_z 0
		.amdhsa_system_sgpr_workgroup_info 0
		.amdhsa_system_vgpr_workitem_id 0
		.amdhsa_next_free_vgpr 36
		.amdhsa_next_free_sgpr 20
		.amdhsa_reserve_vcc 1
		.amdhsa_reserve_flat_scratch 0
		.amdhsa_float_round_mode_32 0
		.amdhsa_float_round_mode_16_64 0
		.amdhsa_float_denorm_mode_32 3
		.amdhsa_float_denorm_mode_16_64 3
		.amdhsa_dx10_clamp 1
		.amdhsa_ieee_mode 1
		.amdhsa_fp16_overflow 0
		.amdhsa_exception_fp_ieee_invalid_op 0
		.amdhsa_exception_fp_denorm_src 0
		.amdhsa_exception_fp_ieee_div_zero 0
		.amdhsa_exception_fp_ieee_overflow 0
		.amdhsa_exception_fp_ieee_underflow 0
		.amdhsa_exception_fp_ieee_inexact 0
		.amdhsa_exception_int_div_zero 0
	.end_amdhsa_kernel
	.section	.text._ZN9rocsparseL19gebsrmvn_2xn_kernelILj128ELj3ELj4EfEEvi20rocsparse_direction_NS_24const_host_device_scalarIT2_EEPKiS6_PKS3_S8_S4_PS3_21rocsparse_index_base_b,"axG",@progbits,_ZN9rocsparseL19gebsrmvn_2xn_kernelILj128ELj3ELj4EfEEvi20rocsparse_direction_NS_24const_host_device_scalarIT2_EEPKiS6_PKS3_S8_S4_PS3_21rocsparse_index_base_b,comdat
.Lfunc_end5:
	.size	_ZN9rocsparseL19gebsrmvn_2xn_kernelILj128ELj3ELj4EfEEvi20rocsparse_direction_NS_24const_host_device_scalarIT2_EEPKiS6_PKS3_S8_S4_PS3_21rocsparse_index_base_b, .Lfunc_end5-_ZN9rocsparseL19gebsrmvn_2xn_kernelILj128ELj3ELj4EfEEvi20rocsparse_direction_NS_24const_host_device_scalarIT2_EEPKiS6_PKS3_S8_S4_PS3_21rocsparse_index_base_b
                                        ; -- End function
	.set _ZN9rocsparseL19gebsrmvn_2xn_kernelILj128ELj3ELj4EfEEvi20rocsparse_direction_NS_24const_host_device_scalarIT2_EEPKiS6_PKS3_S8_S4_PS3_21rocsparse_index_base_b.num_vgpr, 36
	.set _ZN9rocsparseL19gebsrmvn_2xn_kernelILj128ELj3ELj4EfEEvi20rocsparse_direction_NS_24const_host_device_scalarIT2_EEPKiS6_PKS3_S8_S4_PS3_21rocsparse_index_base_b.num_agpr, 0
	.set _ZN9rocsparseL19gebsrmvn_2xn_kernelILj128ELj3ELj4EfEEvi20rocsparse_direction_NS_24const_host_device_scalarIT2_EEPKiS6_PKS3_S8_S4_PS3_21rocsparse_index_base_b.numbered_sgpr, 20
	.set _ZN9rocsparseL19gebsrmvn_2xn_kernelILj128ELj3ELj4EfEEvi20rocsparse_direction_NS_24const_host_device_scalarIT2_EEPKiS6_PKS3_S8_S4_PS3_21rocsparse_index_base_b.num_named_barrier, 0
	.set _ZN9rocsparseL19gebsrmvn_2xn_kernelILj128ELj3ELj4EfEEvi20rocsparse_direction_NS_24const_host_device_scalarIT2_EEPKiS6_PKS3_S8_S4_PS3_21rocsparse_index_base_b.private_seg_size, 0
	.set _ZN9rocsparseL19gebsrmvn_2xn_kernelILj128ELj3ELj4EfEEvi20rocsparse_direction_NS_24const_host_device_scalarIT2_EEPKiS6_PKS3_S8_S4_PS3_21rocsparse_index_base_b.uses_vcc, 1
	.set _ZN9rocsparseL19gebsrmvn_2xn_kernelILj128ELj3ELj4EfEEvi20rocsparse_direction_NS_24const_host_device_scalarIT2_EEPKiS6_PKS3_S8_S4_PS3_21rocsparse_index_base_b.uses_flat_scratch, 0
	.set _ZN9rocsparseL19gebsrmvn_2xn_kernelILj128ELj3ELj4EfEEvi20rocsparse_direction_NS_24const_host_device_scalarIT2_EEPKiS6_PKS3_S8_S4_PS3_21rocsparse_index_base_b.has_dyn_sized_stack, 0
	.set _ZN9rocsparseL19gebsrmvn_2xn_kernelILj128ELj3ELj4EfEEvi20rocsparse_direction_NS_24const_host_device_scalarIT2_EEPKiS6_PKS3_S8_S4_PS3_21rocsparse_index_base_b.has_recursion, 0
	.set _ZN9rocsparseL19gebsrmvn_2xn_kernelILj128ELj3ELj4EfEEvi20rocsparse_direction_NS_24const_host_device_scalarIT2_EEPKiS6_PKS3_S8_S4_PS3_21rocsparse_index_base_b.has_indirect_call, 0
	.section	.AMDGPU.csdata,"",@progbits
; Kernel info:
; codeLenInByte = 1172
; TotalNumSgprs: 24
; NumVgprs: 36
; ScratchSize: 0
; MemoryBound: 0
; FloatMode: 240
; IeeeMode: 1
; LDSByteSize: 0 bytes/workgroup (compile time only)
; SGPRBlocks: 2
; VGPRBlocks: 8
; NumSGPRsForWavesPerEU: 24
; NumVGPRsForWavesPerEU: 36
; Occupancy: 7
; WaveLimiterHint : 1
; COMPUTE_PGM_RSRC2:SCRATCH_EN: 0
; COMPUTE_PGM_RSRC2:USER_SGPR: 6
; COMPUTE_PGM_RSRC2:TRAP_HANDLER: 0
; COMPUTE_PGM_RSRC2:TGID_X_EN: 1
; COMPUTE_PGM_RSRC2:TGID_Y_EN: 0
; COMPUTE_PGM_RSRC2:TGID_Z_EN: 0
; COMPUTE_PGM_RSRC2:TIDIG_COMP_CNT: 0
	.section	.text._ZN9rocsparseL19gebsrmvn_2xn_kernelILj128ELj3ELj8EfEEvi20rocsparse_direction_NS_24const_host_device_scalarIT2_EEPKiS6_PKS3_S8_S4_PS3_21rocsparse_index_base_b,"axG",@progbits,_ZN9rocsparseL19gebsrmvn_2xn_kernelILj128ELj3ELj8EfEEvi20rocsparse_direction_NS_24const_host_device_scalarIT2_EEPKiS6_PKS3_S8_S4_PS3_21rocsparse_index_base_b,comdat
	.globl	_ZN9rocsparseL19gebsrmvn_2xn_kernelILj128ELj3ELj8EfEEvi20rocsparse_direction_NS_24const_host_device_scalarIT2_EEPKiS6_PKS3_S8_S4_PS3_21rocsparse_index_base_b ; -- Begin function _ZN9rocsparseL19gebsrmvn_2xn_kernelILj128ELj3ELj8EfEEvi20rocsparse_direction_NS_24const_host_device_scalarIT2_EEPKiS6_PKS3_S8_S4_PS3_21rocsparse_index_base_b
	.p2align	8
	.type	_ZN9rocsparseL19gebsrmvn_2xn_kernelILj128ELj3ELj8EfEEvi20rocsparse_direction_NS_24const_host_device_scalarIT2_EEPKiS6_PKS3_S8_S4_PS3_21rocsparse_index_base_b,@function
_ZN9rocsparseL19gebsrmvn_2xn_kernelILj128ELj3ELj8EfEEvi20rocsparse_direction_NS_24const_host_device_scalarIT2_EEPKiS6_PKS3_S8_S4_PS3_21rocsparse_index_base_b: ; @_ZN9rocsparseL19gebsrmvn_2xn_kernelILj128ELj3ELj8EfEEvi20rocsparse_direction_NS_24const_host_device_scalarIT2_EEPKiS6_PKS3_S8_S4_PS3_21rocsparse_index_base_b
; %bb.0:
	s_load_dwordx2 s[18:19], s[4:5], 0x40
	s_load_dwordx2 s[16:17], s[4:5], 0x8
	;; [unrolled: 1-line block ×3, first 2 shown]
	s_waitcnt lgkmcnt(0)
	s_bitcmp1_b32 s19, 0
	s_cselect_b64 s[8:9], -1, 0
	s_xor_b64 s[0:1], s[8:9], -1
	s_and_b64 vcc, exec, s[8:9]
	s_cbranch_vccnz .LBB6_2
; %bb.1:
	s_load_dword s16, s[16:17], 0x0
.LBB6_2:
	s_andn2_b64 vcc, exec, s[0:1]
	s_cbranch_vccnz .LBB6_4
; %bb.3:
	s_load_dword s2, s[2:3], 0x0
.LBB6_4:
	s_waitcnt lgkmcnt(0)
	v_cmp_eq_f32_e64 s[0:1], s16, 0
	v_cmp_eq_f32_e64 s[8:9], s2, 1.0
	s_and_b64 s[0:1], s[0:1], s[8:9]
	s_and_b64 vcc, exec, s[0:1]
	s_cbranch_vccnz .LBB6_22
; %bb.5:
	s_load_dwordx2 s[0:1], s[4:5], 0x0
	v_lshrrev_b32_e32 v1, 3, v0
	v_lshl_or_b32 v1, s6, 4, v1
	s_waitcnt lgkmcnt(0)
	v_cmp_gt_i32_e32 vcc, s0, v1
	s_and_saveexec_b64 s[6:7], vcc
	s_cbranch_execz .LBB6_22
; %bb.6:
	s_load_dwordx8 s[8:15], s[4:5], 0x10
	v_ashrrev_i32_e32 v2, 31, v1
	v_lshlrev_b64 v[2:3], 2, v[1:2]
	v_and_b32_e32 v0, 7, v0
	s_cmp_lg_u32 s1, 0
	s_waitcnt lgkmcnt(0)
	v_mov_b32_e32 v4, s9
	v_add_co_u32_e32 v2, vcc, s8, v2
	v_addc_co_u32_e32 v3, vcc, v4, v3, vcc
	global_load_dwordx2 v[2:3], v[2:3], off
	s_waitcnt vmcnt(0)
	v_subrev_u32_e32 v2, s18, v2
	v_subrev_u32_e32 v8, s18, v3
	v_add_u32_e32 v2, v2, v0
	v_cmp_lt_i32_e64 s[0:1], v2, v8
	s_cbranch_scc0 .LBB6_12
; %bb.7:
	v_mov_b32_e32 v9, 0
	v_mov_b32_e32 v10, 0
	s_and_saveexec_b64 s[6:7], s[0:1]
	s_cbranch_execz .LBB6_11
; %bb.8:
	v_mul_lo_u32 v3, v2, 6
	v_mov_b32_e32 v4, 0
	s_mov_b64 s[8:9], 0
	v_mov_b32_e32 v7, s11
	v_mov_b32_e32 v11, s13
	;; [unrolled: 1-line block ×6, first 2 shown]
.LBB6_9:                                ; =>This Inner Loop Header: Depth=1
	v_ashrrev_i32_e32 v6, 31, v5
	v_lshlrev_b64 v[13:14], 2, v[5:6]
	v_add_u32_e32 v16, 2, v3
	v_add_co_u32_e32 v13, vcc, s10, v13
	v_addc_co_u32_e32 v14, vcc, v7, v14, vcc
	global_load_dword v6, v[13:14], off
	v_lshlrev_b64 v[13:14], 2, v[3:4]
	v_mov_b32_e32 v17, v4
	v_lshlrev_b64 v[16:17], 2, v[16:17]
	v_add_co_u32_e32 v13, vcc, s12, v13
	v_add_u32_e32 v19, 4, v3
	v_mov_b32_e32 v20, v4
	v_addc_co_u32_e32 v14, vcc, v11, v14, vcc
	v_lshlrev_b64 v[19:20], 2, v[19:20]
	v_add_co_u32_e32 v16, vcc, s12, v16
	v_addc_co_u32_e32 v17, vcc, v11, v17, vcc
	v_add_co_u32_e32 v19, vcc, s12, v19
	v_mov_b32_e32 v15, v4
	v_addc_co_u32_e32 v20, vcc, v11, v20, vcc
	global_load_dwordx2 v[22:23], v[13:14], off
	global_load_dwordx2 v[24:25], v[16:17], off
	;; [unrolled: 1-line block ×3, first 2 shown]
	v_mov_b32_e32 v18, v4
	v_mov_b32_e32 v21, v4
	v_add_u32_e32 v5, 8, v5
	v_add_u32_e32 v3, 48, v3
	s_waitcnt vmcnt(3)
	v_subrev_u32_e32 v6, s18, v6
	v_lshl_add_u32 v14, v6, 1, v6
	v_lshlrev_b64 v[15:16], 2, v[14:15]
	v_add_u32_e32 v17, 1, v14
	v_add_u32_e32 v20, 2, v14
	v_lshlrev_b64 v[13:14], 2, v[17:18]
	v_add_co_u32_e32 v15, vcc, s14, v15
	v_addc_co_u32_e32 v16, vcc, v12, v16, vcc
	v_lshlrev_b64 v[17:18], 2, v[20:21]
	v_add_co_u32_e32 v13, vcc, s14, v13
	global_load_dword v6, v[15:16], off
	v_addc_co_u32_e32 v14, vcc, v12, v14, vcc
	v_add_co_u32_e32 v15, vcc, s14, v17
	v_addc_co_u32_e32 v16, vcc, v12, v18, vcc
	global_load_dword v17, v[13:14], off
	global_load_dword v18, v[15:16], off
	v_cmp_ge_i32_e32 vcc, v5, v8
	s_or_b64 s[8:9], vcc, s[8:9]
	s_waitcnt vmcnt(2)
	v_fmac_f32_e32 v9, v22, v6
	v_fmac_f32_e32 v10, v23, v6
	s_waitcnt vmcnt(1)
	v_fmac_f32_e32 v9, v24, v17
	v_fmac_f32_e32 v10, v25, v17
	;; [unrolled: 3-line block ×3, first 2 shown]
	s_andn2_b64 exec, exec, s[8:9]
	s_cbranch_execnz .LBB6_9
; %bb.10:
	s_or_b64 exec, exec, s[8:9]
.LBB6_11:
	s_or_b64 exec, exec, s[6:7]
	s_cbranch_execz .LBB6_13
	s_branch .LBB6_18
.LBB6_12:
                                        ; implicit-def: $vgpr9
                                        ; implicit-def: $vgpr10
.LBB6_13:
	v_mov_b32_e32 v9, 0
	v_mov_b32_e32 v10, 0
	s_and_saveexec_b64 s[6:7], s[0:1]
	s_cbranch_execz .LBB6_17
; %bb.14:
	v_mad_u64_u32 v[4:5], s[0:1], v2, 6, 5
	v_mov_b32_e32 v7, 0
	s_mov_b64 s[0:1], 0
	v_mov_b32_e32 v11, s11
	v_mov_b32_e32 v12, s13
	;; [unrolled: 1-line block ×5, first 2 shown]
.LBB6_15:                               ; =>This Inner Loop Header: Depth=1
	v_ashrrev_i32_e32 v3, 31, v2
	v_lshlrev_b64 v[5:6], 2, v[2:3]
	v_add_u32_e32 v14, -2, v4
	v_add_co_u32_e32 v5, vcc, s10, v5
	v_addc_co_u32_e32 v6, vcc, v11, v6, vcc
	global_load_dword v3, v[5:6], off
	v_add_u32_e32 v6, -5, v4
	v_lshlrev_b64 v[17:18], 2, v[6:7]
	v_mov_b32_e32 v15, v7
	v_lshlrev_b64 v[14:15], 2, v[14:15]
	v_add_co_u32_e32 v17, vcc, s12, v17
	v_mov_b32_e32 v5, v7
	v_addc_co_u32_e32 v18, vcc, v12, v18, vcc
	v_lshlrev_b64 v[5:6], 2, v[4:5]
	v_add_co_u32_e32 v19, vcc, s12, v14
	v_mov_b32_e32 v16, v7
	v_addc_co_u32_e32 v20, vcc, v12, v15, vcc
	v_add_co_u32_e32 v21, vcc, s12, v5
	v_addc_co_u32_e32 v22, vcc, v12, v6, vcc
	v_add_u32_e32 v2, 8, v2
	s_waitcnt vmcnt(0)
	v_subrev_u32_e32 v3, s18, v3
	v_lshl_add_u32 v15, v3, 1, v3
	v_lshlrev_b64 v[23:24], 2, v[15:16]
	v_add_u32_e32 v6, 1, v15
	v_add_co_u32_e32 v23, vcc, s14, v23
	v_lshlrev_b64 v[25:26], 2, v[6:7]
	v_addc_co_u32_e32 v24, vcc, v13, v24, vcc
	v_add_u32_e32 v6, -1, v4
	v_lshlrev_b64 v[27:28], 2, v[6:7]
	v_add_u32_e32 v6, -3, v4
	v_add_co_u32_e32 v14, vcc, s14, v25
	v_lshlrev_b64 v[29:30], 2, v[6:7]
	v_add_u32_e32 v6, 2, v15
	v_addc_co_u32_e32 v15, vcc, v13, v26, vcc
	v_add_co_u32_e32 v25, vcc, s12, v27
	v_addc_co_u32_e32 v26, vcc, v12, v28, vcc
	v_add_co_u32_e32 v27, vcc, s12, v29
	v_lshlrev_b64 v[5:6], 2, v[6:7]
	v_addc_co_u32_e32 v28, vcc, v12, v30, vcc
	v_add_co_u32_e32 v5, vcc, s14, v5
	v_addc_co_u32_e32 v6, vcc, v13, v6, vcc
	global_load_dword v3, v[19:20], off
	global_load_dword v16, v[21:22], off
	;; [unrolled: 1-line block ×4, first 2 shown]
	global_load_dwordx2 v[29:30], v[17:18], off
	global_load_dword v33, v[25:26], off
	global_load_dword v34, v[27:28], off
	;; [unrolled: 1-line block ×3, first 2 shown]
	v_cmp_ge_i32_e32 vcc, v2, v8
	s_or_b64 s[0:1], vcc, s[0:1]
	v_add_u32_e32 v4, 48, v4
	s_waitcnt vmcnt(5)
	v_fmac_f32_e32 v10, v3, v31
	s_waitcnt vmcnt(3)
	v_fmac_f32_e32 v9, v29, v31
	v_fmac_f32_e32 v9, v30, v32
	s_waitcnt vmcnt(2)
	v_fmac_f32_e32 v10, v33, v32
	s_waitcnt vmcnt(0)
	v_fmac_f32_e32 v9, v34, v35
	v_fmac_f32_e32 v10, v16, v35
	s_andn2_b64 exec, exec, s[0:1]
	s_cbranch_execnz .LBB6_15
; %bb.16:
	s_or_b64 exec, exec, s[0:1]
.LBB6_17:
	s_or_b64 exec, exec, s[6:7]
.LBB6_18:
	v_mov_b32_dpp v2, v9 row_shr:1 row_mask:0xf bank_mask:0xf
	v_mov_b32_dpp v4, v10 row_shr:1 row_mask:0xf bank_mask:0xf
	v_add_f32_e32 v2, v9, v2
	v_add_f32_e32 v4, v10, v4
	v_cmp_eq_u32_e32 vcc, 7, v0
	v_mov_b32_dpp v3, v2 row_shr:2 row_mask:0xf bank_mask:0xf
	v_mov_b32_dpp v5, v4 row_shr:2 row_mask:0xf bank_mask:0xf
	v_add_f32_e32 v2, v2, v3
	v_add_f32_e32 v4, v4, v5
	s_nop 0
	v_mov_b32_dpp v3, v2 row_shr:4 row_mask:0xf bank_mask:0xe
	v_mov_b32_dpp v5, v4 row_shr:4 row_mask:0xf bank_mask:0xe
	s_and_b64 exec, exec, vcc
	s_cbranch_execz .LBB6_22
; %bb.19:
	s_load_dwordx2 s[0:1], s[4:5], 0x38
	v_add_f32_e32 v0, v2, v3
	v_add_f32_e32 v3, v4, v5
	v_cmp_eq_f32_e64 s[4:5], s2, 0
	s_and_b64 vcc, exec, s[4:5]
	v_mul_f32_e32 v2, s16, v0
	v_mul_f32_e32 v3, s16, v3
	v_lshlrev_b32_e32 v0, 1, v1
	s_cbranch_vccz .LBB6_23
; %bb.20:
	v_ashrrev_i32_e32 v1, 31, v0
	v_lshlrev_b64 v[4:5], 2, v[0:1]
	s_waitcnt lgkmcnt(0)
	v_mov_b32_e32 v1, s1
	v_add_co_u32_e32 v4, vcc, s0, v4
	v_addc_co_u32_e32 v5, vcc, v1, v5, vcc
	global_store_dwordx2 v[4:5], v[2:3], off
	s_cbranch_execnz .LBB6_22
.LBB6_21:
	v_ashrrev_i32_e32 v1, 31, v0
	v_lshlrev_b64 v[0:1], 2, v[0:1]
	s_waitcnt lgkmcnt(0)
	v_mov_b32_e32 v4, s1
	v_add_co_u32_e32 v0, vcc, s0, v0
	v_addc_co_u32_e32 v1, vcc, v4, v1, vcc
	global_load_dwordx2 v[4:5], v[0:1], off
	s_waitcnt vmcnt(0)
	v_fmac_f32_e32 v2, s2, v4
	v_fmac_f32_e32 v3, s2, v5
	global_store_dwordx2 v[0:1], v[2:3], off
.LBB6_22:
	s_endpgm
.LBB6_23:
	s_branch .LBB6_21
	.section	.rodata,"a",@progbits
	.p2align	6, 0x0
	.amdhsa_kernel _ZN9rocsparseL19gebsrmvn_2xn_kernelILj128ELj3ELj8EfEEvi20rocsparse_direction_NS_24const_host_device_scalarIT2_EEPKiS6_PKS3_S8_S4_PS3_21rocsparse_index_base_b
		.amdhsa_group_segment_fixed_size 0
		.amdhsa_private_segment_fixed_size 0
		.amdhsa_kernarg_size 72
		.amdhsa_user_sgpr_count 6
		.amdhsa_user_sgpr_private_segment_buffer 1
		.amdhsa_user_sgpr_dispatch_ptr 0
		.amdhsa_user_sgpr_queue_ptr 0
		.amdhsa_user_sgpr_kernarg_segment_ptr 1
		.amdhsa_user_sgpr_dispatch_id 0
		.amdhsa_user_sgpr_flat_scratch_init 0
		.amdhsa_user_sgpr_private_segment_size 0
		.amdhsa_uses_dynamic_stack 0
		.amdhsa_system_sgpr_private_segment_wavefront_offset 0
		.amdhsa_system_sgpr_workgroup_id_x 1
		.amdhsa_system_sgpr_workgroup_id_y 0
		.amdhsa_system_sgpr_workgroup_id_z 0
		.amdhsa_system_sgpr_workgroup_info 0
		.amdhsa_system_vgpr_workitem_id 0
		.amdhsa_next_free_vgpr 36
		.amdhsa_next_free_sgpr 20
		.amdhsa_reserve_vcc 1
		.amdhsa_reserve_flat_scratch 0
		.amdhsa_float_round_mode_32 0
		.amdhsa_float_round_mode_16_64 0
		.amdhsa_float_denorm_mode_32 3
		.amdhsa_float_denorm_mode_16_64 3
		.amdhsa_dx10_clamp 1
		.amdhsa_ieee_mode 1
		.amdhsa_fp16_overflow 0
		.amdhsa_exception_fp_ieee_invalid_op 0
		.amdhsa_exception_fp_denorm_src 0
		.amdhsa_exception_fp_ieee_div_zero 0
		.amdhsa_exception_fp_ieee_overflow 0
		.amdhsa_exception_fp_ieee_underflow 0
		.amdhsa_exception_fp_ieee_inexact 0
		.amdhsa_exception_int_div_zero 0
	.end_amdhsa_kernel
	.section	.text._ZN9rocsparseL19gebsrmvn_2xn_kernelILj128ELj3ELj8EfEEvi20rocsparse_direction_NS_24const_host_device_scalarIT2_EEPKiS6_PKS3_S8_S4_PS3_21rocsparse_index_base_b,"axG",@progbits,_ZN9rocsparseL19gebsrmvn_2xn_kernelILj128ELj3ELj8EfEEvi20rocsparse_direction_NS_24const_host_device_scalarIT2_EEPKiS6_PKS3_S8_S4_PS3_21rocsparse_index_base_b,comdat
.Lfunc_end6:
	.size	_ZN9rocsparseL19gebsrmvn_2xn_kernelILj128ELj3ELj8EfEEvi20rocsparse_direction_NS_24const_host_device_scalarIT2_EEPKiS6_PKS3_S8_S4_PS3_21rocsparse_index_base_b, .Lfunc_end6-_ZN9rocsparseL19gebsrmvn_2xn_kernelILj128ELj3ELj8EfEEvi20rocsparse_direction_NS_24const_host_device_scalarIT2_EEPKiS6_PKS3_S8_S4_PS3_21rocsparse_index_base_b
                                        ; -- End function
	.set _ZN9rocsparseL19gebsrmvn_2xn_kernelILj128ELj3ELj8EfEEvi20rocsparse_direction_NS_24const_host_device_scalarIT2_EEPKiS6_PKS3_S8_S4_PS3_21rocsparse_index_base_b.num_vgpr, 36
	.set _ZN9rocsparseL19gebsrmvn_2xn_kernelILj128ELj3ELj8EfEEvi20rocsparse_direction_NS_24const_host_device_scalarIT2_EEPKiS6_PKS3_S8_S4_PS3_21rocsparse_index_base_b.num_agpr, 0
	.set _ZN9rocsparseL19gebsrmvn_2xn_kernelILj128ELj3ELj8EfEEvi20rocsparse_direction_NS_24const_host_device_scalarIT2_EEPKiS6_PKS3_S8_S4_PS3_21rocsparse_index_base_b.numbered_sgpr, 20
	.set _ZN9rocsparseL19gebsrmvn_2xn_kernelILj128ELj3ELj8EfEEvi20rocsparse_direction_NS_24const_host_device_scalarIT2_EEPKiS6_PKS3_S8_S4_PS3_21rocsparse_index_base_b.num_named_barrier, 0
	.set _ZN9rocsparseL19gebsrmvn_2xn_kernelILj128ELj3ELj8EfEEvi20rocsparse_direction_NS_24const_host_device_scalarIT2_EEPKiS6_PKS3_S8_S4_PS3_21rocsparse_index_base_b.private_seg_size, 0
	.set _ZN9rocsparseL19gebsrmvn_2xn_kernelILj128ELj3ELj8EfEEvi20rocsparse_direction_NS_24const_host_device_scalarIT2_EEPKiS6_PKS3_S8_S4_PS3_21rocsparse_index_base_b.uses_vcc, 1
	.set _ZN9rocsparseL19gebsrmvn_2xn_kernelILj128ELj3ELj8EfEEvi20rocsparse_direction_NS_24const_host_device_scalarIT2_EEPKiS6_PKS3_S8_S4_PS3_21rocsparse_index_base_b.uses_flat_scratch, 0
	.set _ZN9rocsparseL19gebsrmvn_2xn_kernelILj128ELj3ELj8EfEEvi20rocsparse_direction_NS_24const_host_device_scalarIT2_EEPKiS6_PKS3_S8_S4_PS3_21rocsparse_index_base_b.has_dyn_sized_stack, 0
	.set _ZN9rocsparseL19gebsrmvn_2xn_kernelILj128ELj3ELj8EfEEvi20rocsparse_direction_NS_24const_host_device_scalarIT2_EEPKiS6_PKS3_S8_S4_PS3_21rocsparse_index_base_b.has_recursion, 0
	.set _ZN9rocsparseL19gebsrmvn_2xn_kernelILj128ELj3ELj8EfEEvi20rocsparse_direction_NS_24const_host_device_scalarIT2_EEPKiS6_PKS3_S8_S4_PS3_21rocsparse_index_base_b.has_indirect_call, 0
	.section	.AMDGPU.csdata,"",@progbits
; Kernel info:
; codeLenInByte = 1200
; TotalNumSgprs: 24
; NumVgprs: 36
; ScratchSize: 0
; MemoryBound: 0
; FloatMode: 240
; IeeeMode: 1
; LDSByteSize: 0 bytes/workgroup (compile time only)
; SGPRBlocks: 2
; VGPRBlocks: 8
; NumSGPRsForWavesPerEU: 24
; NumVGPRsForWavesPerEU: 36
; Occupancy: 7
; WaveLimiterHint : 1
; COMPUTE_PGM_RSRC2:SCRATCH_EN: 0
; COMPUTE_PGM_RSRC2:USER_SGPR: 6
; COMPUTE_PGM_RSRC2:TRAP_HANDLER: 0
; COMPUTE_PGM_RSRC2:TGID_X_EN: 1
; COMPUTE_PGM_RSRC2:TGID_Y_EN: 0
; COMPUTE_PGM_RSRC2:TGID_Z_EN: 0
; COMPUTE_PGM_RSRC2:TIDIG_COMP_CNT: 0
	.section	.text._ZN9rocsparseL19gebsrmvn_2xn_kernelILj128ELj3ELj16EfEEvi20rocsparse_direction_NS_24const_host_device_scalarIT2_EEPKiS6_PKS3_S8_S4_PS3_21rocsparse_index_base_b,"axG",@progbits,_ZN9rocsparseL19gebsrmvn_2xn_kernelILj128ELj3ELj16EfEEvi20rocsparse_direction_NS_24const_host_device_scalarIT2_EEPKiS6_PKS3_S8_S4_PS3_21rocsparse_index_base_b,comdat
	.globl	_ZN9rocsparseL19gebsrmvn_2xn_kernelILj128ELj3ELj16EfEEvi20rocsparse_direction_NS_24const_host_device_scalarIT2_EEPKiS6_PKS3_S8_S4_PS3_21rocsparse_index_base_b ; -- Begin function _ZN9rocsparseL19gebsrmvn_2xn_kernelILj128ELj3ELj16EfEEvi20rocsparse_direction_NS_24const_host_device_scalarIT2_EEPKiS6_PKS3_S8_S4_PS3_21rocsparse_index_base_b
	.p2align	8
	.type	_ZN9rocsparseL19gebsrmvn_2xn_kernelILj128ELj3ELj16EfEEvi20rocsparse_direction_NS_24const_host_device_scalarIT2_EEPKiS6_PKS3_S8_S4_PS3_21rocsparse_index_base_b,@function
_ZN9rocsparseL19gebsrmvn_2xn_kernelILj128ELj3ELj16EfEEvi20rocsparse_direction_NS_24const_host_device_scalarIT2_EEPKiS6_PKS3_S8_S4_PS3_21rocsparse_index_base_b: ; @_ZN9rocsparseL19gebsrmvn_2xn_kernelILj128ELj3ELj16EfEEvi20rocsparse_direction_NS_24const_host_device_scalarIT2_EEPKiS6_PKS3_S8_S4_PS3_21rocsparse_index_base_b
; %bb.0:
	s_load_dwordx2 s[18:19], s[4:5], 0x40
	s_load_dwordx2 s[16:17], s[4:5], 0x8
	;; [unrolled: 1-line block ×3, first 2 shown]
	s_waitcnt lgkmcnt(0)
	s_bitcmp1_b32 s19, 0
	s_cselect_b64 s[8:9], -1, 0
	s_xor_b64 s[0:1], s[8:9], -1
	s_and_b64 vcc, exec, s[8:9]
	s_cbranch_vccnz .LBB7_2
; %bb.1:
	s_load_dword s16, s[16:17], 0x0
.LBB7_2:
	s_andn2_b64 vcc, exec, s[0:1]
	s_cbranch_vccnz .LBB7_4
; %bb.3:
	s_load_dword s2, s[2:3], 0x0
.LBB7_4:
	s_waitcnt lgkmcnt(0)
	v_cmp_eq_f32_e64 s[0:1], s16, 0
	v_cmp_eq_f32_e64 s[8:9], s2, 1.0
	s_and_b64 s[0:1], s[0:1], s[8:9]
	s_and_b64 vcc, exec, s[0:1]
	s_cbranch_vccnz .LBB7_22
; %bb.5:
	s_load_dwordx2 s[0:1], s[4:5], 0x0
	v_lshrrev_b32_e32 v1, 4, v0
	v_lshl_or_b32 v1, s6, 3, v1
	s_waitcnt lgkmcnt(0)
	v_cmp_gt_i32_e32 vcc, s0, v1
	s_and_saveexec_b64 s[6:7], vcc
	s_cbranch_execz .LBB7_22
; %bb.6:
	s_load_dwordx8 s[8:15], s[4:5], 0x10
	v_ashrrev_i32_e32 v2, 31, v1
	v_lshlrev_b64 v[2:3], 2, v[1:2]
	v_and_b32_e32 v0, 15, v0
	s_cmp_lg_u32 s1, 0
	s_waitcnt lgkmcnt(0)
	v_mov_b32_e32 v4, s9
	v_add_co_u32_e32 v2, vcc, s8, v2
	v_addc_co_u32_e32 v3, vcc, v4, v3, vcc
	global_load_dwordx2 v[2:3], v[2:3], off
	s_waitcnt vmcnt(0)
	v_subrev_u32_e32 v2, s18, v2
	v_subrev_u32_e32 v8, s18, v3
	v_add_u32_e32 v2, v2, v0
	v_cmp_lt_i32_e64 s[0:1], v2, v8
	s_cbranch_scc0 .LBB7_12
; %bb.7:
	v_mov_b32_e32 v9, 0
	v_mov_b32_e32 v10, 0
	s_and_saveexec_b64 s[6:7], s[0:1]
	s_cbranch_execz .LBB7_11
; %bb.8:
	v_mul_lo_u32 v3, v2, 6
	v_mov_b32_e32 v4, 0
	s_mov_b64 s[8:9], 0
	v_mov_b32_e32 v7, s11
	v_mov_b32_e32 v11, s13
	;; [unrolled: 1-line block ×6, first 2 shown]
.LBB7_9:                                ; =>This Inner Loop Header: Depth=1
	v_ashrrev_i32_e32 v6, 31, v5
	v_lshlrev_b64 v[13:14], 2, v[5:6]
	v_add_u32_e32 v16, 2, v3
	v_add_co_u32_e32 v13, vcc, s10, v13
	v_addc_co_u32_e32 v14, vcc, v7, v14, vcc
	global_load_dword v6, v[13:14], off
	v_lshlrev_b64 v[13:14], 2, v[3:4]
	v_mov_b32_e32 v17, v4
	v_lshlrev_b64 v[16:17], 2, v[16:17]
	v_add_co_u32_e32 v13, vcc, s12, v13
	v_add_u32_e32 v19, 4, v3
	v_mov_b32_e32 v20, v4
	v_addc_co_u32_e32 v14, vcc, v11, v14, vcc
	v_lshlrev_b64 v[19:20], 2, v[19:20]
	v_add_co_u32_e32 v16, vcc, s12, v16
	v_addc_co_u32_e32 v17, vcc, v11, v17, vcc
	v_add_co_u32_e32 v19, vcc, s12, v19
	v_mov_b32_e32 v15, v4
	v_addc_co_u32_e32 v20, vcc, v11, v20, vcc
	global_load_dwordx2 v[22:23], v[13:14], off
	global_load_dwordx2 v[24:25], v[16:17], off
	;; [unrolled: 1-line block ×3, first 2 shown]
	v_mov_b32_e32 v18, v4
	v_mov_b32_e32 v21, v4
	v_add_u32_e32 v5, 16, v5
	v_add_u32_e32 v3, 0x60, v3
	s_waitcnt vmcnt(3)
	v_subrev_u32_e32 v6, s18, v6
	v_lshl_add_u32 v14, v6, 1, v6
	v_lshlrev_b64 v[15:16], 2, v[14:15]
	v_add_u32_e32 v17, 1, v14
	v_add_u32_e32 v20, 2, v14
	v_lshlrev_b64 v[13:14], 2, v[17:18]
	v_add_co_u32_e32 v15, vcc, s14, v15
	v_addc_co_u32_e32 v16, vcc, v12, v16, vcc
	v_lshlrev_b64 v[17:18], 2, v[20:21]
	v_add_co_u32_e32 v13, vcc, s14, v13
	global_load_dword v6, v[15:16], off
	v_addc_co_u32_e32 v14, vcc, v12, v14, vcc
	v_add_co_u32_e32 v15, vcc, s14, v17
	v_addc_co_u32_e32 v16, vcc, v12, v18, vcc
	global_load_dword v17, v[13:14], off
	global_load_dword v18, v[15:16], off
	v_cmp_ge_i32_e32 vcc, v5, v8
	s_or_b64 s[8:9], vcc, s[8:9]
	s_waitcnt vmcnt(2)
	v_fmac_f32_e32 v9, v22, v6
	v_fmac_f32_e32 v10, v23, v6
	s_waitcnt vmcnt(1)
	v_fmac_f32_e32 v9, v24, v17
	v_fmac_f32_e32 v10, v25, v17
	;; [unrolled: 3-line block ×3, first 2 shown]
	s_andn2_b64 exec, exec, s[8:9]
	s_cbranch_execnz .LBB7_9
; %bb.10:
	s_or_b64 exec, exec, s[8:9]
.LBB7_11:
	s_or_b64 exec, exec, s[6:7]
	s_cbranch_execz .LBB7_13
	s_branch .LBB7_18
.LBB7_12:
                                        ; implicit-def: $vgpr9
                                        ; implicit-def: $vgpr10
.LBB7_13:
	v_mov_b32_e32 v9, 0
	v_mov_b32_e32 v10, 0
	s_and_saveexec_b64 s[6:7], s[0:1]
	s_cbranch_execz .LBB7_17
; %bb.14:
	v_mad_u64_u32 v[4:5], s[0:1], v2, 6, 5
	v_mov_b32_e32 v7, 0
	s_mov_b64 s[0:1], 0
	v_mov_b32_e32 v11, s11
	v_mov_b32_e32 v12, s13
	;; [unrolled: 1-line block ×5, first 2 shown]
.LBB7_15:                               ; =>This Inner Loop Header: Depth=1
	v_ashrrev_i32_e32 v3, 31, v2
	v_lshlrev_b64 v[5:6], 2, v[2:3]
	v_add_u32_e32 v14, -2, v4
	v_add_co_u32_e32 v5, vcc, s10, v5
	v_addc_co_u32_e32 v6, vcc, v11, v6, vcc
	global_load_dword v3, v[5:6], off
	v_add_u32_e32 v6, -5, v4
	v_lshlrev_b64 v[17:18], 2, v[6:7]
	v_mov_b32_e32 v15, v7
	v_lshlrev_b64 v[14:15], 2, v[14:15]
	v_add_co_u32_e32 v17, vcc, s12, v17
	v_mov_b32_e32 v5, v7
	v_addc_co_u32_e32 v18, vcc, v12, v18, vcc
	v_lshlrev_b64 v[5:6], 2, v[4:5]
	v_add_co_u32_e32 v19, vcc, s12, v14
	v_mov_b32_e32 v16, v7
	v_addc_co_u32_e32 v20, vcc, v12, v15, vcc
	v_add_co_u32_e32 v21, vcc, s12, v5
	v_addc_co_u32_e32 v22, vcc, v12, v6, vcc
	v_add_u32_e32 v2, 16, v2
	s_waitcnt vmcnt(0)
	v_subrev_u32_e32 v3, s18, v3
	v_lshl_add_u32 v15, v3, 1, v3
	v_lshlrev_b64 v[23:24], 2, v[15:16]
	v_add_u32_e32 v6, 1, v15
	v_add_co_u32_e32 v23, vcc, s14, v23
	v_lshlrev_b64 v[25:26], 2, v[6:7]
	v_addc_co_u32_e32 v24, vcc, v13, v24, vcc
	v_add_u32_e32 v6, -1, v4
	v_lshlrev_b64 v[27:28], 2, v[6:7]
	v_add_u32_e32 v6, -3, v4
	v_add_co_u32_e32 v14, vcc, s14, v25
	v_lshlrev_b64 v[29:30], 2, v[6:7]
	v_add_u32_e32 v6, 2, v15
	v_addc_co_u32_e32 v15, vcc, v13, v26, vcc
	v_add_co_u32_e32 v25, vcc, s12, v27
	v_addc_co_u32_e32 v26, vcc, v12, v28, vcc
	v_add_co_u32_e32 v27, vcc, s12, v29
	v_lshlrev_b64 v[5:6], 2, v[6:7]
	v_addc_co_u32_e32 v28, vcc, v12, v30, vcc
	v_add_co_u32_e32 v5, vcc, s14, v5
	v_addc_co_u32_e32 v6, vcc, v13, v6, vcc
	global_load_dword v3, v[19:20], off
	global_load_dword v16, v[21:22], off
	;; [unrolled: 1-line block ×4, first 2 shown]
	global_load_dwordx2 v[29:30], v[17:18], off
	global_load_dword v33, v[25:26], off
	global_load_dword v34, v[27:28], off
	;; [unrolled: 1-line block ×3, first 2 shown]
	v_cmp_ge_i32_e32 vcc, v2, v8
	s_or_b64 s[0:1], vcc, s[0:1]
	v_add_u32_e32 v4, 0x60, v4
	s_waitcnt vmcnt(5)
	v_fmac_f32_e32 v10, v3, v31
	s_waitcnt vmcnt(3)
	v_fmac_f32_e32 v9, v29, v31
	v_fmac_f32_e32 v9, v30, v32
	s_waitcnt vmcnt(2)
	v_fmac_f32_e32 v10, v33, v32
	s_waitcnt vmcnt(0)
	v_fmac_f32_e32 v9, v34, v35
	v_fmac_f32_e32 v10, v16, v35
	s_andn2_b64 exec, exec, s[0:1]
	s_cbranch_execnz .LBB7_15
; %bb.16:
	s_or_b64 exec, exec, s[0:1]
.LBB7_17:
	s_or_b64 exec, exec, s[6:7]
.LBB7_18:
	v_mov_b32_dpp v2, v9 row_shr:1 row_mask:0xf bank_mask:0xf
	v_mov_b32_dpp v4, v10 row_shr:1 row_mask:0xf bank_mask:0xf
	v_add_f32_e32 v2, v9, v2
	v_add_f32_e32 v4, v10, v4
	v_cmp_eq_u32_e32 vcc, 15, v0
	v_mov_b32_dpp v3, v2 row_shr:2 row_mask:0xf bank_mask:0xf
	v_mov_b32_dpp v5, v4 row_shr:2 row_mask:0xf bank_mask:0xf
	v_add_f32_e32 v2, v2, v3
	v_add_f32_e32 v4, v4, v5
	s_nop 0
	v_mov_b32_dpp v3, v2 row_shr:4 row_mask:0xf bank_mask:0xe
	v_mov_b32_dpp v5, v4 row_shr:4 row_mask:0xf bank_mask:0xe
	v_add_f32_e32 v2, v2, v3
	v_add_f32_e32 v4, v4, v5
	s_nop 0
	v_mov_b32_dpp v3, v2 row_shr:8 row_mask:0xf bank_mask:0xc
	v_mov_b32_dpp v5, v4 row_shr:8 row_mask:0xf bank_mask:0xc
	s_and_b64 exec, exec, vcc
	s_cbranch_execz .LBB7_22
; %bb.19:
	s_load_dwordx2 s[0:1], s[4:5], 0x38
	v_add_f32_e32 v0, v2, v3
	v_add_f32_e32 v3, v4, v5
	v_cmp_eq_f32_e64 s[4:5], s2, 0
	s_and_b64 vcc, exec, s[4:5]
	v_mul_f32_e32 v2, s16, v0
	v_mul_f32_e32 v3, s16, v3
	v_lshlrev_b32_e32 v0, 1, v1
	s_cbranch_vccz .LBB7_23
; %bb.20:
	v_ashrrev_i32_e32 v1, 31, v0
	v_lshlrev_b64 v[4:5], 2, v[0:1]
	s_waitcnt lgkmcnt(0)
	v_mov_b32_e32 v1, s1
	v_add_co_u32_e32 v4, vcc, s0, v4
	v_addc_co_u32_e32 v5, vcc, v1, v5, vcc
	global_store_dwordx2 v[4:5], v[2:3], off
	s_cbranch_execnz .LBB7_22
.LBB7_21:
	v_ashrrev_i32_e32 v1, 31, v0
	v_lshlrev_b64 v[0:1], 2, v[0:1]
	s_waitcnt lgkmcnt(0)
	v_mov_b32_e32 v4, s1
	v_add_co_u32_e32 v0, vcc, s0, v0
	v_addc_co_u32_e32 v1, vcc, v4, v1, vcc
	global_load_dwordx2 v[4:5], v[0:1], off
	s_waitcnt vmcnt(0)
	v_fmac_f32_e32 v2, s2, v4
	v_fmac_f32_e32 v3, s2, v5
	global_store_dwordx2 v[0:1], v[2:3], off
.LBB7_22:
	s_endpgm
.LBB7_23:
	s_branch .LBB7_21
	.section	.rodata,"a",@progbits
	.p2align	6, 0x0
	.amdhsa_kernel _ZN9rocsparseL19gebsrmvn_2xn_kernelILj128ELj3ELj16EfEEvi20rocsparse_direction_NS_24const_host_device_scalarIT2_EEPKiS6_PKS3_S8_S4_PS3_21rocsparse_index_base_b
		.amdhsa_group_segment_fixed_size 0
		.amdhsa_private_segment_fixed_size 0
		.amdhsa_kernarg_size 72
		.amdhsa_user_sgpr_count 6
		.amdhsa_user_sgpr_private_segment_buffer 1
		.amdhsa_user_sgpr_dispatch_ptr 0
		.amdhsa_user_sgpr_queue_ptr 0
		.amdhsa_user_sgpr_kernarg_segment_ptr 1
		.amdhsa_user_sgpr_dispatch_id 0
		.amdhsa_user_sgpr_flat_scratch_init 0
		.amdhsa_user_sgpr_private_segment_size 0
		.amdhsa_uses_dynamic_stack 0
		.amdhsa_system_sgpr_private_segment_wavefront_offset 0
		.amdhsa_system_sgpr_workgroup_id_x 1
		.amdhsa_system_sgpr_workgroup_id_y 0
		.amdhsa_system_sgpr_workgroup_id_z 0
		.amdhsa_system_sgpr_workgroup_info 0
		.amdhsa_system_vgpr_workitem_id 0
		.amdhsa_next_free_vgpr 36
		.amdhsa_next_free_sgpr 20
		.amdhsa_reserve_vcc 1
		.amdhsa_reserve_flat_scratch 0
		.amdhsa_float_round_mode_32 0
		.amdhsa_float_round_mode_16_64 0
		.amdhsa_float_denorm_mode_32 3
		.amdhsa_float_denorm_mode_16_64 3
		.amdhsa_dx10_clamp 1
		.amdhsa_ieee_mode 1
		.amdhsa_fp16_overflow 0
		.amdhsa_exception_fp_ieee_invalid_op 0
		.amdhsa_exception_fp_denorm_src 0
		.amdhsa_exception_fp_ieee_div_zero 0
		.amdhsa_exception_fp_ieee_overflow 0
		.amdhsa_exception_fp_ieee_underflow 0
		.amdhsa_exception_fp_ieee_inexact 0
		.amdhsa_exception_int_div_zero 0
	.end_amdhsa_kernel
	.section	.text._ZN9rocsparseL19gebsrmvn_2xn_kernelILj128ELj3ELj16EfEEvi20rocsparse_direction_NS_24const_host_device_scalarIT2_EEPKiS6_PKS3_S8_S4_PS3_21rocsparse_index_base_b,"axG",@progbits,_ZN9rocsparseL19gebsrmvn_2xn_kernelILj128ELj3ELj16EfEEvi20rocsparse_direction_NS_24const_host_device_scalarIT2_EEPKiS6_PKS3_S8_S4_PS3_21rocsparse_index_base_b,comdat
.Lfunc_end7:
	.size	_ZN9rocsparseL19gebsrmvn_2xn_kernelILj128ELj3ELj16EfEEvi20rocsparse_direction_NS_24const_host_device_scalarIT2_EEPKiS6_PKS3_S8_S4_PS3_21rocsparse_index_base_b, .Lfunc_end7-_ZN9rocsparseL19gebsrmvn_2xn_kernelILj128ELj3ELj16EfEEvi20rocsparse_direction_NS_24const_host_device_scalarIT2_EEPKiS6_PKS3_S8_S4_PS3_21rocsparse_index_base_b
                                        ; -- End function
	.set _ZN9rocsparseL19gebsrmvn_2xn_kernelILj128ELj3ELj16EfEEvi20rocsparse_direction_NS_24const_host_device_scalarIT2_EEPKiS6_PKS3_S8_S4_PS3_21rocsparse_index_base_b.num_vgpr, 36
	.set _ZN9rocsparseL19gebsrmvn_2xn_kernelILj128ELj3ELj16EfEEvi20rocsparse_direction_NS_24const_host_device_scalarIT2_EEPKiS6_PKS3_S8_S4_PS3_21rocsparse_index_base_b.num_agpr, 0
	.set _ZN9rocsparseL19gebsrmvn_2xn_kernelILj128ELj3ELj16EfEEvi20rocsparse_direction_NS_24const_host_device_scalarIT2_EEPKiS6_PKS3_S8_S4_PS3_21rocsparse_index_base_b.numbered_sgpr, 20
	.set _ZN9rocsparseL19gebsrmvn_2xn_kernelILj128ELj3ELj16EfEEvi20rocsparse_direction_NS_24const_host_device_scalarIT2_EEPKiS6_PKS3_S8_S4_PS3_21rocsparse_index_base_b.num_named_barrier, 0
	.set _ZN9rocsparseL19gebsrmvn_2xn_kernelILj128ELj3ELj16EfEEvi20rocsparse_direction_NS_24const_host_device_scalarIT2_EEPKiS6_PKS3_S8_S4_PS3_21rocsparse_index_base_b.private_seg_size, 0
	.set _ZN9rocsparseL19gebsrmvn_2xn_kernelILj128ELj3ELj16EfEEvi20rocsparse_direction_NS_24const_host_device_scalarIT2_EEPKiS6_PKS3_S8_S4_PS3_21rocsparse_index_base_b.uses_vcc, 1
	.set _ZN9rocsparseL19gebsrmvn_2xn_kernelILj128ELj3ELj16EfEEvi20rocsparse_direction_NS_24const_host_device_scalarIT2_EEPKiS6_PKS3_S8_S4_PS3_21rocsparse_index_base_b.uses_flat_scratch, 0
	.set _ZN9rocsparseL19gebsrmvn_2xn_kernelILj128ELj3ELj16EfEEvi20rocsparse_direction_NS_24const_host_device_scalarIT2_EEPKiS6_PKS3_S8_S4_PS3_21rocsparse_index_base_b.has_dyn_sized_stack, 0
	.set _ZN9rocsparseL19gebsrmvn_2xn_kernelILj128ELj3ELj16EfEEvi20rocsparse_direction_NS_24const_host_device_scalarIT2_EEPKiS6_PKS3_S8_S4_PS3_21rocsparse_index_base_b.has_recursion, 0
	.set _ZN9rocsparseL19gebsrmvn_2xn_kernelILj128ELj3ELj16EfEEvi20rocsparse_direction_NS_24const_host_device_scalarIT2_EEPKiS6_PKS3_S8_S4_PS3_21rocsparse_index_base_b.has_indirect_call, 0
	.section	.AMDGPU.csdata,"",@progbits
; Kernel info:
; codeLenInByte = 1236
; TotalNumSgprs: 24
; NumVgprs: 36
; ScratchSize: 0
; MemoryBound: 0
; FloatMode: 240
; IeeeMode: 1
; LDSByteSize: 0 bytes/workgroup (compile time only)
; SGPRBlocks: 2
; VGPRBlocks: 8
; NumSGPRsForWavesPerEU: 24
; NumVGPRsForWavesPerEU: 36
; Occupancy: 7
; WaveLimiterHint : 1
; COMPUTE_PGM_RSRC2:SCRATCH_EN: 0
; COMPUTE_PGM_RSRC2:USER_SGPR: 6
; COMPUTE_PGM_RSRC2:TRAP_HANDLER: 0
; COMPUTE_PGM_RSRC2:TGID_X_EN: 1
; COMPUTE_PGM_RSRC2:TGID_Y_EN: 0
; COMPUTE_PGM_RSRC2:TGID_Z_EN: 0
; COMPUTE_PGM_RSRC2:TIDIG_COMP_CNT: 0
	.section	.text._ZN9rocsparseL19gebsrmvn_2xn_kernelILj128ELj3ELj32EfEEvi20rocsparse_direction_NS_24const_host_device_scalarIT2_EEPKiS6_PKS3_S8_S4_PS3_21rocsparse_index_base_b,"axG",@progbits,_ZN9rocsparseL19gebsrmvn_2xn_kernelILj128ELj3ELj32EfEEvi20rocsparse_direction_NS_24const_host_device_scalarIT2_EEPKiS6_PKS3_S8_S4_PS3_21rocsparse_index_base_b,comdat
	.globl	_ZN9rocsparseL19gebsrmvn_2xn_kernelILj128ELj3ELj32EfEEvi20rocsparse_direction_NS_24const_host_device_scalarIT2_EEPKiS6_PKS3_S8_S4_PS3_21rocsparse_index_base_b ; -- Begin function _ZN9rocsparseL19gebsrmvn_2xn_kernelILj128ELj3ELj32EfEEvi20rocsparse_direction_NS_24const_host_device_scalarIT2_EEPKiS6_PKS3_S8_S4_PS3_21rocsparse_index_base_b
	.p2align	8
	.type	_ZN9rocsparseL19gebsrmvn_2xn_kernelILj128ELj3ELj32EfEEvi20rocsparse_direction_NS_24const_host_device_scalarIT2_EEPKiS6_PKS3_S8_S4_PS3_21rocsparse_index_base_b,@function
_ZN9rocsparseL19gebsrmvn_2xn_kernelILj128ELj3ELj32EfEEvi20rocsparse_direction_NS_24const_host_device_scalarIT2_EEPKiS6_PKS3_S8_S4_PS3_21rocsparse_index_base_b: ; @_ZN9rocsparseL19gebsrmvn_2xn_kernelILj128ELj3ELj32EfEEvi20rocsparse_direction_NS_24const_host_device_scalarIT2_EEPKiS6_PKS3_S8_S4_PS3_21rocsparse_index_base_b
; %bb.0:
	s_load_dwordx2 s[18:19], s[4:5], 0x40
	s_load_dwordx2 s[16:17], s[4:5], 0x8
	;; [unrolled: 1-line block ×3, first 2 shown]
	s_waitcnt lgkmcnt(0)
	s_bitcmp1_b32 s19, 0
	s_cselect_b64 s[8:9], -1, 0
	s_xor_b64 s[0:1], s[8:9], -1
	s_and_b64 vcc, exec, s[8:9]
	s_cbranch_vccnz .LBB8_2
; %bb.1:
	s_load_dword s16, s[16:17], 0x0
.LBB8_2:
	s_andn2_b64 vcc, exec, s[0:1]
	s_cbranch_vccnz .LBB8_4
; %bb.3:
	s_load_dword s2, s[2:3], 0x0
.LBB8_4:
	s_waitcnt lgkmcnt(0)
	v_cmp_eq_f32_e64 s[0:1], s16, 0
	v_cmp_eq_f32_e64 s[8:9], s2, 1.0
	s_and_b64 s[0:1], s[0:1], s[8:9]
	s_and_b64 vcc, exec, s[0:1]
	s_cbranch_vccnz .LBB8_22
; %bb.5:
	s_load_dwordx2 s[0:1], s[4:5], 0x0
	v_lshrrev_b32_e32 v1, 5, v0
	v_lshl_or_b32 v1, s6, 2, v1
	s_waitcnt lgkmcnt(0)
	v_cmp_gt_i32_e32 vcc, s0, v1
	s_and_saveexec_b64 s[6:7], vcc
	s_cbranch_execz .LBB8_22
; %bb.6:
	s_load_dwordx8 s[8:15], s[4:5], 0x10
	v_ashrrev_i32_e32 v2, 31, v1
	v_lshlrev_b64 v[2:3], 2, v[1:2]
	v_and_b32_e32 v0, 31, v0
	s_cmp_lg_u32 s1, 0
	s_waitcnt lgkmcnt(0)
	v_mov_b32_e32 v4, s9
	v_add_co_u32_e32 v2, vcc, s8, v2
	v_addc_co_u32_e32 v3, vcc, v4, v3, vcc
	global_load_dwordx2 v[2:3], v[2:3], off
	s_waitcnt vmcnt(0)
	v_subrev_u32_e32 v2, s18, v2
	v_subrev_u32_e32 v8, s18, v3
	v_add_u32_e32 v2, v2, v0
	v_cmp_lt_i32_e64 s[0:1], v2, v8
	s_cbranch_scc0 .LBB8_12
; %bb.7:
	v_mov_b32_e32 v10, 0
	v_mov_b32_e32 v9, 0
	s_and_saveexec_b64 s[6:7], s[0:1]
	s_cbranch_execz .LBB8_11
; %bb.8:
	v_mul_lo_u32 v3, v2, 6
	v_mov_b32_e32 v4, 0
	s_mov_b64 s[8:9], 0
	v_mov_b32_e32 v7, s11
	v_mov_b32_e32 v11, s13
	;; [unrolled: 1-line block ×6, first 2 shown]
.LBB8_9:                                ; =>This Inner Loop Header: Depth=1
	v_ashrrev_i32_e32 v6, 31, v5
	v_lshlrev_b64 v[13:14], 2, v[5:6]
	v_add_u32_e32 v16, 2, v3
	v_add_co_u32_e32 v13, vcc, s10, v13
	v_addc_co_u32_e32 v14, vcc, v7, v14, vcc
	global_load_dword v6, v[13:14], off
	v_lshlrev_b64 v[13:14], 2, v[3:4]
	v_mov_b32_e32 v17, v4
	v_lshlrev_b64 v[16:17], 2, v[16:17]
	v_add_co_u32_e32 v13, vcc, s12, v13
	v_add_u32_e32 v19, 4, v3
	v_mov_b32_e32 v20, v4
	v_addc_co_u32_e32 v14, vcc, v11, v14, vcc
	v_lshlrev_b64 v[19:20], 2, v[19:20]
	v_add_co_u32_e32 v16, vcc, s12, v16
	v_addc_co_u32_e32 v17, vcc, v11, v17, vcc
	v_add_co_u32_e32 v19, vcc, s12, v19
	v_mov_b32_e32 v15, v4
	v_addc_co_u32_e32 v20, vcc, v11, v20, vcc
	global_load_dwordx2 v[22:23], v[13:14], off
	global_load_dwordx2 v[24:25], v[16:17], off
	global_load_dwordx2 v[26:27], v[19:20], off
	v_mov_b32_e32 v18, v4
	v_mov_b32_e32 v21, v4
	v_add_u32_e32 v5, 32, v5
	v_add_u32_e32 v3, 0xc0, v3
	s_waitcnt vmcnt(3)
	v_subrev_u32_e32 v6, s18, v6
	v_lshl_add_u32 v14, v6, 1, v6
	v_lshlrev_b64 v[15:16], 2, v[14:15]
	v_add_u32_e32 v17, 1, v14
	v_add_u32_e32 v20, 2, v14
	v_lshlrev_b64 v[13:14], 2, v[17:18]
	v_add_co_u32_e32 v15, vcc, s14, v15
	v_addc_co_u32_e32 v16, vcc, v12, v16, vcc
	v_lshlrev_b64 v[17:18], 2, v[20:21]
	v_add_co_u32_e32 v13, vcc, s14, v13
	global_load_dword v6, v[15:16], off
	v_addc_co_u32_e32 v14, vcc, v12, v14, vcc
	v_add_co_u32_e32 v15, vcc, s14, v17
	v_addc_co_u32_e32 v16, vcc, v12, v18, vcc
	global_load_dword v17, v[13:14], off
	global_load_dword v18, v[15:16], off
	v_cmp_ge_i32_e32 vcc, v5, v8
	s_or_b64 s[8:9], vcc, s[8:9]
	s_waitcnt vmcnt(2)
	v_fmac_f32_e32 v10, v22, v6
	v_fmac_f32_e32 v9, v23, v6
	s_waitcnt vmcnt(1)
	v_fmac_f32_e32 v10, v24, v17
	v_fmac_f32_e32 v9, v25, v17
	;; [unrolled: 3-line block ×3, first 2 shown]
	s_andn2_b64 exec, exec, s[8:9]
	s_cbranch_execnz .LBB8_9
; %bb.10:
	s_or_b64 exec, exec, s[8:9]
.LBB8_11:
	s_or_b64 exec, exec, s[6:7]
	s_cbranch_execz .LBB8_13
	s_branch .LBB8_18
.LBB8_12:
                                        ; implicit-def: $vgpr10
                                        ; implicit-def: $vgpr9
.LBB8_13:
	v_mov_b32_e32 v10, 0
	v_mov_b32_e32 v9, 0
	s_and_saveexec_b64 s[6:7], s[0:1]
	s_cbranch_execz .LBB8_17
; %bb.14:
	v_mad_u64_u32 v[4:5], s[0:1], v2, 6, 5
	v_mov_b32_e32 v7, 0
	s_mov_b64 s[0:1], 0
	v_mov_b32_e32 v11, s11
	v_mov_b32_e32 v12, s13
	;; [unrolled: 1-line block ×5, first 2 shown]
.LBB8_15:                               ; =>This Inner Loop Header: Depth=1
	v_ashrrev_i32_e32 v3, 31, v2
	v_lshlrev_b64 v[5:6], 2, v[2:3]
	v_add_u32_e32 v14, -2, v4
	v_add_co_u32_e32 v5, vcc, s10, v5
	v_addc_co_u32_e32 v6, vcc, v11, v6, vcc
	global_load_dword v3, v[5:6], off
	v_add_u32_e32 v6, -5, v4
	v_lshlrev_b64 v[17:18], 2, v[6:7]
	v_mov_b32_e32 v15, v7
	v_lshlrev_b64 v[14:15], 2, v[14:15]
	v_add_co_u32_e32 v17, vcc, s12, v17
	v_mov_b32_e32 v5, v7
	v_addc_co_u32_e32 v18, vcc, v12, v18, vcc
	v_lshlrev_b64 v[5:6], 2, v[4:5]
	v_add_co_u32_e32 v19, vcc, s12, v14
	v_mov_b32_e32 v16, v7
	v_addc_co_u32_e32 v20, vcc, v12, v15, vcc
	v_add_co_u32_e32 v21, vcc, s12, v5
	v_addc_co_u32_e32 v22, vcc, v12, v6, vcc
	v_add_u32_e32 v2, 32, v2
	s_waitcnt vmcnt(0)
	v_subrev_u32_e32 v3, s18, v3
	v_lshl_add_u32 v15, v3, 1, v3
	v_lshlrev_b64 v[23:24], 2, v[15:16]
	v_add_u32_e32 v6, 1, v15
	v_add_co_u32_e32 v23, vcc, s14, v23
	v_lshlrev_b64 v[25:26], 2, v[6:7]
	v_addc_co_u32_e32 v24, vcc, v13, v24, vcc
	v_add_u32_e32 v6, -1, v4
	v_lshlrev_b64 v[27:28], 2, v[6:7]
	v_add_u32_e32 v6, -3, v4
	v_add_co_u32_e32 v14, vcc, s14, v25
	v_lshlrev_b64 v[29:30], 2, v[6:7]
	v_add_u32_e32 v6, 2, v15
	v_addc_co_u32_e32 v15, vcc, v13, v26, vcc
	v_add_co_u32_e32 v25, vcc, s12, v27
	v_addc_co_u32_e32 v26, vcc, v12, v28, vcc
	v_add_co_u32_e32 v27, vcc, s12, v29
	v_lshlrev_b64 v[5:6], 2, v[6:7]
	v_addc_co_u32_e32 v28, vcc, v12, v30, vcc
	v_add_co_u32_e32 v5, vcc, s14, v5
	v_addc_co_u32_e32 v6, vcc, v13, v6, vcc
	global_load_dword v3, v[19:20], off
	global_load_dword v16, v[21:22], off
	;; [unrolled: 1-line block ×4, first 2 shown]
	global_load_dwordx2 v[29:30], v[17:18], off
	global_load_dword v33, v[25:26], off
	global_load_dword v34, v[27:28], off
	;; [unrolled: 1-line block ×3, first 2 shown]
	v_cmp_ge_i32_e32 vcc, v2, v8
	s_or_b64 s[0:1], vcc, s[0:1]
	v_add_u32_e32 v4, 0xc0, v4
	s_waitcnt vmcnt(5)
	v_fmac_f32_e32 v9, v3, v31
	s_waitcnt vmcnt(3)
	v_fmac_f32_e32 v10, v29, v31
	v_fmac_f32_e32 v10, v30, v32
	s_waitcnt vmcnt(2)
	v_fmac_f32_e32 v9, v33, v32
	s_waitcnt vmcnt(0)
	v_fmac_f32_e32 v10, v34, v35
	v_fmac_f32_e32 v9, v16, v35
	s_andn2_b64 exec, exec, s[0:1]
	s_cbranch_execnz .LBB8_15
; %bb.16:
	s_or_b64 exec, exec, s[0:1]
.LBB8_17:
	s_or_b64 exec, exec, s[6:7]
.LBB8_18:
	v_mov_b32_dpp v2, v10 row_shr:1 row_mask:0xf bank_mask:0xf
	v_mov_b32_dpp v4, v9 row_shr:1 row_mask:0xf bank_mask:0xf
	v_add_f32_e32 v2, v10, v2
	v_add_f32_e32 v4, v9, v4
	v_cmp_eq_u32_e32 vcc, 31, v0
	v_mov_b32_dpp v3, v2 row_shr:2 row_mask:0xf bank_mask:0xf
	v_mov_b32_dpp v5, v4 row_shr:2 row_mask:0xf bank_mask:0xf
	v_add_f32_e32 v2, v2, v3
	v_add_f32_e32 v4, v4, v5
	s_nop 0
	v_mov_b32_dpp v3, v2 row_shr:4 row_mask:0xf bank_mask:0xe
	v_mov_b32_dpp v5, v4 row_shr:4 row_mask:0xf bank_mask:0xe
	v_add_f32_e32 v2, v2, v3
	v_add_f32_e32 v4, v4, v5
	s_nop 0
	;; [unrolled: 5-line block ×3, first 2 shown]
	v_mov_b32_dpp v3, v2 row_bcast:15 row_mask:0xa bank_mask:0xf
	v_mov_b32_dpp v5, v4 row_bcast:15 row_mask:0xa bank_mask:0xf
	s_and_b64 exec, exec, vcc
	s_cbranch_execz .LBB8_22
; %bb.19:
	s_load_dwordx2 s[0:1], s[4:5], 0x38
	v_add_f32_e32 v0, v2, v3
	v_add_f32_e32 v3, v4, v5
	v_cmp_eq_f32_e64 s[4:5], s2, 0
	s_and_b64 vcc, exec, s[4:5]
	v_mul_f32_e32 v2, s16, v0
	v_mul_f32_e32 v3, s16, v3
	v_lshlrev_b32_e32 v0, 1, v1
	s_cbranch_vccz .LBB8_23
; %bb.20:
	v_ashrrev_i32_e32 v1, 31, v0
	v_lshlrev_b64 v[4:5], 2, v[0:1]
	s_waitcnt lgkmcnt(0)
	v_mov_b32_e32 v1, s1
	v_add_co_u32_e32 v4, vcc, s0, v4
	v_addc_co_u32_e32 v5, vcc, v1, v5, vcc
	global_store_dwordx2 v[4:5], v[2:3], off
	s_cbranch_execnz .LBB8_22
.LBB8_21:
	v_ashrrev_i32_e32 v1, 31, v0
	v_lshlrev_b64 v[0:1], 2, v[0:1]
	s_waitcnt lgkmcnt(0)
	v_mov_b32_e32 v4, s1
	v_add_co_u32_e32 v0, vcc, s0, v0
	v_addc_co_u32_e32 v1, vcc, v4, v1, vcc
	global_load_dwordx2 v[4:5], v[0:1], off
	s_waitcnt vmcnt(0)
	v_fmac_f32_e32 v2, s2, v4
	v_fmac_f32_e32 v3, s2, v5
	global_store_dwordx2 v[0:1], v[2:3], off
.LBB8_22:
	s_endpgm
.LBB8_23:
	s_branch .LBB8_21
	.section	.rodata,"a",@progbits
	.p2align	6, 0x0
	.amdhsa_kernel _ZN9rocsparseL19gebsrmvn_2xn_kernelILj128ELj3ELj32EfEEvi20rocsparse_direction_NS_24const_host_device_scalarIT2_EEPKiS6_PKS3_S8_S4_PS3_21rocsparse_index_base_b
		.amdhsa_group_segment_fixed_size 0
		.amdhsa_private_segment_fixed_size 0
		.amdhsa_kernarg_size 72
		.amdhsa_user_sgpr_count 6
		.amdhsa_user_sgpr_private_segment_buffer 1
		.amdhsa_user_sgpr_dispatch_ptr 0
		.amdhsa_user_sgpr_queue_ptr 0
		.amdhsa_user_sgpr_kernarg_segment_ptr 1
		.amdhsa_user_sgpr_dispatch_id 0
		.amdhsa_user_sgpr_flat_scratch_init 0
		.amdhsa_user_sgpr_private_segment_size 0
		.amdhsa_uses_dynamic_stack 0
		.amdhsa_system_sgpr_private_segment_wavefront_offset 0
		.amdhsa_system_sgpr_workgroup_id_x 1
		.amdhsa_system_sgpr_workgroup_id_y 0
		.amdhsa_system_sgpr_workgroup_id_z 0
		.amdhsa_system_sgpr_workgroup_info 0
		.amdhsa_system_vgpr_workitem_id 0
		.amdhsa_next_free_vgpr 36
		.amdhsa_next_free_sgpr 20
		.amdhsa_reserve_vcc 1
		.amdhsa_reserve_flat_scratch 0
		.amdhsa_float_round_mode_32 0
		.amdhsa_float_round_mode_16_64 0
		.amdhsa_float_denorm_mode_32 3
		.amdhsa_float_denorm_mode_16_64 3
		.amdhsa_dx10_clamp 1
		.amdhsa_ieee_mode 1
		.amdhsa_fp16_overflow 0
		.amdhsa_exception_fp_ieee_invalid_op 0
		.amdhsa_exception_fp_denorm_src 0
		.amdhsa_exception_fp_ieee_div_zero 0
		.amdhsa_exception_fp_ieee_overflow 0
		.amdhsa_exception_fp_ieee_underflow 0
		.amdhsa_exception_fp_ieee_inexact 0
		.amdhsa_exception_int_div_zero 0
	.end_amdhsa_kernel
	.section	.text._ZN9rocsparseL19gebsrmvn_2xn_kernelILj128ELj3ELj32EfEEvi20rocsparse_direction_NS_24const_host_device_scalarIT2_EEPKiS6_PKS3_S8_S4_PS3_21rocsparse_index_base_b,"axG",@progbits,_ZN9rocsparseL19gebsrmvn_2xn_kernelILj128ELj3ELj32EfEEvi20rocsparse_direction_NS_24const_host_device_scalarIT2_EEPKiS6_PKS3_S8_S4_PS3_21rocsparse_index_base_b,comdat
.Lfunc_end8:
	.size	_ZN9rocsparseL19gebsrmvn_2xn_kernelILj128ELj3ELj32EfEEvi20rocsparse_direction_NS_24const_host_device_scalarIT2_EEPKiS6_PKS3_S8_S4_PS3_21rocsparse_index_base_b, .Lfunc_end8-_ZN9rocsparseL19gebsrmvn_2xn_kernelILj128ELj3ELj32EfEEvi20rocsparse_direction_NS_24const_host_device_scalarIT2_EEPKiS6_PKS3_S8_S4_PS3_21rocsparse_index_base_b
                                        ; -- End function
	.set _ZN9rocsparseL19gebsrmvn_2xn_kernelILj128ELj3ELj32EfEEvi20rocsparse_direction_NS_24const_host_device_scalarIT2_EEPKiS6_PKS3_S8_S4_PS3_21rocsparse_index_base_b.num_vgpr, 36
	.set _ZN9rocsparseL19gebsrmvn_2xn_kernelILj128ELj3ELj32EfEEvi20rocsparse_direction_NS_24const_host_device_scalarIT2_EEPKiS6_PKS3_S8_S4_PS3_21rocsparse_index_base_b.num_agpr, 0
	.set _ZN9rocsparseL19gebsrmvn_2xn_kernelILj128ELj3ELj32EfEEvi20rocsparse_direction_NS_24const_host_device_scalarIT2_EEPKiS6_PKS3_S8_S4_PS3_21rocsparse_index_base_b.numbered_sgpr, 20
	.set _ZN9rocsparseL19gebsrmvn_2xn_kernelILj128ELj3ELj32EfEEvi20rocsparse_direction_NS_24const_host_device_scalarIT2_EEPKiS6_PKS3_S8_S4_PS3_21rocsparse_index_base_b.num_named_barrier, 0
	.set _ZN9rocsparseL19gebsrmvn_2xn_kernelILj128ELj3ELj32EfEEvi20rocsparse_direction_NS_24const_host_device_scalarIT2_EEPKiS6_PKS3_S8_S4_PS3_21rocsparse_index_base_b.private_seg_size, 0
	.set _ZN9rocsparseL19gebsrmvn_2xn_kernelILj128ELj3ELj32EfEEvi20rocsparse_direction_NS_24const_host_device_scalarIT2_EEPKiS6_PKS3_S8_S4_PS3_21rocsparse_index_base_b.uses_vcc, 1
	.set _ZN9rocsparseL19gebsrmvn_2xn_kernelILj128ELj3ELj32EfEEvi20rocsparse_direction_NS_24const_host_device_scalarIT2_EEPKiS6_PKS3_S8_S4_PS3_21rocsparse_index_base_b.uses_flat_scratch, 0
	.set _ZN9rocsparseL19gebsrmvn_2xn_kernelILj128ELj3ELj32EfEEvi20rocsparse_direction_NS_24const_host_device_scalarIT2_EEPKiS6_PKS3_S8_S4_PS3_21rocsparse_index_base_b.has_dyn_sized_stack, 0
	.set _ZN9rocsparseL19gebsrmvn_2xn_kernelILj128ELj3ELj32EfEEvi20rocsparse_direction_NS_24const_host_device_scalarIT2_EEPKiS6_PKS3_S8_S4_PS3_21rocsparse_index_base_b.has_recursion, 0
	.set _ZN9rocsparseL19gebsrmvn_2xn_kernelILj128ELj3ELj32EfEEvi20rocsparse_direction_NS_24const_host_device_scalarIT2_EEPKiS6_PKS3_S8_S4_PS3_21rocsparse_index_base_b.has_indirect_call, 0
	.section	.AMDGPU.csdata,"",@progbits
; Kernel info:
; codeLenInByte = 1264
; TotalNumSgprs: 24
; NumVgprs: 36
; ScratchSize: 0
; MemoryBound: 0
; FloatMode: 240
; IeeeMode: 1
; LDSByteSize: 0 bytes/workgroup (compile time only)
; SGPRBlocks: 2
; VGPRBlocks: 8
; NumSGPRsForWavesPerEU: 24
; NumVGPRsForWavesPerEU: 36
; Occupancy: 7
; WaveLimiterHint : 1
; COMPUTE_PGM_RSRC2:SCRATCH_EN: 0
; COMPUTE_PGM_RSRC2:USER_SGPR: 6
; COMPUTE_PGM_RSRC2:TRAP_HANDLER: 0
; COMPUTE_PGM_RSRC2:TGID_X_EN: 1
; COMPUTE_PGM_RSRC2:TGID_Y_EN: 0
; COMPUTE_PGM_RSRC2:TGID_Z_EN: 0
; COMPUTE_PGM_RSRC2:TIDIG_COMP_CNT: 0
	.section	.text._ZN9rocsparseL19gebsrmvn_2xn_kernelILj128ELj3ELj64EfEEvi20rocsparse_direction_NS_24const_host_device_scalarIT2_EEPKiS6_PKS3_S8_S4_PS3_21rocsparse_index_base_b,"axG",@progbits,_ZN9rocsparseL19gebsrmvn_2xn_kernelILj128ELj3ELj64EfEEvi20rocsparse_direction_NS_24const_host_device_scalarIT2_EEPKiS6_PKS3_S8_S4_PS3_21rocsparse_index_base_b,comdat
	.globl	_ZN9rocsparseL19gebsrmvn_2xn_kernelILj128ELj3ELj64EfEEvi20rocsparse_direction_NS_24const_host_device_scalarIT2_EEPKiS6_PKS3_S8_S4_PS3_21rocsparse_index_base_b ; -- Begin function _ZN9rocsparseL19gebsrmvn_2xn_kernelILj128ELj3ELj64EfEEvi20rocsparse_direction_NS_24const_host_device_scalarIT2_EEPKiS6_PKS3_S8_S4_PS3_21rocsparse_index_base_b
	.p2align	8
	.type	_ZN9rocsparseL19gebsrmvn_2xn_kernelILj128ELj3ELj64EfEEvi20rocsparse_direction_NS_24const_host_device_scalarIT2_EEPKiS6_PKS3_S8_S4_PS3_21rocsparse_index_base_b,@function
_ZN9rocsparseL19gebsrmvn_2xn_kernelILj128ELj3ELj64EfEEvi20rocsparse_direction_NS_24const_host_device_scalarIT2_EEPKiS6_PKS3_S8_S4_PS3_21rocsparse_index_base_b: ; @_ZN9rocsparseL19gebsrmvn_2xn_kernelILj128ELj3ELj64EfEEvi20rocsparse_direction_NS_24const_host_device_scalarIT2_EEPKiS6_PKS3_S8_S4_PS3_21rocsparse_index_base_b
; %bb.0:
	s_load_dwordx2 s[18:19], s[4:5], 0x40
	s_load_dwordx2 s[16:17], s[4:5], 0x8
	;; [unrolled: 1-line block ×3, first 2 shown]
	s_waitcnt lgkmcnt(0)
	s_bitcmp1_b32 s19, 0
	s_cselect_b64 s[8:9], -1, 0
	s_xor_b64 s[0:1], s[8:9], -1
	s_and_b64 vcc, exec, s[8:9]
	s_cbranch_vccnz .LBB9_2
; %bb.1:
	s_load_dword s16, s[16:17], 0x0
.LBB9_2:
	s_andn2_b64 vcc, exec, s[0:1]
	s_cbranch_vccnz .LBB9_4
; %bb.3:
	s_load_dword s2, s[2:3], 0x0
.LBB9_4:
	s_waitcnt lgkmcnt(0)
	v_cmp_eq_f32_e64 s[0:1], s16, 0
	v_cmp_eq_f32_e64 s[8:9], s2, 1.0
	s_and_b64 s[0:1], s[0:1], s[8:9]
	s_and_b64 vcc, exec, s[0:1]
	s_cbranch_vccnz .LBB9_22
; %bb.5:
	s_load_dwordx2 s[0:1], s[4:5], 0x0
	v_lshrrev_b32_e32 v1, 6, v0
	v_lshl_or_b32 v1, s6, 1, v1
	s_waitcnt lgkmcnt(0)
	v_cmp_gt_i32_e32 vcc, s0, v1
	s_and_saveexec_b64 s[6:7], vcc
	s_cbranch_execz .LBB9_22
; %bb.6:
	s_load_dwordx8 s[8:15], s[4:5], 0x10
	v_ashrrev_i32_e32 v2, 31, v1
	v_lshlrev_b64 v[2:3], 2, v[1:2]
	v_and_b32_e32 v0, 63, v0
	s_cmp_lg_u32 s1, 0
	s_waitcnt lgkmcnt(0)
	v_mov_b32_e32 v4, s9
	v_add_co_u32_e32 v2, vcc, s8, v2
	v_addc_co_u32_e32 v3, vcc, v4, v3, vcc
	global_load_dwordx2 v[2:3], v[2:3], off
	s_waitcnt vmcnt(0)
	v_subrev_u32_e32 v2, s18, v2
	v_subrev_u32_e32 v8, s18, v3
	v_add_u32_e32 v2, v2, v0
	v_cmp_lt_i32_e64 s[0:1], v2, v8
	s_cbranch_scc0 .LBB9_12
; %bb.7:
	v_mov_b32_e32 v10, 0
	v_mov_b32_e32 v9, 0
	s_and_saveexec_b64 s[6:7], s[0:1]
	s_cbranch_execz .LBB9_11
; %bb.8:
	v_mul_lo_u32 v3, v2, 6
	v_mov_b32_e32 v4, 0
	s_mov_b64 s[8:9], 0
	v_mov_b32_e32 v7, s11
	v_mov_b32_e32 v11, s13
	;; [unrolled: 1-line block ×6, first 2 shown]
.LBB9_9:                                ; =>This Inner Loop Header: Depth=1
	v_ashrrev_i32_e32 v6, 31, v5
	v_lshlrev_b64 v[13:14], 2, v[5:6]
	v_add_u32_e32 v16, 2, v3
	v_add_co_u32_e32 v13, vcc, s10, v13
	v_addc_co_u32_e32 v14, vcc, v7, v14, vcc
	global_load_dword v6, v[13:14], off
	v_lshlrev_b64 v[13:14], 2, v[3:4]
	v_mov_b32_e32 v17, v4
	v_lshlrev_b64 v[16:17], 2, v[16:17]
	v_add_co_u32_e32 v13, vcc, s12, v13
	v_add_u32_e32 v19, 4, v3
	v_mov_b32_e32 v20, v4
	v_addc_co_u32_e32 v14, vcc, v11, v14, vcc
	v_lshlrev_b64 v[19:20], 2, v[19:20]
	v_add_co_u32_e32 v16, vcc, s12, v16
	v_addc_co_u32_e32 v17, vcc, v11, v17, vcc
	v_add_co_u32_e32 v19, vcc, s12, v19
	v_mov_b32_e32 v15, v4
	v_addc_co_u32_e32 v20, vcc, v11, v20, vcc
	global_load_dwordx2 v[22:23], v[13:14], off
	global_load_dwordx2 v[24:25], v[16:17], off
	global_load_dwordx2 v[26:27], v[19:20], off
	v_mov_b32_e32 v18, v4
	v_mov_b32_e32 v21, v4
	v_add_u32_e32 v5, 64, v5
	v_add_u32_e32 v3, 0x180, v3
	s_waitcnt vmcnt(3)
	v_subrev_u32_e32 v6, s18, v6
	v_lshl_add_u32 v14, v6, 1, v6
	v_lshlrev_b64 v[15:16], 2, v[14:15]
	v_add_u32_e32 v17, 1, v14
	v_add_u32_e32 v20, 2, v14
	v_lshlrev_b64 v[13:14], 2, v[17:18]
	v_add_co_u32_e32 v15, vcc, s14, v15
	v_addc_co_u32_e32 v16, vcc, v12, v16, vcc
	v_lshlrev_b64 v[17:18], 2, v[20:21]
	v_add_co_u32_e32 v13, vcc, s14, v13
	global_load_dword v6, v[15:16], off
	v_addc_co_u32_e32 v14, vcc, v12, v14, vcc
	v_add_co_u32_e32 v15, vcc, s14, v17
	v_addc_co_u32_e32 v16, vcc, v12, v18, vcc
	global_load_dword v17, v[13:14], off
	global_load_dword v18, v[15:16], off
	v_cmp_ge_i32_e32 vcc, v5, v8
	s_or_b64 s[8:9], vcc, s[8:9]
	s_waitcnt vmcnt(2)
	v_fmac_f32_e32 v10, v22, v6
	v_fmac_f32_e32 v9, v23, v6
	s_waitcnt vmcnt(1)
	v_fmac_f32_e32 v10, v24, v17
	v_fmac_f32_e32 v9, v25, v17
	;; [unrolled: 3-line block ×3, first 2 shown]
	s_andn2_b64 exec, exec, s[8:9]
	s_cbranch_execnz .LBB9_9
; %bb.10:
	s_or_b64 exec, exec, s[8:9]
.LBB9_11:
	s_or_b64 exec, exec, s[6:7]
	s_cbranch_execz .LBB9_13
	s_branch .LBB9_18
.LBB9_12:
                                        ; implicit-def: $vgpr10
                                        ; implicit-def: $vgpr9
.LBB9_13:
	v_mov_b32_e32 v10, 0
	v_mov_b32_e32 v9, 0
	s_and_saveexec_b64 s[6:7], s[0:1]
	s_cbranch_execz .LBB9_17
; %bb.14:
	v_mad_u64_u32 v[4:5], s[0:1], v2, 6, 5
	v_mov_b32_e32 v7, 0
	s_mov_b64 s[0:1], 0
	v_mov_b32_e32 v11, s11
	v_mov_b32_e32 v12, s13
	;; [unrolled: 1-line block ×5, first 2 shown]
.LBB9_15:                               ; =>This Inner Loop Header: Depth=1
	v_ashrrev_i32_e32 v3, 31, v2
	v_lshlrev_b64 v[5:6], 2, v[2:3]
	v_add_u32_e32 v14, -2, v4
	v_add_co_u32_e32 v5, vcc, s10, v5
	v_addc_co_u32_e32 v6, vcc, v11, v6, vcc
	global_load_dword v3, v[5:6], off
	v_add_u32_e32 v6, -5, v4
	v_lshlrev_b64 v[17:18], 2, v[6:7]
	v_mov_b32_e32 v15, v7
	v_lshlrev_b64 v[14:15], 2, v[14:15]
	v_add_co_u32_e32 v17, vcc, s12, v17
	v_mov_b32_e32 v5, v7
	v_addc_co_u32_e32 v18, vcc, v12, v18, vcc
	v_lshlrev_b64 v[5:6], 2, v[4:5]
	v_add_co_u32_e32 v19, vcc, s12, v14
	v_mov_b32_e32 v16, v7
	v_addc_co_u32_e32 v20, vcc, v12, v15, vcc
	v_add_co_u32_e32 v21, vcc, s12, v5
	v_addc_co_u32_e32 v22, vcc, v12, v6, vcc
	v_add_u32_e32 v2, 64, v2
	s_waitcnt vmcnt(0)
	v_subrev_u32_e32 v3, s18, v3
	v_lshl_add_u32 v15, v3, 1, v3
	v_lshlrev_b64 v[23:24], 2, v[15:16]
	v_add_u32_e32 v6, 1, v15
	v_add_co_u32_e32 v23, vcc, s14, v23
	v_lshlrev_b64 v[25:26], 2, v[6:7]
	v_addc_co_u32_e32 v24, vcc, v13, v24, vcc
	v_add_u32_e32 v6, -1, v4
	v_lshlrev_b64 v[27:28], 2, v[6:7]
	v_add_u32_e32 v6, -3, v4
	v_add_co_u32_e32 v14, vcc, s14, v25
	v_lshlrev_b64 v[29:30], 2, v[6:7]
	v_add_u32_e32 v6, 2, v15
	v_addc_co_u32_e32 v15, vcc, v13, v26, vcc
	v_add_co_u32_e32 v25, vcc, s12, v27
	v_addc_co_u32_e32 v26, vcc, v12, v28, vcc
	v_add_co_u32_e32 v27, vcc, s12, v29
	v_lshlrev_b64 v[5:6], 2, v[6:7]
	v_addc_co_u32_e32 v28, vcc, v12, v30, vcc
	v_add_co_u32_e32 v5, vcc, s14, v5
	v_addc_co_u32_e32 v6, vcc, v13, v6, vcc
	global_load_dword v3, v[19:20], off
	global_load_dword v16, v[21:22], off
	;; [unrolled: 1-line block ×4, first 2 shown]
	global_load_dwordx2 v[29:30], v[17:18], off
	global_load_dword v33, v[25:26], off
	global_load_dword v34, v[27:28], off
	;; [unrolled: 1-line block ×3, first 2 shown]
	v_cmp_ge_i32_e32 vcc, v2, v8
	s_or_b64 s[0:1], vcc, s[0:1]
	v_add_u32_e32 v4, 0x180, v4
	s_waitcnt vmcnt(5)
	v_fmac_f32_e32 v9, v3, v31
	s_waitcnt vmcnt(3)
	v_fmac_f32_e32 v10, v29, v31
	v_fmac_f32_e32 v10, v30, v32
	s_waitcnt vmcnt(2)
	v_fmac_f32_e32 v9, v33, v32
	s_waitcnt vmcnt(0)
	v_fmac_f32_e32 v10, v34, v35
	v_fmac_f32_e32 v9, v16, v35
	s_andn2_b64 exec, exec, s[0:1]
	s_cbranch_execnz .LBB9_15
; %bb.16:
	s_or_b64 exec, exec, s[0:1]
.LBB9_17:
	s_or_b64 exec, exec, s[6:7]
.LBB9_18:
	v_mov_b32_dpp v2, v10 row_shr:1 row_mask:0xf bank_mask:0xf
	v_mov_b32_dpp v4, v9 row_shr:1 row_mask:0xf bank_mask:0xf
	v_add_f32_e32 v2, v10, v2
	v_add_f32_e32 v4, v9, v4
	v_cmp_eq_u32_e32 vcc, 63, v0
	v_mov_b32_dpp v3, v2 row_shr:2 row_mask:0xf bank_mask:0xf
	v_mov_b32_dpp v5, v4 row_shr:2 row_mask:0xf bank_mask:0xf
	v_add_f32_e32 v2, v2, v3
	v_add_f32_e32 v4, v4, v5
	s_nop 0
	v_mov_b32_dpp v3, v2 row_shr:4 row_mask:0xf bank_mask:0xe
	v_mov_b32_dpp v5, v4 row_shr:4 row_mask:0xf bank_mask:0xe
	v_add_f32_e32 v2, v2, v3
	v_add_f32_e32 v4, v4, v5
	s_nop 0
	;; [unrolled: 5-line block ×3, first 2 shown]
	v_mov_b32_dpp v3, v2 row_bcast:15 row_mask:0xa bank_mask:0xf
	v_mov_b32_dpp v5, v4 row_bcast:15 row_mask:0xa bank_mask:0xf
	v_add_f32_e32 v2, v2, v3
	v_add_f32_e32 v4, v4, v5
	s_nop 0
	v_mov_b32_dpp v3, v2 row_bcast:31 row_mask:0xc bank_mask:0xf
	v_mov_b32_dpp v5, v4 row_bcast:31 row_mask:0xc bank_mask:0xf
	s_and_b64 exec, exec, vcc
	s_cbranch_execz .LBB9_22
; %bb.19:
	s_load_dwordx2 s[0:1], s[4:5], 0x38
	v_add_f32_e32 v0, v2, v3
	v_add_f32_e32 v3, v4, v5
	v_cmp_eq_f32_e64 s[4:5], s2, 0
	s_and_b64 vcc, exec, s[4:5]
	v_mul_f32_e32 v2, s16, v0
	v_mul_f32_e32 v3, s16, v3
	v_lshlrev_b32_e32 v0, 1, v1
	s_cbranch_vccz .LBB9_23
; %bb.20:
	v_ashrrev_i32_e32 v1, 31, v0
	v_lshlrev_b64 v[4:5], 2, v[0:1]
	s_waitcnt lgkmcnt(0)
	v_mov_b32_e32 v1, s1
	v_add_co_u32_e32 v4, vcc, s0, v4
	v_addc_co_u32_e32 v5, vcc, v1, v5, vcc
	global_store_dwordx2 v[4:5], v[2:3], off
	s_cbranch_execnz .LBB9_22
.LBB9_21:
	v_ashrrev_i32_e32 v1, 31, v0
	v_lshlrev_b64 v[0:1], 2, v[0:1]
	s_waitcnt lgkmcnt(0)
	v_mov_b32_e32 v4, s1
	v_add_co_u32_e32 v0, vcc, s0, v0
	v_addc_co_u32_e32 v1, vcc, v4, v1, vcc
	global_load_dwordx2 v[4:5], v[0:1], off
	s_waitcnt vmcnt(0)
	v_fmac_f32_e32 v2, s2, v4
	v_fmac_f32_e32 v3, s2, v5
	global_store_dwordx2 v[0:1], v[2:3], off
.LBB9_22:
	s_endpgm
.LBB9_23:
	s_branch .LBB9_21
	.section	.rodata,"a",@progbits
	.p2align	6, 0x0
	.amdhsa_kernel _ZN9rocsparseL19gebsrmvn_2xn_kernelILj128ELj3ELj64EfEEvi20rocsparse_direction_NS_24const_host_device_scalarIT2_EEPKiS6_PKS3_S8_S4_PS3_21rocsparse_index_base_b
		.amdhsa_group_segment_fixed_size 0
		.amdhsa_private_segment_fixed_size 0
		.amdhsa_kernarg_size 72
		.amdhsa_user_sgpr_count 6
		.amdhsa_user_sgpr_private_segment_buffer 1
		.amdhsa_user_sgpr_dispatch_ptr 0
		.amdhsa_user_sgpr_queue_ptr 0
		.amdhsa_user_sgpr_kernarg_segment_ptr 1
		.amdhsa_user_sgpr_dispatch_id 0
		.amdhsa_user_sgpr_flat_scratch_init 0
		.amdhsa_user_sgpr_private_segment_size 0
		.amdhsa_uses_dynamic_stack 0
		.amdhsa_system_sgpr_private_segment_wavefront_offset 0
		.amdhsa_system_sgpr_workgroup_id_x 1
		.amdhsa_system_sgpr_workgroup_id_y 0
		.amdhsa_system_sgpr_workgroup_id_z 0
		.amdhsa_system_sgpr_workgroup_info 0
		.amdhsa_system_vgpr_workitem_id 0
		.amdhsa_next_free_vgpr 36
		.amdhsa_next_free_sgpr 20
		.amdhsa_reserve_vcc 1
		.amdhsa_reserve_flat_scratch 0
		.amdhsa_float_round_mode_32 0
		.amdhsa_float_round_mode_16_64 0
		.amdhsa_float_denorm_mode_32 3
		.amdhsa_float_denorm_mode_16_64 3
		.amdhsa_dx10_clamp 1
		.amdhsa_ieee_mode 1
		.amdhsa_fp16_overflow 0
		.amdhsa_exception_fp_ieee_invalid_op 0
		.amdhsa_exception_fp_denorm_src 0
		.amdhsa_exception_fp_ieee_div_zero 0
		.amdhsa_exception_fp_ieee_overflow 0
		.amdhsa_exception_fp_ieee_underflow 0
		.amdhsa_exception_fp_ieee_inexact 0
		.amdhsa_exception_int_div_zero 0
	.end_amdhsa_kernel
	.section	.text._ZN9rocsparseL19gebsrmvn_2xn_kernelILj128ELj3ELj64EfEEvi20rocsparse_direction_NS_24const_host_device_scalarIT2_EEPKiS6_PKS3_S8_S4_PS3_21rocsparse_index_base_b,"axG",@progbits,_ZN9rocsparseL19gebsrmvn_2xn_kernelILj128ELj3ELj64EfEEvi20rocsparse_direction_NS_24const_host_device_scalarIT2_EEPKiS6_PKS3_S8_S4_PS3_21rocsparse_index_base_b,comdat
.Lfunc_end9:
	.size	_ZN9rocsparseL19gebsrmvn_2xn_kernelILj128ELj3ELj64EfEEvi20rocsparse_direction_NS_24const_host_device_scalarIT2_EEPKiS6_PKS3_S8_S4_PS3_21rocsparse_index_base_b, .Lfunc_end9-_ZN9rocsparseL19gebsrmvn_2xn_kernelILj128ELj3ELj64EfEEvi20rocsparse_direction_NS_24const_host_device_scalarIT2_EEPKiS6_PKS3_S8_S4_PS3_21rocsparse_index_base_b
                                        ; -- End function
	.set _ZN9rocsparseL19gebsrmvn_2xn_kernelILj128ELj3ELj64EfEEvi20rocsparse_direction_NS_24const_host_device_scalarIT2_EEPKiS6_PKS3_S8_S4_PS3_21rocsparse_index_base_b.num_vgpr, 36
	.set _ZN9rocsparseL19gebsrmvn_2xn_kernelILj128ELj3ELj64EfEEvi20rocsparse_direction_NS_24const_host_device_scalarIT2_EEPKiS6_PKS3_S8_S4_PS3_21rocsparse_index_base_b.num_agpr, 0
	.set _ZN9rocsparseL19gebsrmvn_2xn_kernelILj128ELj3ELj64EfEEvi20rocsparse_direction_NS_24const_host_device_scalarIT2_EEPKiS6_PKS3_S8_S4_PS3_21rocsparse_index_base_b.numbered_sgpr, 20
	.set _ZN9rocsparseL19gebsrmvn_2xn_kernelILj128ELj3ELj64EfEEvi20rocsparse_direction_NS_24const_host_device_scalarIT2_EEPKiS6_PKS3_S8_S4_PS3_21rocsparse_index_base_b.num_named_barrier, 0
	.set _ZN9rocsparseL19gebsrmvn_2xn_kernelILj128ELj3ELj64EfEEvi20rocsparse_direction_NS_24const_host_device_scalarIT2_EEPKiS6_PKS3_S8_S4_PS3_21rocsparse_index_base_b.private_seg_size, 0
	.set _ZN9rocsparseL19gebsrmvn_2xn_kernelILj128ELj3ELj64EfEEvi20rocsparse_direction_NS_24const_host_device_scalarIT2_EEPKiS6_PKS3_S8_S4_PS3_21rocsparse_index_base_b.uses_vcc, 1
	.set _ZN9rocsparseL19gebsrmvn_2xn_kernelILj128ELj3ELj64EfEEvi20rocsparse_direction_NS_24const_host_device_scalarIT2_EEPKiS6_PKS3_S8_S4_PS3_21rocsparse_index_base_b.uses_flat_scratch, 0
	.set _ZN9rocsparseL19gebsrmvn_2xn_kernelILj128ELj3ELj64EfEEvi20rocsparse_direction_NS_24const_host_device_scalarIT2_EEPKiS6_PKS3_S8_S4_PS3_21rocsparse_index_base_b.has_dyn_sized_stack, 0
	.set _ZN9rocsparseL19gebsrmvn_2xn_kernelILj128ELj3ELj64EfEEvi20rocsparse_direction_NS_24const_host_device_scalarIT2_EEPKiS6_PKS3_S8_S4_PS3_21rocsparse_index_base_b.has_recursion, 0
	.set _ZN9rocsparseL19gebsrmvn_2xn_kernelILj128ELj3ELj64EfEEvi20rocsparse_direction_NS_24const_host_device_scalarIT2_EEPKiS6_PKS3_S8_S4_PS3_21rocsparse_index_base_b.has_indirect_call, 0
	.section	.AMDGPU.csdata,"",@progbits
; Kernel info:
; codeLenInByte = 1292
; TotalNumSgprs: 24
; NumVgprs: 36
; ScratchSize: 0
; MemoryBound: 0
; FloatMode: 240
; IeeeMode: 1
; LDSByteSize: 0 bytes/workgroup (compile time only)
; SGPRBlocks: 2
; VGPRBlocks: 8
; NumSGPRsForWavesPerEU: 24
; NumVGPRsForWavesPerEU: 36
; Occupancy: 7
; WaveLimiterHint : 1
; COMPUTE_PGM_RSRC2:SCRATCH_EN: 0
; COMPUTE_PGM_RSRC2:USER_SGPR: 6
; COMPUTE_PGM_RSRC2:TRAP_HANDLER: 0
; COMPUTE_PGM_RSRC2:TGID_X_EN: 1
; COMPUTE_PGM_RSRC2:TGID_Y_EN: 0
; COMPUTE_PGM_RSRC2:TGID_Z_EN: 0
; COMPUTE_PGM_RSRC2:TIDIG_COMP_CNT: 0
	.section	.text._ZN9rocsparseL19gebsrmvn_2xn_kernelILj128ELj4ELj4EfEEvi20rocsparse_direction_NS_24const_host_device_scalarIT2_EEPKiS6_PKS3_S8_S4_PS3_21rocsparse_index_base_b,"axG",@progbits,_ZN9rocsparseL19gebsrmvn_2xn_kernelILj128ELj4ELj4EfEEvi20rocsparse_direction_NS_24const_host_device_scalarIT2_EEPKiS6_PKS3_S8_S4_PS3_21rocsparse_index_base_b,comdat
	.globl	_ZN9rocsparseL19gebsrmvn_2xn_kernelILj128ELj4ELj4EfEEvi20rocsparse_direction_NS_24const_host_device_scalarIT2_EEPKiS6_PKS3_S8_S4_PS3_21rocsparse_index_base_b ; -- Begin function _ZN9rocsparseL19gebsrmvn_2xn_kernelILj128ELj4ELj4EfEEvi20rocsparse_direction_NS_24const_host_device_scalarIT2_EEPKiS6_PKS3_S8_S4_PS3_21rocsparse_index_base_b
	.p2align	8
	.type	_ZN9rocsparseL19gebsrmvn_2xn_kernelILj128ELj4ELj4EfEEvi20rocsparse_direction_NS_24const_host_device_scalarIT2_EEPKiS6_PKS3_S8_S4_PS3_21rocsparse_index_base_b,@function
_ZN9rocsparseL19gebsrmvn_2xn_kernelILj128ELj4ELj4EfEEvi20rocsparse_direction_NS_24const_host_device_scalarIT2_EEPKiS6_PKS3_S8_S4_PS3_21rocsparse_index_base_b: ; @_ZN9rocsparseL19gebsrmvn_2xn_kernelILj128ELj4ELj4EfEEvi20rocsparse_direction_NS_24const_host_device_scalarIT2_EEPKiS6_PKS3_S8_S4_PS3_21rocsparse_index_base_b
; %bb.0:
	s_load_dwordx2 s[18:19], s[4:5], 0x40
	s_load_dwordx2 s[16:17], s[4:5], 0x8
	;; [unrolled: 1-line block ×3, first 2 shown]
	s_waitcnt lgkmcnt(0)
	s_bitcmp1_b32 s19, 0
	s_cselect_b64 s[8:9], -1, 0
	s_xor_b64 s[0:1], s[8:9], -1
	s_and_b64 vcc, exec, s[8:9]
	s_cbranch_vccnz .LBB10_2
; %bb.1:
	s_load_dword s16, s[16:17], 0x0
.LBB10_2:
	s_andn2_b64 vcc, exec, s[0:1]
	s_cbranch_vccnz .LBB10_4
; %bb.3:
	s_load_dword s2, s[2:3], 0x0
.LBB10_4:
	s_waitcnt lgkmcnt(0)
	v_cmp_eq_f32_e64 s[0:1], s16, 0
	v_cmp_eq_f32_e64 s[8:9], s2, 1.0
	s_and_b64 s[0:1], s[0:1], s[8:9]
	s_and_b64 vcc, exec, s[0:1]
	s_cbranch_vccnz .LBB10_22
; %bb.5:
	s_load_dwordx2 s[0:1], s[4:5], 0x0
	v_lshrrev_b32_e32 v1, 2, v0
	v_lshl_or_b32 v1, s6, 5, v1
	s_waitcnt lgkmcnt(0)
	v_cmp_gt_i32_e32 vcc, s0, v1
	s_and_saveexec_b64 s[6:7], vcc
	s_cbranch_execz .LBB10_22
; %bb.6:
	s_load_dwordx8 s[8:15], s[4:5], 0x10
	v_ashrrev_i32_e32 v2, 31, v1
	v_lshlrev_b64 v[2:3], 2, v[1:2]
	v_and_b32_e32 v0, 3, v0
	s_cmp_lg_u32 s1, 0
	s_waitcnt lgkmcnt(0)
	v_mov_b32_e32 v4, s9
	v_add_co_u32_e32 v2, vcc, s8, v2
	v_addc_co_u32_e32 v3, vcc, v4, v3, vcc
	global_load_dwordx2 v[2:3], v[2:3], off
	s_waitcnt vmcnt(0)
	v_subrev_u32_e32 v2, s18, v2
	v_subrev_u32_e32 v7, s18, v3
	v_add_u32_e32 v2, v2, v0
	v_cmp_lt_i32_e64 s[0:1], v2, v7
	s_cbranch_scc0 .LBB10_12
; %bb.7:
	v_mov_b32_e32 v8, 0
	v_mov_b32_e32 v9, 0
	s_and_saveexec_b64 s[6:7], s[0:1]
	s_cbranch_execz .LBB10_11
; %bb.8:
	v_mov_b32_e32 v4, 0
	v_lshlrev_b32_e32 v3, 3, v2
	s_mov_b64 s[8:9], 0
	v_mov_b32_e32 v10, s11
	v_mov_b32_e32 v11, s13
	;; [unrolled: 1-line block ×6, first 2 shown]
.LBB10_9:                               ; =>This Inner Loop Header: Depth=1
	v_lshlrev_b64 v[13:14], 2, v[3:4]
	v_ashrrev_i32_e32 v6, 31, v5
	v_lshlrev_b64 v[15:16], 2, v[5:6]
	v_add_co_u32_e32 v21, vcc, s12, v13
	v_addc_co_u32_e32 v22, vcc, v11, v14, vcc
	v_add_co_u32_e32 v19, vcc, s10, v15
	v_addc_co_u32_e32 v20, vcc, v10, v16, vcc
	global_load_dwordx4 v[13:16], v[21:22], off
	global_load_dword v6, v[19:20], off
	v_mov_b32_e32 v18, v4
	v_add_u32_e32 v5, 4, v5
	v_add_u32_e32 v3, 32, v3
	s_waitcnt vmcnt(0)
	v_subrev_u32_e32 v6, s18, v6
	v_lshlrev_b32_e32 v17, 2, v6
	v_lshlrev_b64 v[17:18], 2, v[17:18]
	v_add_co_u32_e32 v17, vcc, s14, v17
	v_addc_co_u32_e32 v18, vcc, v12, v18, vcc
	global_load_dwordx4 v[17:20], v[17:18], off
	v_cmp_ge_i32_e32 vcc, v5, v7
	s_or_b64 s[8:9], vcc, s[8:9]
	s_waitcnt vmcnt(0)
	v_fmac_f32_e32 v8, v13, v17
	v_fmac_f32_e32 v9, v14, v17
	;; [unrolled: 1-line block ×4, first 2 shown]
	global_load_dwordx4 v[13:16], v[21:22], off offset:16
	s_waitcnt vmcnt(0)
	v_fmac_f32_e32 v8, v13, v19
	v_fmac_f32_e32 v9, v14, v19
	;; [unrolled: 1-line block ×4, first 2 shown]
	s_andn2_b64 exec, exec, s[8:9]
	s_cbranch_execnz .LBB10_9
; %bb.10:
	s_or_b64 exec, exec, s[8:9]
.LBB10_11:
	s_or_b64 exec, exec, s[6:7]
	s_cbranch_execz .LBB10_13
	s_branch .LBB10_18
.LBB10_12:
                                        ; implicit-def: $vgpr8
                                        ; implicit-def: $vgpr9
.LBB10_13:
	v_mov_b32_e32 v8, 0
	v_mov_b32_e32 v9, 0
	s_and_saveexec_b64 s[6:7], s[0:1]
	s_cbranch_execz .LBB10_17
; %bb.14:
	v_mov_b32_e32 v5, 0
	v_lshlrev_b32_e32 v4, 3, v2
	s_mov_b64 s[0:1], 0
	v_mov_b32_e32 v6, s11
	v_mov_b32_e32 v10, s13
	;; [unrolled: 1-line block ×5, first 2 shown]
.LBB10_15:                              ; =>This Inner Loop Header: Depth=1
	v_lshlrev_b64 v[12:13], 2, v[4:5]
	v_ashrrev_i32_e32 v3, 31, v2
	v_lshlrev_b64 v[14:15], 2, v[2:3]
	v_add_co_u32_e32 v20, vcc, s12, v12
	v_addc_co_u32_e32 v21, vcc, v10, v13, vcc
	v_add_co_u32_e32 v18, vcc, s10, v14
	v_addc_co_u32_e32 v19, vcc, v6, v15, vcc
	global_load_dwordx4 v[12:15], v[20:21], off
	global_load_dword v3, v[18:19], off
	v_mov_b32_e32 v17, v5
	v_add_u32_e32 v2, 4, v2
	v_add_u32_e32 v4, 32, v4
	s_waitcnt vmcnt(0)
	v_subrev_u32_e32 v3, s18, v3
	v_lshlrev_b32_e32 v16, 2, v3
	v_lshlrev_b64 v[16:17], 2, v[16:17]
	v_add_co_u32_e32 v16, vcc, s14, v16
	v_addc_co_u32_e32 v17, vcc, v11, v17, vcc
	global_load_dwordx4 v[16:19], v[16:17], off
	v_cmp_ge_i32_e32 vcc, v2, v7
	s_or_b64 s[0:1], vcc, s[0:1]
	s_waitcnt vmcnt(0)
	v_fmac_f32_e32 v8, v12, v16
	v_fmac_f32_e32 v8, v13, v17
	;; [unrolled: 1-line block ×4, first 2 shown]
	global_load_dwordx4 v[12:15], v[20:21], off offset:16
	s_waitcnt vmcnt(0)
	v_fmac_f32_e32 v9, v12, v16
	v_fmac_f32_e32 v9, v13, v17
	;; [unrolled: 1-line block ×4, first 2 shown]
	s_andn2_b64 exec, exec, s[0:1]
	s_cbranch_execnz .LBB10_15
; %bb.16:
	s_or_b64 exec, exec, s[0:1]
.LBB10_17:
	s_or_b64 exec, exec, s[6:7]
.LBB10_18:
	v_mov_b32_dpp v2, v8 row_shr:1 row_mask:0xf bank_mask:0xf
	v_mov_b32_dpp v4, v9 row_shr:1 row_mask:0xf bank_mask:0xf
	v_add_f32_e32 v2, v8, v2
	v_add_f32_e32 v4, v9, v4
	v_cmp_eq_u32_e32 vcc, 3, v0
	v_mov_b32_dpp v3, v2 row_shr:2 row_mask:0xf bank_mask:0xf
	v_mov_b32_dpp v5, v4 row_shr:2 row_mask:0xf bank_mask:0xf
	s_and_b64 exec, exec, vcc
	s_cbranch_execz .LBB10_22
; %bb.19:
	s_load_dwordx2 s[0:1], s[4:5], 0x38
	v_add_f32_e32 v0, v2, v3
	v_add_f32_e32 v3, v4, v5
	v_cmp_eq_f32_e64 s[4:5], s2, 0
	s_and_b64 vcc, exec, s[4:5]
	v_mul_f32_e32 v2, s16, v0
	v_mul_f32_e32 v3, s16, v3
	v_lshlrev_b32_e32 v0, 1, v1
	s_cbranch_vccz .LBB10_23
; %bb.20:
	v_ashrrev_i32_e32 v1, 31, v0
	v_lshlrev_b64 v[4:5], 2, v[0:1]
	s_waitcnt lgkmcnt(0)
	v_mov_b32_e32 v1, s1
	v_add_co_u32_e32 v4, vcc, s0, v4
	v_addc_co_u32_e32 v5, vcc, v1, v5, vcc
	global_store_dwordx2 v[4:5], v[2:3], off
	s_cbranch_execnz .LBB10_22
.LBB10_21:
	v_ashrrev_i32_e32 v1, 31, v0
	v_lshlrev_b64 v[0:1], 2, v[0:1]
	s_waitcnt lgkmcnt(0)
	v_mov_b32_e32 v4, s1
	v_add_co_u32_e32 v0, vcc, s0, v0
	v_addc_co_u32_e32 v1, vcc, v4, v1, vcc
	global_load_dwordx2 v[4:5], v[0:1], off
	s_waitcnt vmcnt(0)
	v_fmac_f32_e32 v2, s2, v4
	v_fmac_f32_e32 v3, s2, v5
	global_store_dwordx2 v[0:1], v[2:3], off
.LBB10_22:
	s_endpgm
.LBB10_23:
	s_branch .LBB10_21
	.section	.rodata,"a",@progbits
	.p2align	6, 0x0
	.amdhsa_kernel _ZN9rocsparseL19gebsrmvn_2xn_kernelILj128ELj4ELj4EfEEvi20rocsparse_direction_NS_24const_host_device_scalarIT2_EEPKiS6_PKS3_S8_S4_PS3_21rocsparse_index_base_b
		.amdhsa_group_segment_fixed_size 0
		.amdhsa_private_segment_fixed_size 0
		.amdhsa_kernarg_size 72
		.amdhsa_user_sgpr_count 6
		.amdhsa_user_sgpr_private_segment_buffer 1
		.amdhsa_user_sgpr_dispatch_ptr 0
		.amdhsa_user_sgpr_queue_ptr 0
		.amdhsa_user_sgpr_kernarg_segment_ptr 1
		.amdhsa_user_sgpr_dispatch_id 0
		.amdhsa_user_sgpr_flat_scratch_init 0
		.amdhsa_user_sgpr_private_segment_size 0
		.amdhsa_uses_dynamic_stack 0
		.amdhsa_system_sgpr_private_segment_wavefront_offset 0
		.amdhsa_system_sgpr_workgroup_id_x 1
		.amdhsa_system_sgpr_workgroup_id_y 0
		.amdhsa_system_sgpr_workgroup_id_z 0
		.amdhsa_system_sgpr_workgroup_info 0
		.amdhsa_system_vgpr_workitem_id 0
		.amdhsa_next_free_vgpr 23
		.amdhsa_next_free_sgpr 20
		.amdhsa_reserve_vcc 1
		.amdhsa_reserve_flat_scratch 0
		.amdhsa_float_round_mode_32 0
		.amdhsa_float_round_mode_16_64 0
		.amdhsa_float_denorm_mode_32 3
		.amdhsa_float_denorm_mode_16_64 3
		.amdhsa_dx10_clamp 1
		.amdhsa_ieee_mode 1
		.amdhsa_fp16_overflow 0
		.amdhsa_exception_fp_ieee_invalid_op 0
		.amdhsa_exception_fp_denorm_src 0
		.amdhsa_exception_fp_ieee_div_zero 0
		.amdhsa_exception_fp_ieee_overflow 0
		.amdhsa_exception_fp_ieee_underflow 0
		.amdhsa_exception_fp_ieee_inexact 0
		.amdhsa_exception_int_div_zero 0
	.end_amdhsa_kernel
	.section	.text._ZN9rocsparseL19gebsrmvn_2xn_kernelILj128ELj4ELj4EfEEvi20rocsparse_direction_NS_24const_host_device_scalarIT2_EEPKiS6_PKS3_S8_S4_PS3_21rocsparse_index_base_b,"axG",@progbits,_ZN9rocsparseL19gebsrmvn_2xn_kernelILj128ELj4ELj4EfEEvi20rocsparse_direction_NS_24const_host_device_scalarIT2_EEPKiS6_PKS3_S8_S4_PS3_21rocsparse_index_base_b,comdat
.Lfunc_end10:
	.size	_ZN9rocsparseL19gebsrmvn_2xn_kernelILj128ELj4ELj4EfEEvi20rocsparse_direction_NS_24const_host_device_scalarIT2_EEPKiS6_PKS3_S8_S4_PS3_21rocsparse_index_base_b, .Lfunc_end10-_ZN9rocsparseL19gebsrmvn_2xn_kernelILj128ELj4ELj4EfEEvi20rocsparse_direction_NS_24const_host_device_scalarIT2_EEPKiS6_PKS3_S8_S4_PS3_21rocsparse_index_base_b
                                        ; -- End function
	.set _ZN9rocsparseL19gebsrmvn_2xn_kernelILj128ELj4ELj4EfEEvi20rocsparse_direction_NS_24const_host_device_scalarIT2_EEPKiS6_PKS3_S8_S4_PS3_21rocsparse_index_base_b.num_vgpr, 23
	.set _ZN9rocsparseL19gebsrmvn_2xn_kernelILj128ELj4ELj4EfEEvi20rocsparse_direction_NS_24const_host_device_scalarIT2_EEPKiS6_PKS3_S8_S4_PS3_21rocsparse_index_base_b.num_agpr, 0
	.set _ZN9rocsparseL19gebsrmvn_2xn_kernelILj128ELj4ELj4EfEEvi20rocsparse_direction_NS_24const_host_device_scalarIT2_EEPKiS6_PKS3_S8_S4_PS3_21rocsparse_index_base_b.numbered_sgpr, 20
	.set _ZN9rocsparseL19gebsrmvn_2xn_kernelILj128ELj4ELj4EfEEvi20rocsparse_direction_NS_24const_host_device_scalarIT2_EEPKiS6_PKS3_S8_S4_PS3_21rocsparse_index_base_b.num_named_barrier, 0
	.set _ZN9rocsparseL19gebsrmvn_2xn_kernelILj128ELj4ELj4EfEEvi20rocsparse_direction_NS_24const_host_device_scalarIT2_EEPKiS6_PKS3_S8_S4_PS3_21rocsparse_index_base_b.private_seg_size, 0
	.set _ZN9rocsparseL19gebsrmvn_2xn_kernelILj128ELj4ELj4EfEEvi20rocsparse_direction_NS_24const_host_device_scalarIT2_EEPKiS6_PKS3_S8_S4_PS3_21rocsparse_index_base_b.uses_vcc, 1
	.set _ZN9rocsparseL19gebsrmvn_2xn_kernelILj128ELj4ELj4EfEEvi20rocsparse_direction_NS_24const_host_device_scalarIT2_EEPKiS6_PKS3_S8_S4_PS3_21rocsparse_index_base_b.uses_flat_scratch, 0
	.set _ZN9rocsparseL19gebsrmvn_2xn_kernelILj128ELj4ELj4EfEEvi20rocsparse_direction_NS_24const_host_device_scalarIT2_EEPKiS6_PKS3_S8_S4_PS3_21rocsparse_index_base_b.has_dyn_sized_stack, 0
	.set _ZN9rocsparseL19gebsrmvn_2xn_kernelILj128ELj4ELj4EfEEvi20rocsparse_direction_NS_24const_host_device_scalarIT2_EEPKiS6_PKS3_S8_S4_PS3_21rocsparse_index_base_b.has_recursion, 0
	.set _ZN9rocsparseL19gebsrmvn_2xn_kernelILj128ELj4ELj4EfEEvi20rocsparse_direction_NS_24const_host_device_scalarIT2_EEPKiS6_PKS3_S8_S4_PS3_21rocsparse_index_base_b.has_indirect_call, 0
	.section	.AMDGPU.csdata,"",@progbits
; Kernel info:
; codeLenInByte = 872
; TotalNumSgprs: 24
; NumVgprs: 23
; ScratchSize: 0
; MemoryBound: 0
; FloatMode: 240
; IeeeMode: 1
; LDSByteSize: 0 bytes/workgroup (compile time only)
; SGPRBlocks: 2
; VGPRBlocks: 5
; NumSGPRsForWavesPerEU: 24
; NumVGPRsForWavesPerEU: 23
; Occupancy: 10
; WaveLimiterHint : 1
; COMPUTE_PGM_RSRC2:SCRATCH_EN: 0
; COMPUTE_PGM_RSRC2:USER_SGPR: 6
; COMPUTE_PGM_RSRC2:TRAP_HANDLER: 0
; COMPUTE_PGM_RSRC2:TGID_X_EN: 1
; COMPUTE_PGM_RSRC2:TGID_Y_EN: 0
; COMPUTE_PGM_RSRC2:TGID_Z_EN: 0
; COMPUTE_PGM_RSRC2:TIDIG_COMP_CNT: 0
	.section	.text._ZN9rocsparseL19gebsrmvn_2xn_kernelILj128ELj4ELj8EfEEvi20rocsparse_direction_NS_24const_host_device_scalarIT2_EEPKiS6_PKS3_S8_S4_PS3_21rocsparse_index_base_b,"axG",@progbits,_ZN9rocsparseL19gebsrmvn_2xn_kernelILj128ELj4ELj8EfEEvi20rocsparse_direction_NS_24const_host_device_scalarIT2_EEPKiS6_PKS3_S8_S4_PS3_21rocsparse_index_base_b,comdat
	.globl	_ZN9rocsparseL19gebsrmvn_2xn_kernelILj128ELj4ELj8EfEEvi20rocsparse_direction_NS_24const_host_device_scalarIT2_EEPKiS6_PKS3_S8_S4_PS3_21rocsparse_index_base_b ; -- Begin function _ZN9rocsparseL19gebsrmvn_2xn_kernelILj128ELj4ELj8EfEEvi20rocsparse_direction_NS_24const_host_device_scalarIT2_EEPKiS6_PKS3_S8_S4_PS3_21rocsparse_index_base_b
	.p2align	8
	.type	_ZN9rocsparseL19gebsrmvn_2xn_kernelILj128ELj4ELj8EfEEvi20rocsparse_direction_NS_24const_host_device_scalarIT2_EEPKiS6_PKS3_S8_S4_PS3_21rocsparse_index_base_b,@function
_ZN9rocsparseL19gebsrmvn_2xn_kernelILj128ELj4ELj8EfEEvi20rocsparse_direction_NS_24const_host_device_scalarIT2_EEPKiS6_PKS3_S8_S4_PS3_21rocsparse_index_base_b: ; @_ZN9rocsparseL19gebsrmvn_2xn_kernelILj128ELj4ELj8EfEEvi20rocsparse_direction_NS_24const_host_device_scalarIT2_EEPKiS6_PKS3_S8_S4_PS3_21rocsparse_index_base_b
; %bb.0:
	s_load_dwordx2 s[18:19], s[4:5], 0x40
	s_load_dwordx2 s[16:17], s[4:5], 0x8
	;; [unrolled: 1-line block ×3, first 2 shown]
	s_waitcnt lgkmcnt(0)
	s_bitcmp1_b32 s19, 0
	s_cselect_b64 s[8:9], -1, 0
	s_xor_b64 s[0:1], s[8:9], -1
	s_and_b64 vcc, exec, s[8:9]
	s_cbranch_vccnz .LBB11_2
; %bb.1:
	s_load_dword s16, s[16:17], 0x0
.LBB11_2:
	s_andn2_b64 vcc, exec, s[0:1]
	s_cbranch_vccnz .LBB11_4
; %bb.3:
	s_load_dword s2, s[2:3], 0x0
.LBB11_4:
	s_waitcnt lgkmcnt(0)
	v_cmp_eq_f32_e64 s[0:1], s16, 0
	v_cmp_eq_f32_e64 s[8:9], s2, 1.0
	s_and_b64 s[0:1], s[0:1], s[8:9]
	s_and_b64 vcc, exec, s[0:1]
	s_cbranch_vccnz .LBB11_22
; %bb.5:
	s_load_dwordx2 s[0:1], s[4:5], 0x0
	v_lshrrev_b32_e32 v1, 3, v0
	v_lshl_or_b32 v1, s6, 4, v1
	s_waitcnt lgkmcnt(0)
	v_cmp_gt_i32_e32 vcc, s0, v1
	s_and_saveexec_b64 s[6:7], vcc
	s_cbranch_execz .LBB11_22
; %bb.6:
	s_load_dwordx8 s[8:15], s[4:5], 0x10
	v_ashrrev_i32_e32 v2, 31, v1
	v_lshlrev_b64 v[2:3], 2, v[1:2]
	v_and_b32_e32 v0, 7, v0
	s_cmp_lg_u32 s1, 0
	s_waitcnt lgkmcnt(0)
	v_mov_b32_e32 v4, s9
	v_add_co_u32_e32 v2, vcc, s8, v2
	v_addc_co_u32_e32 v3, vcc, v4, v3, vcc
	global_load_dwordx2 v[2:3], v[2:3], off
	s_waitcnt vmcnt(0)
	v_subrev_u32_e32 v2, s18, v2
	v_subrev_u32_e32 v7, s18, v3
	v_add_u32_e32 v2, v2, v0
	v_cmp_lt_i32_e64 s[0:1], v2, v7
	s_cbranch_scc0 .LBB11_12
; %bb.7:
	v_mov_b32_e32 v8, 0
	v_mov_b32_e32 v9, 0
	s_and_saveexec_b64 s[6:7], s[0:1]
	s_cbranch_execz .LBB11_11
; %bb.8:
	v_mov_b32_e32 v4, 0
	v_lshlrev_b32_e32 v3, 3, v2
	s_mov_b64 s[8:9], 0
	v_mov_b32_e32 v10, s11
	v_mov_b32_e32 v11, s13
	;; [unrolled: 1-line block ×6, first 2 shown]
.LBB11_9:                               ; =>This Inner Loop Header: Depth=1
	v_lshlrev_b64 v[13:14], 2, v[3:4]
	v_ashrrev_i32_e32 v6, 31, v5
	v_lshlrev_b64 v[15:16], 2, v[5:6]
	v_add_co_u32_e32 v21, vcc, s12, v13
	v_addc_co_u32_e32 v22, vcc, v11, v14, vcc
	v_add_co_u32_e32 v19, vcc, s10, v15
	v_addc_co_u32_e32 v20, vcc, v10, v16, vcc
	global_load_dwordx4 v[13:16], v[21:22], off
	global_load_dword v6, v[19:20], off
	v_mov_b32_e32 v18, v4
	v_add_u32_e32 v5, 8, v5
	v_add_u32_e32 v3, 64, v3
	s_waitcnt vmcnt(0)
	v_subrev_u32_e32 v6, s18, v6
	v_lshlrev_b32_e32 v17, 2, v6
	v_lshlrev_b64 v[17:18], 2, v[17:18]
	v_add_co_u32_e32 v17, vcc, s14, v17
	v_addc_co_u32_e32 v18, vcc, v12, v18, vcc
	global_load_dwordx4 v[17:20], v[17:18], off
	v_cmp_ge_i32_e32 vcc, v5, v7
	s_or_b64 s[8:9], vcc, s[8:9]
	s_waitcnt vmcnt(0)
	v_fmac_f32_e32 v8, v13, v17
	v_fmac_f32_e32 v9, v14, v17
	;; [unrolled: 1-line block ×4, first 2 shown]
	global_load_dwordx4 v[13:16], v[21:22], off offset:16
	s_waitcnt vmcnt(0)
	v_fmac_f32_e32 v8, v13, v19
	v_fmac_f32_e32 v9, v14, v19
	;; [unrolled: 1-line block ×4, first 2 shown]
	s_andn2_b64 exec, exec, s[8:9]
	s_cbranch_execnz .LBB11_9
; %bb.10:
	s_or_b64 exec, exec, s[8:9]
.LBB11_11:
	s_or_b64 exec, exec, s[6:7]
	s_cbranch_execz .LBB11_13
	s_branch .LBB11_18
.LBB11_12:
                                        ; implicit-def: $vgpr8
                                        ; implicit-def: $vgpr9
.LBB11_13:
	v_mov_b32_e32 v8, 0
	v_mov_b32_e32 v9, 0
	s_and_saveexec_b64 s[6:7], s[0:1]
	s_cbranch_execz .LBB11_17
; %bb.14:
	v_mov_b32_e32 v5, 0
	v_lshlrev_b32_e32 v4, 3, v2
	s_mov_b64 s[0:1], 0
	v_mov_b32_e32 v6, s11
	v_mov_b32_e32 v10, s13
	;; [unrolled: 1-line block ×5, first 2 shown]
.LBB11_15:                              ; =>This Inner Loop Header: Depth=1
	v_lshlrev_b64 v[12:13], 2, v[4:5]
	v_ashrrev_i32_e32 v3, 31, v2
	v_lshlrev_b64 v[14:15], 2, v[2:3]
	v_add_co_u32_e32 v20, vcc, s12, v12
	v_addc_co_u32_e32 v21, vcc, v10, v13, vcc
	v_add_co_u32_e32 v18, vcc, s10, v14
	v_addc_co_u32_e32 v19, vcc, v6, v15, vcc
	global_load_dwordx4 v[12:15], v[20:21], off
	global_load_dword v3, v[18:19], off
	v_mov_b32_e32 v17, v5
	v_add_u32_e32 v2, 8, v2
	v_add_u32_e32 v4, 64, v4
	s_waitcnt vmcnt(0)
	v_subrev_u32_e32 v3, s18, v3
	v_lshlrev_b32_e32 v16, 2, v3
	v_lshlrev_b64 v[16:17], 2, v[16:17]
	v_add_co_u32_e32 v16, vcc, s14, v16
	v_addc_co_u32_e32 v17, vcc, v11, v17, vcc
	global_load_dwordx4 v[16:19], v[16:17], off
	v_cmp_ge_i32_e32 vcc, v2, v7
	s_or_b64 s[0:1], vcc, s[0:1]
	s_waitcnt vmcnt(0)
	v_fmac_f32_e32 v8, v12, v16
	v_fmac_f32_e32 v8, v13, v17
	;; [unrolled: 1-line block ×4, first 2 shown]
	global_load_dwordx4 v[12:15], v[20:21], off offset:16
	s_waitcnt vmcnt(0)
	v_fmac_f32_e32 v9, v12, v16
	v_fmac_f32_e32 v9, v13, v17
	;; [unrolled: 1-line block ×4, first 2 shown]
	s_andn2_b64 exec, exec, s[0:1]
	s_cbranch_execnz .LBB11_15
; %bb.16:
	s_or_b64 exec, exec, s[0:1]
.LBB11_17:
	s_or_b64 exec, exec, s[6:7]
.LBB11_18:
	v_mov_b32_dpp v2, v8 row_shr:1 row_mask:0xf bank_mask:0xf
	v_mov_b32_dpp v4, v9 row_shr:1 row_mask:0xf bank_mask:0xf
	v_add_f32_e32 v2, v8, v2
	v_add_f32_e32 v4, v9, v4
	v_cmp_eq_u32_e32 vcc, 7, v0
	v_mov_b32_dpp v3, v2 row_shr:2 row_mask:0xf bank_mask:0xf
	v_mov_b32_dpp v5, v4 row_shr:2 row_mask:0xf bank_mask:0xf
	v_add_f32_e32 v2, v2, v3
	v_add_f32_e32 v4, v4, v5
	s_nop 0
	v_mov_b32_dpp v3, v2 row_shr:4 row_mask:0xf bank_mask:0xe
	v_mov_b32_dpp v5, v4 row_shr:4 row_mask:0xf bank_mask:0xe
	s_and_b64 exec, exec, vcc
	s_cbranch_execz .LBB11_22
; %bb.19:
	s_load_dwordx2 s[0:1], s[4:5], 0x38
	v_add_f32_e32 v0, v2, v3
	v_add_f32_e32 v3, v4, v5
	v_cmp_eq_f32_e64 s[4:5], s2, 0
	s_and_b64 vcc, exec, s[4:5]
	v_mul_f32_e32 v2, s16, v0
	v_mul_f32_e32 v3, s16, v3
	v_lshlrev_b32_e32 v0, 1, v1
	s_cbranch_vccz .LBB11_23
; %bb.20:
	v_ashrrev_i32_e32 v1, 31, v0
	v_lshlrev_b64 v[4:5], 2, v[0:1]
	s_waitcnt lgkmcnt(0)
	v_mov_b32_e32 v1, s1
	v_add_co_u32_e32 v4, vcc, s0, v4
	v_addc_co_u32_e32 v5, vcc, v1, v5, vcc
	global_store_dwordx2 v[4:5], v[2:3], off
	s_cbranch_execnz .LBB11_22
.LBB11_21:
	v_ashrrev_i32_e32 v1, 31, v0
	v_lshlrev_b64 v[0:1], 2, v[0:1]
	s_waitcnt lgkmcnt(0)
	v_mov_b32_e32 v4, s1
	v_add_co_u32_e32 v0, vcc, s0, v0
	v_addc_co_u32_e32 v1, vcc, v4, v1, vcc
	global_load_dwordx2 v[4:5], v[0:1], off
	s_waitcnt vmcnt(0)
	v_fmac_f32_e32 v2, s2, v4
	v_fmac_f32_e32 v3, s2, v5
	global_store_dwordx2 v[0:1], v[2:3], off
.LBB11_22:
	s_endpgm
.LBB11_23:
	s_branch .LBB11_21
	.section	.rodata,"a",@progbits
	.p2align	6, 0x0
	.amdhsa_kernel _ZN9rocsparseL19gebsrmvn_2xn_kernelILj128ELj4ELj8EfEEvi20rocsparse_direction_NS_24const_host_device_scalarIT2_EEPKiS6_PKS3_S8_S4_PS3_21rocsparse_index_base_b
		.amdhsa_group_segment_fixed_size 0
		.amdhsa_private_segment_fixed_size 0
		.amdhsa_kernarg_size 72
		.amdhsa_user_sgpr_count 6
		.amdhsa_user_sgpr_private_segment_buffer 1
		.amdhsa_user_sgpr_dispatch_ptr 0
		.amdhsa_user_sgpr_queue_ptr 0
		.amdhsa_user_sgpr_kernarg_segment_ptr 1
		.amdhsa_user_sgpr_dispatch_id 0
		.amdhsa_user_sgpr_flat_scratch_init 0
		.amdhsa_user_sgpr_private_segment_size 0
		.amdhsa_uses_dynamic_stack 0
		.amdhsa_system_sgpr_private_segment_wavefront_offset 0
		.amdhsa_system_sgpr_workgroup_id_x 1
		.amdhsa_system_sgpr_workgroup_id_y 0
		.amdhsa_system_sgpr_workgroup_id_z 0
		.amdhsa_system_sgpr_workgroup_info 0
		.amdhsa_system_vgpr_workitem_id 0
		.amdhsa_next_free_vgpr 23
		.amdhsa_next_free_sgpr 20
		.amdhsa_reserve_vcc 1
		.amdhsa_reserve_flat_scratch 0
		.amdhsa_float_round_mode_32 0
		.amdhsa_float_round_mode_16_64 0
		.amdhsa_float_denorm_mode_32 3
		.amdhsa_float_denorm_mode_16_64 3
		.amdhsa_dx10_clamp 1
		.amdhsa_ieee_mode 1
		.amdhsa_fp16_overflow 0
		.amdhsa_exception_fp_ieee_invalid_op 0
		.amdhsa_exception_fp_denorm_src 0
		.amdhsa_exception_fp_ieee_div_zero 0
		.amdhsa_exception_fp_ieee_overflow 0
		.amdhsa_exception_fp_ieee_underflow 0
		.amdhsa_exception_fp_ieee_inexact 0
		.amdhsa_exception_int_div_zero 0
	.end_amdhsa_kernel
	.section	.text._ZN9rocsparseL19gebsrmvn_2xn_kernelILj128ELj4ELj8EfEEvi20rocsparse_direction_NS_24const_host_device_scalarIT2_EEPKiS6_PKS3_S8_S4_PS3_21rocsparse_index_base_b,"axG",@progbits,_ZN9rocsparseL19gebsrmvn_2xn_kernelILj128ELj4ELj8EfEEvi20rocsparse_direction_NS_24const_host_device_scalarIT2_EEPKiS6_PKS3_S8_S4_PS3_21rocsparse_index_base_b,comdat
.Lfunc_end11:
	.size	_ZN9rocsparseL19gebsrmvn_2xn_kernelILj128ELj4ELj8EfEEvi20rocsparse_direction_NS_24const_host_device_scalarIT2_EEPKiS6_PKS3_S8_S4_PS3_21rocsparse_index_base_b, .Lfunc_end11-_ZN9rocsparseL19gebsrmvn_2xn_kernelILj128ELj4ELj8EfEEvi20rocsparse_direction_NS_24const_host_device_scalarIT2_EEPKiS6_PKS3_S8_S4_PS3_21rocsparse_index_base_b
                                        ; -- End function
	.set _ZN9rocsparseL19gebsrmvn_2xn_kernelILj128ELj4ELj8EfEEvi20rocsparse_direction_NS_24const_host_device_scalarIT2_EEPKiS6_PKS3_S8_S4_PS3_21rocsparse_index_base_b.num_vgpr, 23
	.set _ZN9rocsparseL19gebsrmvn_2xn_kernelILj128ELj4ELj8EfEEvi20rocsparse_direction_NS_24const_host_device_scalarIT2_EEPKiS6_PKS3_S8_S4_PS3_21rocsparse_index_base_b.num_agpr, 0
	.set _ZN9rocsparseL19gebsrmvn_2xn_kernelILj128ELj4ELj8EfEEvi20rocsparse_direction_NS_24const_host_device_scalarIT2_EEPKiS6_PKS3_S8_S4_PS3_21rocsparse_index_base_b.numbered_sgpr, 20
	.set _ZN9rocsparseL19gebsrmvn_2xn_kernelILj128ELj4ELj8EfEEvi20rocsparse_direction_NS_24const_host_device_scalarIT2_EEPKiS6_PKS3_S8_S4_PS3_21rocsparse_index_base_b.num_named_barrier, 0
	.set _ZN9rocsparseL19gebsrmvn_2xn_kernelILj128ELj4ELj8EfEEvi20rocsparse_direction_NS_24const_host_device_scalarIT2_EEPKiS6_PKS3_S8_S4_PS3_21rocsparse_index_base_b.private_seg_size, 0
	.set _ZN9rocsparseL19gebsrmvn_2xn_kernelILj128ELj4ELj8EfEEvi20rocsparse_direction_NS_24const_host_device_scalarIT2_EEPKiS6_PKS3_S8_S4_PS3_21rocsparse_index_base_b.uses_vcc, 1
	.set _ZN9rocsparseL19gebsrmvn_2xn_kernelILj128ELj4ELj8EfEEvi20rocsparse_direction_NS_24const_host_device_scalarIT2_EEPKiS6_PKS3_S8_S4_PS3_21rocsparse_index_base_b.uses_flat_scratch, 0
	.set _ZN9rocsparseL19gebsrmvn_2xn_kernelILj128ELj4ELj8EfEEvi20rocsparse_direction_NS_24const_host_device_scalarIT2_EEPKiS6_PKS3_S8_S4_PS3_21rocsparse_index_base_b.has_dyn_sized_stack, 0
	.set _ZN9rocsparseL19gebsrmvn_2xn_kernelILj128ELj4ELj8EfEEvi20rocsparse_direction_NS_24const_host_device_scalarIT2_EEPKiS6_PKS3_S8_S4_PS3_21rocsparse_index_base_b.has_recursion, 0
	.set _ZN9rocsparseL19gebsrmvn_2xn_kernelILj128ELj4ELj8EfEEvi20rocsparse_direction_NS_24const_host_device_scalarIT2_EEPKiS6_PKS3_S8_S4_PS3_21rocsparse_index_base_b.has_indirect_call, 0
	.section	.AMDGPU.csdata,"",@progbits
; Kernel info:
; codeLenInByte = 900
; TotalNumSgprs: 24
; NumVgprs: 23
; ScratchSize: 0
; MemoryBound: 0
; FloatMode: 240
; IeeeMode: 1
; LDSByteSize: 0 bytes/workgroup (compile time only)
; SGPRBlocks: 2
; VGPRBlocks: 5
; NumSGPRsForWavesPerEU: 24
; NumVGPRsForWavesPerEU: 23
; Occupancy: 10
; WaveLimiterHint : 1
; COMPUTE_PGM_RSRC2:SCRATCH_EN: 0
; COMPUTE_PGM_RSRC2:USER_SGPR: 6
; COMPUTE_PGM_RSRC2:TRAP_HANDLER: 0
; COMPUTE_PGM_RSRC2:TGID_X_EN: 1
; COMPUTE_PGM_RSRC2:TGID_Y_EN: 0
; COMPUTE_PGM_RSRC2:TGID_Z_EN: 0
; COMPUTE_PGM_RSRC2:TIDIG_COMP_CNT: 0
	.section	.text._ZN9rocsparseL19gebsrmvn_2xn_kernelILj128ELj4ELj16EfEEvi20rocsparse_direction_NS_24const_host_device_scalarIT2_EEPKiS6_PKS3_S8_S4_PS3_21rocsparse_index_base_b,"axG",@progbits,_ZN9rocsparseL19gebsrmvn_2xn_kernelILj128ELj4ELj16EfEEvi20rocsparse_direction_NS_24const_host_device_scalarIT2_EEPKiS6_PKS3_S8_S4_PS3_21rocsparse_index_base_b,comdat
	.globl	_ZN9rocsparseL19gebsrmvn_2xn_kernelILj128ELj4ELj16EfEEvi20rocsparse_direction_NS_24const_host_device_scalarIT2_EEPKiS6_PKS3_S8_S4_PS3_21rocsparse_index_base_b ; -- Begin function _ZN9rocsparseL19gebsrmvn_2xn_kernelILj128ELj4ELj16EfEEvi20rocsparse_direction_NS_24const_host_device_scalarIT2_EEPKiS6_PKS3_S8_S4_PS3_21rocsparse_index_base_b
	.p2align	8
	.type	_ZN9rocsparseL19gebsrmvn_2xn_kernelILj128ELj4ELj16EfEEvi20rocsparse_direction_NS_24const_host_device_scalarIT2_EEPKiS6_PKS3_S8_S4_PS3_21rocsparse_index_base_b,@function
_ZN9rocsparseL19gebsrmvn_2xn_kernelILj128ELj4ELj16EfEEvi20rocsparse_direction_NS_24const_host_device_scalarIT2_EEPKiS6_PKS3_S8_S4_PS3_21rocsparse_index_base_b: ; @_ZN9rocsparseL19gebsrmvn_2xn_kernelILj128ELj4ELj16EfEEvi20rocsparse_direction_NS_24const_host_device_scalarIT2_EEPKiS6_PKS3_S8_S4_PS3_21rocsparse_index_base_b
; %bb.0:
	s_load_dwordx2 s[18:19], s[4:5], 0x40
	s_load_dwordx2 s[16:17], s[4:5], 0x8
	;; [unrolled: 1-line block ×3, first 2 shown]
	s_waitcnt lgkmcnt(0)
	s_bitcmp1_b32 s19, 0
	s_cselect_b64 s[8:9], -1, 0
	s_xor_b64 s[0:1], s[8:9], -1
	s_and_b64 vcc, exec, s[8:9]
	s_cbranch_vccnz .LBB12_2
; %bb.1:
	s_load_dword s16, s[16:17], 0x0
.LBB12_2:
	s_andn2_b64 vcc, exec, s[0:1]
	s_cbranch_vccnz .LBB12_4
; %bb.3:
	s_load_dword s2, s[2:3], 0x0
.LBB12_4:
	s_waitcnt lgkmcnt(0)
	v_cmp_eq_f32_e64 s[0:1], s16, 0
	v_cmp_eq_f32_e64 s[8:9], s2, 1.0
	s_and_b64 s[0:1], s[0:1], s[8:9]
	s_and_b64 vcc, exec, s[0:1]
	s_cbranch_vccnz .LBB12_22
; %bb.5:
	s_load_dwordx2 s[0:1], s[4:5], 0x0
	v_lshrrev_b32_e32 v1, 4, v0
	v_lshl_or_b32 v1, s6, 3, v1
	s_waitcnt lgkmcnt(0)
	v_cmp_gt_i32_e32 vcc, s0, v1
	s_and_saveexec_b64 s[6:7], vcc
	s_cbranch_execz .LBB12_22
; %bb.6:
	s_load_dwordx8 s[8:15], s[4:5], 0x10
	v_ashrrev_i32_e32 v2, 31, v1
	v_lshlrev_b64 v[2:3], 2, v[1:2]
	v_and_b32_e32 v0, 15, v0
	s_cmp_lg_u32 s1, 0
	s_waitcnt lgkmcnt(0)
	v_mov_b32_e32 v4, s9
	v_add_co_u32_e32 v2, vcc, s8, v2
	v_addc_co_u32_e32 v3, vcc, v4, v3, vcc
	global_load_dwordx2 v[2:3], v[2:3], off
	s_waitcnt vmcnt(0)
	v_subrev_u32_e32 v2, s18, v2
	v_subrev_u32_e32 v7, s18, v3
	v_add_u32_e32 v2, v2, v0
	v_cmp_lt_i32_e64 s[0:1], v2, v7
	s_cbranch_scc0 .LBB12_12
; %bb.7:
	v_mov_b32_e32 v8, 0
	v_mov_b32_e32 v9, 0
	s_and_saveexec_b64 s[6:7], s[0:1]
	s_cbranch_execz .LBB12_11
; %bb.8:
	v_mov_b32_e32 v4, 0
	v_lshlrev_b32_e32 v3, 3, v2
	s_mov_b64 s[8:9], 0
	v_mov_b32_e32 v10, s11
	v_mov_b32_e32 v11, s13
	;; [unrolled: 1-line block ×6, first 2 shown]
.LBB12_9:                               ; =>This Inner Loop Header: Depth=1
	v_lshlrev_b64 v[13:14], 2, v[3:4]
	v_ashrrev_i32_e32 v6, 31, v5
	v_lshlrev_b64 v[15:16], 2, v[5:6]
	v_add_co_u32_e32 v21, vcc, s12, v13
	v_addc_co_u32_e32 v22, vcc, v11, v14, vcc
	v_add_co_u32_e32 v19, vcc, s10, v15
	v_addc_co_u32_e32 v20, vcc, v10, v16, vcc
	global_load_dwordx4 v[13:16], v[21:22], off
	global_load_dword v6, v[19:20], off
	v_mov_b32_e32 v18, v4
	v_add_u32_e32 v5, 16, v5
	v_add_u32_e32 v3, 0x80, v3
	s_waitcnt vmcnt(0)
	v_subrev_u32_e32 v6, s18, v6
	v_lshlrev_b32_e32 v17, 2, v6
	v_lshlrev_b64 v[17:18], 2, v[17:18]
	v_add_co_u32_e32 v17, vcc, s14, v17
	v_addc_co_u32_e32 v18, vcc, v12, v18, vcc
	global_load_dwordx4 v[17:20], v[17:18], off
	v_cmp_ge_i32_e32 vcc, v5, v7
	s_or_b64 s[8:9], vcc, s[8:9]
	s_waitcnt vmcnt(0)
	v_fmac_f32_e32 v8, v13, v17
	v_fmac_f32_e32 v9, v14, v17
	;; [unrolled: 1-line block ×4, first 2 shown]
	global_load_dwordx4 v[13:16], v[21:22], off offset:16
	s_waitcnt vmcnt(0)
	v_fmac_f32_e32 v8, v13, v19
	v_fmac_f32_e32 v9, v14, v19
	;; [unrolled: 1-line block ×4, first 2 shown]
	s_andn2_b64 exec, exec, s[8:9]
	s_cbranch_execnz .LBB12_9
; %bb.10:
	s_or_b64 exec, exec, s[8:9]
.LBB12_11:
	s_or_b64 exec, exec, s[6:7]
	s_cbranch_execz .LBB12_13
	s_branch .LBB12_18
.LBB12_12:
                                        ; implicit-def: $vgpr8
                                        ; implicit-def: $vgpr9
.LBB12_13:
	v_mov_b32_e32 v8, 0
	v_mov_b32_e32 v9, 0
	s_and_saveexec_b64 s[6:7], s[0:1]
	s_cbranch_execz .LBB12_17
; %bb.14:
	v_mov_b32_e32 v5, 0
	v_lshlrev_b32_e32 v4, 3, v2
	s_mov_b64 s[0:1], 0
	v_mov_b32_e32 v6, s11
	v_mov_b32_e32 v10, s13
	;; [unrolled: 1-line block ×5, first 2 shown]
.LBB12_15:                              ; =>This Inner Loop Header: Depth=1
	v_lshlrev_b64 v[12:13], 2, v[4:5]
	v_ashrrev_i32_e32 v3, 31, v2
	v_lshlrev_b64 v[14:15], 2, v[2:3]
	v_add_co_u32_e32 v20, vcc, s12, v12
	v_addc_co_u32_e32 v21, vcc, v10, v13, vcc
	v_add_co_u32_e32 v18, vcc, s10, v14
	v_addc_co_u32_e32 v19, vcc, v6, v15, vcc
	global_load_dwordx4 v[12:15], v[20:21], off
	global_load_dword v3, v[18:19], off
	v_mov_b32_e32 v17, v5
	v_add_u32_e32 v2, 16, v2
	v_add_u32_e32 v4, 0x80, v4
	s_waitcnt vmcnt(0)
	v_subrev_u32_e32 v3, s18, v3
	v_lshlrev_b32_e32 v16, 2, v3
	v_lshlrev_b64 v[16:17], 2, v[16:17]
	v_add_co_u32_e32 v16, vcc, s14, v16
	v_addc_co_u32_e32 v17, vcc, v11, v17, vcc
	global_load_dwordx4 v[16:19], v[16:17], off
	v_cmp_ge_i32_e32 vcc, v2, v7
	s_or_b64 s[0:1], vcc, s[0:1]
	s_waitcnt vmcnt(0)
	v_fmac_f32_e32 v8, v12, v16
	v_fmac_f32_e32 v8, v13, v17
	;; [unrolled: 1-line block ×4, first 2 shown]
	global_load_dwordx4 v[12:15], v[20:21], off offset:16
	s_waitcnt vmcnt(0)
	v_fmac_f32_e32 v9, v12, v16
	v_fmac_f32_e32 v9, v13, v17
	;; [unrolled: 1-line block ×4, first 2 shown]
	s_andn2_b64 exec, exec, s[0:1]
	s_cbranch_execnz .LBB12_15
; %bb.16:
	s_or_b64 exec, exec, s[0:1]
.LBB12_17:
	s_or_b64 exec, exec, s[6:7]
.LBB12_18:
	v_mov_b32_dpp v2, v8 row_shr:1 row_mask:0xf bank_mask:0xf
	v_mov_b32_dpp v4, v9 row_shr:1 row_mask:0xf bank_mask:0xf
	v_add_f32_e32 v2, v8, v2
	v_add_f32_e32 v4, v9, v4
	v_cmp_eq_u32_e32 vcc, 15, v0
	v_mov_b32_dpp v3, v2 row_shr:2 row_mask:0xf bank_mask:0xf
	v_mov_b32_dpp v5, v4 row_shr:2 row_mask:0xf bank_mask:0xf
	v_add_f32_e32 v2, v2, v3
	v_add_f32_e32 v4, v4, v5
	s_nop 0
	v_mov_b32_dpp v3, v2 row_shr:4 row_mask:0xf bank_mask:0xe
	v_mov_b32_dpp v5, v4 row_shr:4 row_mask:0xf bank_mask:0xe
	v_add_f32_e32 v2, v2, v3
	v_add_f32_e32 v4, v4, v5
	s_nop 0
	v_mov_b32_dpp v3, v2 row_shr:8 row_mask:0xf bank_mask:0xc
	v_mov_b32_dpp v5, v4 row_shr:8 row_mask:0xf bank_mask:0xc
	s_and_b64 exec, exec, vcc
	s_cbranch_execz .LBB12_22
; %bb.19:
	s_load_dwordx2 s[0:1], s[4:5], 0x38
	v_add_f32_e32 v0, v2, v3
	v_add_f32_e32 v3, v4, v5
	v_cmp_eq_f32_e64 s[4:5], s2, 0
	s_and_b64 vcc, exec, s[4:5]
	v_mul_f32_e32 v2, s16, v0
	v_mul_f32_e32 v3, s16, v3
	v_lshlrev_b32_e32 v0, 1, v1
	s_cbranch_vccz .LBB12_23
; %bb.20:
	v_ashrrev_i32_e32 v1, 31, v0
	v_lshlrev_b64 v[4:5], 2, v[0:1]
	s_waitcnt lgkmcnt(0)
	v_mov_b32_e32 v1, s1
	v_add_co_u32_e32 v4, vcc, s0, v4
	v_addc_co_u32_e32 v5, vcc, v1, v5, vcc
	global_store_dwordx2 v[4:5], v[2:3], off
	s_cbranch_execnz .LBB12_22
.LBB12_21:
	v_ashrrev_i32_e32 v1, 31, v0
	v_lshlrev_b64 v[0:1], 2, v[0:1]
	s_waitcnt lgkmcnt(0)
	v_mov_b32_e32 v4, s1
	v_add_co_u32_e32 v0, vcc, s0, v0
	v_addc_co_u32_e32 v1, vcc, v4, v1, vcc
	global_load_dwordx2 v[4:5], v[0:1], off
	s_waitcnt vmcnt(0)
	v_fmac_f32_e32 v2, s2, v4
	v_fmac_f32_e32 v3, s2, v5
	global_store_dwordx2 v[0:1], v[2:3], off
.LBB12_22:
	s_endpgm
.LBB12_23:
	s_branch .LBB12_21
	.section	.rodata,"a",@progbits
	.p2align	6, 0x0
	.amdhsa_kernel _ZN9rocsparseL19gebsrmvn_2xn_kernelILj128ELj4ELj16EfEEvi20rocsparse_direction_NS_24const_host_device_scalarIT2_EEPKiS6_PKS3_S8_S4_PS3_21rocsparse_index_base_b
		.amdhsa_group_segment_fixed_size 0
		.amdhsa_private_segment_fixed_size 0
		.amdhsa_kernarg_size 72
		.amdhsa_user_sgpr_count 6
		.amdhsa_user_sgpr_private_segment_buffer 1
		.amdhsa_user_sgpr_dispatch_ptr 0
		.amdhsa_user_sgpr_queue_ptr 0
		.amdhsa_user_sgpr_kernarg_segment_ptr 1
		.amdhsa_user_sgpr_dispatch_id 0
		.amdhsa_user_sgpr_flat_scratch_init 0
		.amdhsa_user_sgpr_private_segment_size 0
		.amdhsa_uses_dynamic_stack 0
		.amdhsa_system_sgpr_private_segment_wavefront_offset 0
		.amdhsa_system_sgpr_workgroup_id_x 1
		.amdhsa_system_sgpr_workgroup_id_y 0
		.amdhsa_system_sgpr_workgroup_id_z 0
		.amdhsa_system_sgpr_workgroup_info 0
		.amdhsa_system_vgpr_workitem_id 0
		.amdhsa_next_free_vgpr 23
		.amdhsa_next_free_sgpr 20
		.amdhsa_reserve_vcc 1
		.amdhsa_reserve_flat_scratch 0
		.amdhsa_float_round_mode_32 0
		.amdhsa_float_round_mode_16_64 0
		.amdhsa_float_denorm_mode_32 3
		.amdhsa_float_denorm_mode_16_64 3
		.amdhsa_dx10_clamp 1
		.amdhsa_ieee_mode 1
		.amdhsa_fp16_overflow 0
		.amdhsa_exception_fp_ieee_invalid_op 0
		.amdhsa_exception_fp_denorm_src 0
		.amdhsa_exception_fp_ieee_div_zero 0
		.amdhsa_exception_fp_ieee_overflow 0
		.amdhsa_exception_fp_ieee_underflow 0
		.amdhsa_exception_fp_ieee_inexact 0
		.amdhsa_exception_int_div_zero 0
	.end_amdhsa_kernel
	.section	.text._ZN9rocsparseL19gebsrmvn_2xn_kernelILj128ELj4ELj16EfEEvi20rocsparse_direction_NS_24const_host_device_scalarIT2_EEPKiS6_PKS3_S8_S4_PS3_21rocsparse_index_base_b,"axG",@progbits,_ZN9rocsparseL19gebsrmvn_2xn_kernelILj128ELj4ELj16EfEEvi20rocsparse_direction_NS_24const_host_device_scalarIT2_EEPKiS6_PKS3_S8_S4_PS3_21rocsparse_index_base_b,comdat
.Lfunc_end12:
	.size	_ZN9rocsparseL19gebsrmvn_2xn_kernelILj128ELj4ELj16EfEEvi20rocsparse_direction_NS_24const_host_device_scalarIT2_EEPKiS6_PKS3_S8_S4_PS3_21rocsparse_index_base_b, .Lfunc_end12-_ZN9rocsparseL19gebsrmvn_2xn_kernelILj128ELj4ELj16EfEEvi20rocsparse_direction_NS_24const_host_device_scalarIT2_EEPKiS6_PKS3_S8_S4_PS3_21rocsparse_index_base_b
                                        ; -- End function
	.set _ZN9rocsparseL19gebsrmvn_2xn_kernelILj128ELj4ELj16EfEEvi20rocsparse_direction_NS_24const_host_device_scalarIT2_EEPKiS6_PKS3_S8_S4_PS3_21rocsparse_index_base_b.num_vgpr, 23
	.set _ZN9rocsparseL19gebsrmvn_2xn_kernelILj128ELj4ELj16EfEEvi20rocsparse_direction_NS_24const_host_device_scalarIT2_EEPKiS6_PKS3_S8_S4_PS3_21rocsparse_index_base_b.num_agpr, 0
	.set _ZN9rocsparseL19gebsrmvn_2xn_kernelILj128ELj4ELj16EfEEvi20rocsparse_direction_NS_24const_host_device_scalarIT2_EEPKiS6_PKS3_S8_S4_PS3_21rocsparse_index_base_b.numbered_sgpr, 20
	.set _ZN9rocsparseL19gebsrmvn_2xn_kernelILj128ELj4ELj16EfEEvi20rocsparse_direction_NS_24const_host_device_scalarIT2_EEPKiS6_PKS3_S8_S4_PS3_21rocsparse_index_base_b.num_named_barrier, 0
	.set _ZN9rocsparseL19gebsrmvn_2xn_kernelILj128ELj4ELj16EfEEvi20rocsparse_direction_NS_24const_host_device_scalarIT2_EEPKiS6_PKS3_S8_S4_PS3_21rocsparse_index_base_b.private_seg_size, 0
	.set _ZN9rocsparseL19gebsrmvn_2xn_kernelILj128ELj4ELj16EfEEvi20rocsparse_direction_NS_24const_host_device_scalarIT2_EEPKiS6_PKS3_S8_S4_PS3_21rocsparse_index_base_b.uses_vcc, 1
	.set _ZN9rocsparseL19gebsrmvn_2xn_kernelILj128ELj4ELj16EfEEvi20rocsparse_direction_NS_24const_host_device_scalarIT2_EEPKiS6_PKS3_S8_S4_PS3_21rocsparse_index_base_b.uses_flat_scratch, 0
	.set _ZN9rocsparseL19gebsrmvn_2xn_kernelILj128ELj4ELj16EfEEvi20rocsparse_direction_NS_24const_host_device_scalarIT2_EEPKiS6_PKS3_S8_S4_PS3_21rocsparse_index_base_b.has_dyn_sized_stack, 0
	.set _ZN9rocsparseL19gebsrmvn_2xn_kernelILj128ELj4ELj16EfEEvi20rocsparse_direction_NS_24const_host_device_scalarIT2_EEPKiS6_PKS3_S8_S4_PS3_21rocsparse_index_base_b.has_recursion, 0
	.set _ZN9rocsparseL19gebsrmvn_2xn_kernelILj128ELj4ELj16EfEEvi20rocsparse_direction_NS_24const_host_device_scalarIT2_EEPKiS6_PKS3_S8_S4_PS3_21rocsparse_index_base_b.has_indirect_call, 0
	.section	.AMDGPU.csdata,"",@progbits
; Kernel info:
; codeLenInByte = 936
; TotalNumSgprs: 24
; NumVgprs: 23
; ScratchSize: 0
; MemoryBound: 0
; FloatMode: 240
; IeeeMode: 1
; LDSByteSize: 0 bytes/workgroup (compile time only)
; SGPRBlocks: 2
; VGPRBlocks: 5
; NumSGPRsForWavesPerEU: 24
; NumVGPRsForWavesPerEU: 23
; Occupancy: 10
; WaveLimiterHint : 1
; COMPUTE_PGM_RSRC2:SCRATCH_EN: 0
; COMPUTE_PGM_RSRC2:USER_SGPR: 6
; COMPUTE_PGM_RSRC2:TRAP_HANDLER: 0
; COMPUTE_PGM_RSRC2:TGID_X_EN: 1
; COMPUTE_PGM_RSRC2:TGID_Y_EN: 0
; COMPUTE_PGM_RSRC2:TGID_Z_EN: 0
; COMPUTE_PGM_RSRC2:TIDIG_COMP_CNT: 0
	.section	.text._ZN9rocsparseL19gebsrmvn_2xn_kernelILj128ELj4ELj32EfEEvi20rocsparse_direction_NS_24const_host_device_scalarIT2_EEPKiS6_PKS3_S8_S4_PS3_21rocsparse_index_base_b,"axG",@progbits,_ZN9rocsparseL19gebsrmvn_2xn_kernelILj128ELj4ELj32EfEEvi20rocsparse_direction_NS_24const_host_device_scalarIT2_EEPKiS6_PKS3_S8_S4_PS3_21rocsparse_index_base_b,comdat
	.globl	_ZN9rocsparseL19gebsrmvn_2xn_kernelILj128ELj4ELj32EfEEvi20rocsparse_direction_NS_24const_host_device_scalarIT2_EEPKiS6_PKS3_S8_S4_PS3_21rocsparse_index_base_b ; -- Begin function _ZN9rocsparseL19gebsrmvn_2xn_kernelILj128ELj4ELj32EfEEvi20rocsparse_direction_NS_24const_host_device_scalarIT2_EEPKiS6_PKS3_S8_S4_PS3_21rocsparse_index_base_b
	.p2align	8
	.type	_ZN9rocsparseL19gebsrmvn_2xn_kernelILj128ELj4ELj32EfEEvi20rocsparse_direction_NS_24const_host_device_scalarIT2_EEPKiS6_PKS3_S8_S4_PS3_21rocsparse_index_base_b,@function
_ZN9rocsparseL19gebsrmvn_2xn_kernelILj128ELj4ELj32EfEEvi20rocsparse_direction_NS_24const_host_device_scalarIT2_EEPKiS6_PKS3_S8_S4_PS3_21rocsparse_index_base_b: ; @_ZN9rocsparseL19gebsrmvn_2xn_kernelILj128ELj4ELj32EfEEvi20rocsparse_direction_NS_24const_host_device_scalarIT2_EEPKiS6_PKS3_S8_S4_PS3_21rocsparse_index_base_b
; %bb.0:
	s_load_dwordx2 s[18:19], s[4:5], 0x40
	s_load_dwordx2 s[16:17], s[4:5], 0x8
	;; [unrolled: 1-line block ×3, first 2 shown]
	s_waitcnt lgkmcnt(0)
	s_bitcmp1_b32 s19, 0
	s_cselect_b64 s[8:9], -1, 0
	s_xor_b64 s[0:1], s[8:9], -1
	s_and_b64 vcc, exec, s[8:9]
	s_cbranch_vccnz .LBB13_2
; %bb.1:
	s_load_dword s16, s[16:17], 0x0
.LBB13_2:
	s_andn2_b64 vcc, exec, s[0:1]
	s_cbranch_vccnz .LBB13_4
; %bb.3:
	s_load_dword s2, s[2:3], 0x0
.LBB13_4:
	s_waitcnt lgkmcnt(0)
	v_cmp_eq_f32_e64 s[0:1], s16, 0
	v_cmp_eq_f32_e64 s[8:9], s2, 1.0
	s_and_b64 s[0:1], s[0:1], s[8:9]
	s_and_b64 vcc, exec, s[0:1]
	s_cbranch_vccnz .LBB13_22
; %bb.5:
	s_load_dwordx2 s[0:1], s[4:5], 0x0
	v_lshrrev_b32_e32 v1, 5, v0
	v_lshl_or_b32 v1, s6, 2, v1
	s_waitcnt lgkmcnt(0)
	v_cmp_gt_i32_e32 vcc, s0, v1
	s_and_saveexec_b64 s[6:7], vcc
	s_cbranch_execz .LBB13_22
; %bb.6:
	s_load_dwordx8 s[8:15], s[4:5], 0x10
	v_ashrrev_i32_e32 v2, 31, v1
	v_lshlrev_b64 v[2:3], 2, v[1:2]
	v_and_b32_e32 v0, 31, v0
	s_cmp_lg_u32 s1, 0
	s_waitcnt lgkmcnt(0)
	v_mov_b32_e32 v4, s9
	v_add_co_u32_e32 v2, vcc, s8, v2
	v_addc_co_u32_e32 v3, vcc, v4, v3, vcc
	global_load_dwordx2 v[2:3], v[2:3], off
	s_waitcnt vmcnt(0)
	v_subrev_u32_e32 v2, s18, v2
	v_subrev_u32_e32 v7, s18, v3
	v_add_u32_e32 v2, v2, v0
	v_cmp_lt_i32_e64 s[0:1], v2, v7
	s_cbranch_scc0 .LBB13_12
; %bb.7:
	v_mov_b32_e32 v9, 0
	v_mov_b32_e32 v8, 0
	s_and_saveexec_b64 s[6:7], s[0:1]
	s_cbranch_execz .LBB13_11
; %bb.8:
	v_mov_b32_e32 v4, 0
	v_lshlrev_b32_e32 v3, 3, v2
	s_mov_b64 s[8:9], 0
	v_mov_b32_e32 v10, s11
	v_mov_b32_e32 v11, s13
	;; [unrolled: 1-line block ×6, first 2 shown]
.LBB13_9:                               ; =>This Inner Loop Header: Depth=1
	v_lshlrev_b64 v[13:14], 2, v[3:4]
	v_ashrrev_i32_e32 v6, 31, v5
	v_lshlrev_b64 v[15:16], 2, v[5:6]
	v_add_co_u32_e32 v21, vcc, s12, v13
	v_addc_co_u32_e32 v22, vcc, v11, v14, vcc
	v_add_co_u32_e32 v19, vcc, s10, v15
	v_addc_co_u32_e32 v20, vcc, v10, v16, vcc
	global_load_dwordx4 v[13:16], v[21:22], off
	global_load_dword v6, v[19:20], off
	v_mov_b32_e32 v18, v4
	v_add_u32_e32 v5, 32, v5
	v_add_u32_e32 v3, 0x100, v3
	s_waitcnt vmcnt(0)
	v_subrev_u32_e32 v6, s18, v6
	v_lshlrev_b32_e32 v17, 2, v6
	v_lshlrev_b64 v[17:18], 2, v[17:18]
	v_add_co_u32_e32 v17, vcc, s14, v17
	v_addc_co_u32_e32 v18, vcc, v12, v18, vcc
	global_load_dwordx4 v[17:20], v[17:18], off
	v_cmp_ge_i32_e32 vcc, v5, v7
	s_or_b64 s[8:9], vcc, s[8:9]
	s_waitcnt vmcnt(0)
	v_fmac_f32_e32 v9, v13, v17
	v_fmac_f32_e32 v8, v14, v17
	;; [unrolled: 1-line block ×4, first 2 shown]
	global_load_dwordx4 v[13:16], v[21:22], off offset:16
	s_waitcnt vmcnt(0)
	v_fmac_f32_e32 v9, v13, v19
	v_fmac_f32_e32 v8, v14, v19
	;; [unrolled: 1-line block ×4, first 2 shown]
	s_andn2_b64 exec, exec, s[8:9]
	s_cbranch_execnz .LBB13_9
; %bb.10:
	s_or_b64 exec, exec, s[8:9]
.LBB13_11:
	s_or_b64 exec, exec, s[6:7]
	s_cbranch_execz .LBB13_13
	s_branch .LBB13_18
.LBB13_12:
                                        ; implicit-def: $vgpr9
                                        ; implicit-def: $vgpr8
.LBB13_13:
	v_mov_b32_e32 v9, 0
	v_mov_b32_e32 v8, 0
	s_and_saveexec_b64 s[6:7], s[0:1]
	s_cbranch_execz .LBB13_17
; %bb.14:
	v_mov_b32_e32 v5, 0
	v_lshlrev_b32_e32 v4, 3, v2
	s_mov_b64 s[0:1], 0
	v_mov_b32_e32 v6, s11
	v_mov_b32_e32 v10, s13
	;; [unrolled: 1-line block ×5, first 2 shown]
.LBB13_15:                              ; =>This Inner Loop Header: Depth=1
	v_lshlrev_b64 v[12:13], 2, v[4:5]
	v_ashrrev_i32_e32 v3, 31, v2
	v_lshlrev_b64 v[14:15], 2, v[2:3]
	v_add_co_u32_e32 v20, vcc, s12, v12
	v_addc_co_u32_e32 v21, vcc, v10, v13, vcc
	v_add_co_u32_e32 v18, vcc, s10, v14
	v_addc_co_u32_e32 v19, vcc, v6, v15, vcc
	global_load_dwordx4 v[12:15], v[20:21], off
	global_load_dword v3, v[18:19], off
	v_mov_b32_e32 v17, v5
	v_add_u32_e32 v2, 32, v2
	v_add_u32_e32 v4, 0x100, v4
	s_waitcnt vmcnt(0)
	v_subrev_u32_e32 v3, s18, v3
	v_lshlrev_b32_e32 v16, 2, v3
	v_lshlrev_b64 v[16:17], 2, v[16:17]
	v_add_co_u32_e32 v16, vcc, s14, v16
	v_addc_co_u32_e32 v17, vcc, v11, v17, vcc
	global_load_dwordx4 v[16:19], v[16:17], off
	v_cmp_ge_i32_e32 vcc, v2, v7
	s_or_b64 s[0:1], vcc, s[0:1]
	s_waitcnt vmcnt(0)
	v_fmac_f32_e32 v9, v12, v16
	v_fmac_f32_e32 v9, v13, v17
	v_fmac_f32_e32 v9, v14, v18
	v_fmac_f32_e32 v9, v15, v19
	global_load_dwordx4 v[12:15], v[20:21], off offset:16
	s_waitcnt vmcnt(0)
	v_fmac_f32_e32 v8, v12, v16
	v_fmac_f32_e32 v8, v13, v17
	v_fmac_f32_e32 v8, v14, v18
	v_fmac_f32_e32 v8, v15, v19
	s_andn2_b64 exec, exec, s[0:1]
	s_cbranch_execnz .LBB13_15
; %bb.16:
	s_or_b64 exec, exec, s[0:1]
.LBB13_17:
	s_or_b64 exec, exec, s[6:7]
.LBB13_18:
	v_mov_b32_dpp v2, v9 row_shr:1 row_mask:0xf bank_mask:0xf
	v_mov_b32_dpp v4, v8 row_shr:1 row_mask:0xf bank_mask:0xf
	v_add_f32_e32 v2, v9, v2
	v_add_f32_e32 v4, v8, v4
	v_cmp_eq_u32_e32 vcc, 31, v0
	v_mov_b32_dpp v3, v2 row_shr:2 row_mask:0xf bank_mask:0xf
	v_mov_b32_dpp v5, v4 row_shr:2 row_mask:0xf bank_mask:0xf
	v_add_f32_e32 v2, v2, v3
	v_add_f32_e32 v4, v4, v5
	s_nop 0
	v_mov_b32_dpp v3, v2 row_shr:4 row_mask:0xf bank_mask:0xe
	v_mov_b32_dpp v5, v4 row_shr:4 row_mask:0xf bank_mask:0xe
	v_add_f32_e32 v2, v2, v3
	v_add_f32_e32 v4, v4, v5
	s_nop 0
	;; [unrolled: 5-line block ×3, first 2 shown]
	v_mov_b32_dpp v3, v2 row_bcast:15 row_mask:0xa bank_mask:0xf
	v_mov_b32_dpp v5, v4 row_bcast:15 row_mask:0xa bank_mask:0xf
	s_and_b64 exec, exec, vcc
	s_cbranch_execz .LBB13_22
; %bb.19:
	s_load_dwordx2 s[0:1], s[4:5], 0x38
	v_add_f32_e32 v0, v2, v3
	v_add_f32_e32 v3, v4, v5
	v_cmp_eq_f32_e64 s[4:5], s2, 0
	s_and_b64 vcc, exec, s[4:5]
	v_mul_f32_e32 v2, s16, v0
	v_mul_f32_e32 v3, s16, v3
	v_lshlrev_b32_e32 v0, 1, v1
	s_cbranch_vccz .LBB13_23
; %bb.20:
	v_ashrrev_i32_e32 v1, 31, v0
	v_lshlrev_b64 v[4:5], 2, v[0:1]
	s_waitcnt lgkmcnt(0)
	v_mov_b32_e32 v1, s1
	v_add_co_u32_e32 v4, vcc, s0, v4
	v_addc_co_u32_e32 v5, vcc, v1, v5, vcc
	global_store_dwordx2 v[4:5], v[2:3], off
	s_cbranch_execnz .LBB13_22
.LBB13_21:
	v_ashrrev_i32_e32 v1, 31, v0
	v_lshlrev_b64 v[0:1], 2, v[0:1]
	s_waitcnt lgkmcnt(0)
	v_mov_b32_e32 v4, s1
	v_add_co_u32_e32 v0, vcc, s0, v0
	v_addc_co_u32_e32 v1, vcc, v4, v1, vcc
	global_load_dwordx2 v[4:5], v[0:1], off
	s_waitcnt vmcnt(0)
	v_fmac_f32_e32 v2, s2, v4
	v_fmac_f32_e32 v3, s2, v5
	global_store_dwordx2 v[0:1], v[2:3], off
.LBB13_22:
	s_endpgm
.LBB13_23:
	s_branch .LBB13_21
	.section	.rodata,"a",@progbits
	.p2align	6, 0x0
	.amdhsa_kernel _ZN9rocsparseL19gebsrmvn_2xn_kernelILj128ELj4ELj32EfEEvi20rocsparse_direction_NS_24const_host_device_scalarIT2_EEPKiS6_PKS3_S8_S4_PS3_21rocsparse_index_base_b
		.amdhsa_group_segment_fixed_size 0
		.amdhsa_private_segment_fixed_size 0
		.amdhsa_kernarg_size 72
		.amdhsa_user_sgpr_count 6
		.amdhsa_user_sgpr_private_segment_buffer 1
		.amdhsa_user_sgpr_dispatch_ptr 0
		.amdhsa_user_sgpr_queue_ptr 0
		.amdhsa_user_sgpr_kernarg_segment_ptr 1
		.amdhsa_user_sgpr_dispatch_id 0
		.amdhsa_user_sgpr_flat_scratch_init 0
		.amdhsa_user_sgpr_private_segment_size 0
		.amdhsa_uses_dynamic_stack 0
		.amdhsa_system_sgpr_private_segment_wavefront_offset 0
		.amdhsa_system_sgpr_workgroup_id_x 1
		.amdhsa_system_sgpr_workgroup_id_y 0
		.amdhsa_system_sgpr_workgroup_id_z 0
		.amdhsa_system_sgpr_workgroup_info 0
		.amdhsa_system_vgpr_workitem_id 0
		.amdhsa_next_free_vgpr 23
		.amdhsa_next_free_sgpr 20
		.amdhsa_reserve_vcc 1
		.amdhsa_reserve_flat_scratch 0
		.amdhsa_float_round_mode_32 0
		.amdhsa_float_round_mode_16_64 0
		.amdhsa_float_denorm_mode_32 3
		.amdhsa_float_denorm_mode_16_64 3
		.amdhsa_dx10_clamp 1
		.amdhsa_ieee_mode 1
		.amdhsa_fp16_overflow 0
		.amdhsa_exception_fp_ieee_invalid_op 0
		.amdhsa_exception_fp_denorm_src 0
		.amdhsa_exception_fp_ieee_div_zero 0
		.amdhsa_exception_fp_ieee_overflow 0
		.amdhsa_exception_fp_ieee_underflow 0
		.amdhsa_exception_fp_ieee_inexact 0
		.amdhsa_exception_int_div_zero 0
	.end_amdhsa_kernel
	.section	.text._ZN9rocsparseL19gebsrmvn_2xn_kernelILj128ELj4ELj32EfEEvi20rocsparse_direction_NS_24const_host_device_scalarIT2_EEPKiS6_PKS3_S8_S4_PS3_21rocsparse_index_base_b,"axG",@progbits,_ZN9rocsparseL19gebsrmvn_2xn_kernelILj128ELj4ELj32EfEEvi20rocsparse_direction_NS_24const_host_device_scalarIT2_EEPKiS6_PKS3_S8_S4_PS3_21rocsparse_index_base_b,comdat
.Lfunc_end13:
	.size	_ZN9rocsparseL19gebsrmvn_2xn_kernelILj128ELj4ELj32EfEEvi20rocsparse_direction_NS_24const_host_device_scalarIT2_EEPKiS6_PKS3_S8_S4_PS3_21rocsparse_index_base_b, .Lfunc_end13-_ZN9rocsparseL19gebsrmvn_2xn_kernelILj128ELj4ELj32EfEEvi20rocsparse_direction_NS_24const_host_device_scalarIT2_EEPKiS6_PKS3_S8_S4_PS3_21rocsparse_index_base_b
                                        ; -- End function
	.set _ZN9rocsparseL19gebsrmvn_2xn_kernelILj128ELj4ELj32EfEEvi20rocsparse_direction_NS_24const_host_device_scalarIT2_EEPKiS6_PKS3_S8_S4_PS3_21rocsparse_index_base_b.num_vgpr, 23
	.set _ZN9rocsparseL19gebsrmvn_2xn_kernelILj128ELj4ELj32EfEEvi20rocsparse_direction_NS_24const_host_device_scalarIT2_EEPKiS6_PKS3_S8_S4_PS3_21rocsparse_index_base_b.num_agpr, 0
	.set _ZN9rocsparseL19gebsrmvn_2xn_kernelILj128ELj4ELj32EfEEvi20rocsparse_direction_NS_24const_host_device_scalarIT2_EEPKiS6_PKS3_S8_S4_PS3_21rocsparse_index_base_b.numbered_sgpr, 20
	.set _ZN9rocsparseL19gebsrmvn_2xn_kernelILj128ELj4ELj32EfEEvi20rocsparse_direction_NS_24const_host_device_scalarIT2_EEPKiS6_PKS3_S8_S4_PS3_21rocsparse_index_base_b.num_named_barrier, 0
	.set _ZN9rocsparseL19gebsrmvn_2xn_kernelILj128ELj4ELj32EfEEvi20rocsparse_direction_NS_24const_host_device_scalarIT2_EEPKiS6_PKS3_S8_S4_PS3_21rocsparse_index_base_b.private_seg_size, 0
	.set _ZN9rocsparseL19gebsrmvn_2xn_kernelILj128ELj4ELj32EfEEvi20rocsparse_direction_NS_24const_host_device_scalarIT2_EEPKiS6_PKS3_S8_S4_PS3_21rocsparse_index_base_b.uses_vcc, 1
	.set _ZN9rocsparseL19gebsrmvn_2xn_kernelILj128ELj4ELj32EfEEvi20rocsparse_direction_NS_24const_host_device_scalarIT2_EEPKiS6_PKS3_S8_S4_PS3_21rocsparse_index_base_b.uses_flat_scratch, 0
	.set _ZN9rocsparseL19gebsrmvn_2xn_kernelILj128ELj4ELj32EfEEvi20rocsparse_direction_NS_24const_host_device_scalarIT2_EEPKiS6_PKS3_S8_S4_PS3_21rocsparse_index_base_b.has_dyn_sized_stack, 0
	.set _ZN9rocsparseL19gebsrmvn_2xn_kernelILj128ELj4ELj32EfEEvi20rocsparse_direction_NS_24const_host_device_scalarIT2_EEPKiS6_PKS3_S8_S4_PS3_21rocsparse_index_base_b.has_recursion, 0
	.set _ZN9rocsparseL19gebsrmvn_2xn_kernelILj128ELj4ELj32EfEEvi20rocsparse_direction_NS_24const_host_device_scalarIT2_EEPKiS6_PKS3_S8_S4_PS3_21rocsparse_index_base_b.has_indirect_call, 0
	.section	.AMDGPU.csdata,"",@progbits
; Kernel info:
; codeLenInByte = 964
; TotalNumSgprs: 24
; NumVgprs: 23
; ScratchSize: 0
; MemoryBound: 0
; FloatMode: 240
; IeeeMode: 1
; LDSByteSize: 0 bytes/workgroup (compile time only)
; SGPRBlocks: 2
; VGPRBlocks: 5
; NumSGPRsForWavesPerEU: 24
; NumVGPRsForWavesPerEU: 23
; Occupancy: 10
; WaveLimiterHint : 1
; COMPUTE_PGM_RSRC2:SCRATCH_EN: 0
; COMPUTE_PGM_RSRC2:USER_SGPR: 6
; COMPUTE_PGM_RSRC2:TRAP_HANDLER: 0
; COMPUTE_PGM_RSRC2:TGID_X_EN: 1
; COMPUTE_PGM_RSRC2:TGID_Y_EN: 0
; COMPUTE_PGM_RSRC2:TGID_Z_EN: 0
; COMPUTE_PGM_RSRC2:TIDIG_COMP_CNT: 0
	.section	.text._ZN9rocsparseL19gebsrmvn_2xn_kernelILj128ELj4ELj64EfEEvi20rocsparse_direction_NS_24const_host_device_scalarIT2_EEPKiS6_PKS3_S8_S4_PS3_21rocsparse_index_base_b,"axG",@progbits,_ZN9rocsparseL19gebsrmvn_2xn_kernelILj128ELj4ELj64EfEEvi20rocsparse_direction_NS_24const_host_device_scalarIT2_EEPKiS6_PKS3_S8_S4_PS3_21rocsparse_index_base_b,comdat
	.globl	_ZN9rocsparseL19gebsrmvn_2xn_kernelILj128ELj4ELj64EfEEvi20rocsparse_direction_NS_24const_host_device_scalarIT2_EEPKiS6_PKS3_S8_S4_PS3_21rocsparse_index_base_b ; -- Begin function _ZN9rocsparseL19gebsrmvn_2xn_kernelILj128ELj4ELj64EfEEvi20rocsparse_direction_NS_24const_host_device_scalarIT2_EEPKiS6_PKS3_S8_S4_PS3_21rocsparse_index_base_b
	.p2align	8
	.type	_ZN9rocsparseL19gebsrmvn_2xn_kernelILj128ELj4ELj64EfEEvi20rocsparse_direction_NS_24const_host_device_scalarIT2_EEPKiS6_PKS3_S8_S4_PS3_21rocsparse_index_base_b,@function
_ZN9rocsparseL19gebsrmvn_2xn_kernelILj128ELj4ELj64EfEEvi20rocsparse_direction_NS_24const_host_device_scalarIT2_EEPKiS6_PKS3_S8_S4_PS3_21rocsparse_index_base_b: ; @_ZN9rocsparseL19gebsrmvn_2xn_kernelILj128ELj4ELj64EfEEvi20rocsparse_direction_NS_24const_host_device_scalarIT2_EEPKiS6_PKS3_S8_S4_PS3_21rocsparse_index_base_b
; %bb.0:
	s_load_dwordx2 s[18:19], s[4:5], 0x40
	s_load_dwordx2 s[16:17], s[4:5], 0x8
	;; [unrolled: 1-line block ×3, first 2 shown]
	s_waitcnt lgkmcnt(0)
	s_bitcmp1_b32 s19, 0
	s_cselect_b64 s[8:9], -1, 0
	s_xor_b64 s[0:1], s[8:9], -1
	s_and_b64 vcc, exec, s[8:9]
	s_cbranch_vccnz .LBB14_2
; %bb.1:
	s_load_dword s16, s[16:17], 0x0
.LBB14_2:
	s_andn2_b64 vcc, exec, s[0:1]
	s_cbranch_vccnz .LBB14_4
; %bb.3:
	s_load_dword s2, s[2:3], 0x0
.LBB14_4:
	s_waitcnt lgkmcnt(0)
	v_cmp_eq_f32_e64 s[0:1], s16, 0
	v_cmp_eq_f32_e64 s[8:9], s2, 1.0
	s_and_b64 s[0:1], s[0:1], s[8:9]
	s_and_b64 vcc, exec, s[0:1]
	s_cbranch_vccnz .LBB14_22
; %bb.5:
	s_load_dwordx2 s[0:1], s[4:5], 0x0
	v_lshrrev_b32_e32 v1, 6, v0
	v_lshl_or_b32 v1, s6, 1, v1
	s_waitcnt lgkmcnt(0)
	v_cmp_gt_i32_e32 vcc, s0, v1
	s_and_saveexec_b64 s[6:7], vcc
	s_cbranch_execz .LBB14_22
; %bb.6:
	s_load_dwordx8 s[8:15], s[4:5], 0x10
	v_ashrrev_i32_e32 v2, 31, v1
	v_lshlrev_b64 v[2:3], 2, v[1:2]
	v_and_b32_e32 v0, 63, v0
	s_cmp_lg_u32 s1, 0
	s_waitcnt lgkmcnt(0)
	v_mov_b32_e32 v4, s9
	v_add_co_u32_e32 v2, vcc, s8, v2
	v_addc_co_u32_e32 v3, vcc, v4, v3, vcc
	global_load_dwordx2 v[2:3], v[2:3], off
	s_waitcnt vmcnt(0)
	v_subrev_u32_e32 v2, s18, v2
	v_subrev_u32_e32 v7, s18, v3
	v_add_u32_e32 v2, v2, v0
	v_cmp_lt_i32_e64 s[0:1], v2, v7
	s_cbranch_scc0 .LBB14_12
; %bb.7:
	v_mov_b32_e32 v9, 0
	v_mov_b32_e32 v8, 0
	s_and_saveexec_b64 s[6:7], s[0:1]
	s_cbranch_execz .LBB14_11
; %bb.8:
	v_mov_b32_e32 v4, 0
	v_lshlrev_b32_e32 v3, 3, v2
	s_mov_b64 s[8:9], 0
	v_mov_b32_e32 v10, s11
	v_mov_b32_e32 v11, s13
	;; [unrolled: 1-line block ×6, first 2 shown]
.LBB14_9:                               ; =>This Inner Loop Header: Depth=1
	v_lshlrev_b64 v[13:14], 2, v[3:4]
	v_ashrrev_i32_e32 v6, 31, v5
	v_lshlrev_b64 v[15:16], 2, v[5:6]
	v_add_co_u32_e32 v21, vcc, s12, v13
	v_addc_co_u32_e32 v22, vcc, v11, v14, vcc
	v_add_co_u32_e32 v19, vcc, s10, v15
	v_addc_co_u32_e32 v20, vcc, v10, v16, vcc
	global_load_dwordx4 v[13:16], v[21:22], off
	global_load_dword v6, v[19:20], off
	v_mov_b32_e32 v18, v4
	v_add_u32_e32 v5, 64, v5
	v_add_u32_e32 v3, 0x200, v3
	s_waitcnt vmcnt(0)
	v_subrev_u32_e32 v6, s18, v6
	v_lshlrev_b32_e32 v17, 2, v6
	v_lshlrev_b64 v[17:18], 2, v[17:18]
	v_add_co_u32_e32 v17, vcc, s14, v17
	v_addc_co_u32_e32 v18, vcc, v12, v18, vcc
	global_load_dwordx4 v[17:20], v[17:18], off
	v_cmp_ge_i32_e32 vcc, v5, v7
	s_or_b64 s[8:9], vcc, s[8:9]
	s_waitcnt vmcnt(0)
	v_fmac_f32_e32 v9, v13, v17
	v_fmac_f32_e32 v8, v14, v17
	;; [unrolled: 1-line block ×4, first 2 shown]
	global_load_dwordx4 v[13:16], v[21:22], off offset:16
	s_waitcnt vmcnt(0)
	v_fmac_f32_e32 v9, v13, v19
	v_fmac_f32_e32 v8, v14, v19
	;; [unrolled: 1-line block ×4, first 2 shown]
	s_andn2_b64 exec, exec, s[8:9]
	s_cbranch_execnz .LBB14_9
; %bb.10:
	s_or_b64 exec, exec, s[8:9]
.LBB14_11:
	s_or_b64 exec, exec, s[6:7]
	s_cbranch_execz .LBB14_13
	s_branch .LBB14_18
.LBB14_12:
                                        ; implicit-def: $vgpr9
                                        ; implicit-def: $vgpr8
.LBB14_13:
	v_mov_b32_e32 v9, 0
	v_mov_b32_e32 v8, 0
	s_and_saveexec_b64 s[6:7], s[0:1]
	s_cbranch_execz .LBB14_17
; %bb.14:
	v_mov_b32_e32 v5, 0
	v_lshlrev_b32_e32 v4, 3, v2
	s_mov_b64 s[0:1], 0
	v_mov_b32_e32 v6, s11
	v_mov_b32_e32 v10, s13
	;; [unrolled: 1-line block ×5, first 2 shown]
.LBB14_15:                              ; =>This Inner Loop Header: Depth=1
	v_lshlrev_b64 v[12:13], 2, v[4:5]
	v_ashrrev_i32_e32 v3, 31, v2
	v_lshlrev_b64 v[14:15], 2, v[2:3]
	v_add_co_u32_e32 v20, vcc, s12, v12
	v_addc_co_u32_e32 v21, vcc, v10, v13, vcc
	v_add_co_u32_e32 v18, vcc, s10, v14
	v_addc_co_u32_e32 v19, vcc, v6, v15, vcc
	global_load_dwordx4 v[12:15], v[20:21], off
	global_load_dword v3, v[18:19], off
	v_mov_b32_e32 v17, v5
	v_add_u32_e32 v2, 64, v2
	v_add_u32_e32 v4, 0x200, v4
	s_waitcnt vmcnt(0)
	v_subrev_u32_e32 v3, s18, v3
	v_lshlrev_b32_e32 v16, 2, v3
	v_lshlrev_b64 v[16:17], 2, v[16:17]
	v_add_co_u32_e32 v16, vcc, s14, v16
	v_addc_co_u32_e32 v17, vcc, v11, v17, vcc
	global_load_dwordx4 v[16:19], v[16:17], off
	v_cmp_ge_i32_e32 vcc, v2, v7
	s_or_b64 s[0:1], vcc, s[0:1]
	s_waitcnt vmcnt(0)
	v_fmac_f32_e32 v9, v12, v16
	v_fmac_f32_e32 v9, v13, v17
	;; [unrolled: 1-line block ×4, first 2 shown]
	global_load_dwordx4 v[12:15], v[20:21], off offset:16
	s_waitcnt vmcnt(0)
	v_fmac_f32_e32 v8, v12, v16
	v_fmac_f32_e32 v8, v13, v17
	;; [unrolled: 1-line block ×4, first 2 shown]
	s_andn2_b64 exec, exec, s[0:1]
	s_cbranch_execnz .LBB14_15
; %bb.16:
	s_or_b64 exec, exec, s[0:1]
.LBB14_17:
	s_or_b64 exec, exec, s[6:7]
.LBB14_18:
	v_mov_b32_dpp v2, v9 row_shr:1 row_mask:0xf bank_mask:0xf
	v_mov_b32_dpp v4, v8 row_shr:1 row_mask:0xf bank_mask:0xf
	v_add_f32_e32 v2, v9, v2
	v_add_f32_e32 v4, v8, v4
	v_cmp_eq_u32_e32 vcc, 63, v0
	v_mov_b32_dpp v3, v2 row_shr:2 row_mask:0xf bank_mask:0xf
	v_mov_b32_dpp v5, v4 row_shr:2 row_mask:0xf bank_mask:0xf
	v_add_f32_e32 v2, v2, v3
	v_add_f32_e32 v4, v4, v5
	s_nop 0
	v_mov_b32_dpp v3, v2 row_shr:4 row_mask:0xf bank_mask:0xe
	v_mov_b32_dpp v5, v4 row_shr:4 row_mask:0xf bank_mask:0xe
	v_add_f32_e32 v2, v2, v3
	v_add_f32_e32 v4, v4, v5
	s_nop 0
	;; [unrolled: 5-line block ×3, first 2 shown]
	v_mov_b32_dpp v3, v2 row_bcast:15 row_mask:0xa bank_mask:0xf
	v_mov_b32_dpp v5, v4 row_bcast:15 row_mask:0xa bank_mask:0xf
	v_add_f32_e32 v2, v2, v3
	v_add_f32_e32 v4, v4, v5
	s_nop 0
	v_mov_b32_dpp v3, v2 row_bcast:31 row_mask:0xc bank_mask:0xf
	v_mov_b32_dpp v5, v4 row_bcast:31 row_mask:0xc bank_mask:0xf
	s_and_b64 exec, exec, vcc
	s_cbranch_execz .LBB14_22
; %bb.19:
	s_load_dwordx2 s[0:1], s[4:5], 0x38
	v_add_f32_e32 v0, v2, v3
	v_add_f32_e32 v3, v4, v5
	v_cmp_eq_f32_e64 s[4:5], s2, 0
	s_and_b64 vcc, exec, s[4:5]
	v_mul_f32_e32 v2, s16, v0
	v_mul_f32_e32 v3, s16, v3
	v_lshlrev_b32_e32 v0, 1, v1
	s_cbranch_vccz .LBB14_23
; %bb.20:
	v_ashrrev_i32_e32 v1, 31, v0
	v_lshlrev_b64 v[4:5], 2, v[0:1]
	s_waitcnt lgkmcnt(0)
	v_mov_b32_e32 v1, s1
	v_add_co_u32_e32 v4, vcc, s0, v4
	v_addc_co_u32_e32 v5, vcc, v1, v5, vcc
	global_store_dwordx2 v[4:5], v[2:3], off
	s_cbranch_execnz .LBB14_22
.LBB14_21:
	v_ashrrev_i32_e32 v1, 31, v0
	v_lshlrev_b64 v[0:1], 2, v[0:1]
	s_waitcnt lgkmcnt(0)
	v_mov_b32_e32 v4, s1
	v_add_co_u32_e32 v0, vcc, s0, v0
	v_addc_co_u32_e32 v1, vcc, v4, v1, vcc
	global_load_dwordx2 v[4:5], v[0:1], off
	s_waitcnt vmcnt(0)
	v_fmac_f32_e32 v2, s2, v4
	v_fmac_f32_e32 v3, s2, v5
	global_store_dwordx2 v[0:1], v[2:3], off
.LBB14_22:
	s_endpgm
.LBB14_23:
	s_branch .LBB14_21
	.section	.rodata,"a",@progbits
	.p2align	6, 0x0
	.amdhsa_kernel _ZN9rocsparseL19gebsrmvn_2xn_kernelILj128ELj4ELj64EfEEvi20rocsparse_direction_NS_24const_host_device_scalarIT2_EEPKiS6_PKS3_S8_S4_PS3_21rocsparse_index_base_b
		.amdhsa_group_segment_fixed_size 0
		.amdhsa_private_segment_fixed_size 0
		.amdhsa_kernarg_size 72
		.amdhsa_user_sgpr_count 6
		.amdhsa_user_sgpr_private_segment_buffer 1
		.amdhsa_user_sgpr_dispatch_ptr 0
		.amdhsa_user_sgpr_queue_ptr 0
		.amdhsa_user_sgpr_kernarg_segment_ptr 1
		.amdhsa_user_sgpr_dispatch_id 0
		.amdhsa_user_sgpr_flat_scratch_init 0
		.amdhsa_user_sgpr_private_segment_size 0
		.amdhsa_uses_dynamic_stack 0
		.amdhsa_system_sgpr_private_segment_wavefront_offset 0
		.amdhsa_system_sgpr_workgroup_id_x 1
		.amdhsa_system_sgpr_workgroup_id_y 0
		.amdhsa_system_sgpr_workgroup_id_z 0
		.amdhsa_system_sgpr_workgroup_info 0
		.amdhsa_system_vgpr_workitem_id 0
		.amdhsa_next_free_vgpr 23
		.amdhsa_next_free_sgpr 20
		.amdhsa_reserve_vcc 1
		.amdhsa_reserve_flat_scratch 0
		.amdhsa_float_round_mode_32 0
		.amdhsa_float_round_mode_16_64 0
		.amdhsa_float_denorm_mode_32 3
		.amdhsa_float_denorm_mode_16_64 3
		.amdhsa_dx10_clamp 1
		.amdhsa_ieee_mode 1
		.amdhsa_fp16_overflow 0
		.amdhsa_exception_fp_ieee_invalid_op 0
		.amdhsa_exception_fp_denorm_src 0
		.amdhsa_exception_fp_ieee_div_zero 0
		.amdhsa_exception_fp_ieee_overflow 0
		.amdhsa_exception_fp_ieee_underflow 0
		.amdhsa_exception_fp_ieee_inexact 0
		.amdhsa_exception_int_div_zero 0
	.end_amdhsa_kernel
	.section	.text._ZN9rocsparseL19gebsrmvn_2xn_kernelILj128ELj4ELj64EfEEvi20rocsparse_direction_NS_24const_host_device_scalarIT2_EEPKiS6_PKS3_S8_S4_PS3_21rocsparse_index_base_b,"axG",@progbits,_ZN9rocsparseL19gebsrmvn_2xn_kernelILj128ELj4ELj64EfEEvi20rocsparse_direction_NS_24const_host_device_scalarIT2_EEPKiS6_PKS3_S8_S4_PS3_21rocsparse_index_base_b,comdat
.Lfunc_end14:
	.size	_ZN9rocsparseL19gebsrmvn_2xn_kernelILj128ELj4ELj64EfEEvi20rocsparse_direction_NS_24const_host_device_scalarIT2_EEPKiS6_PKS3_S8_S4_PS3_21rocsparse_index_base_b, .Lfunc_end14-_ZN9rocsparseL19gebsrmvn_2xn_kernelILj128ELj4ELj64EfEEvi20rocsparse_direction_NS_24const_host_device_scalarIT2_EEPKiS6_PKS3_S8_S4_PS3_21rocsparse_index_base_b
                                        ; -- End function
	.set _ZN9rocsparseL19gebsrmvn_2xn_kernelILj128ELj4ELj64EfEEvi20rocsparse_direction_NS_24const_host_device_scalarIT2_EEPKiS6_PKS3_S8_S4_PS3_21rocsparse_index_base_b.num_vgpr, 23
	.set _ZN9rocsparseL19gebsrmvn_2xn_kernelILj128ELj4ELj64EfEEvi20rocsparse_direction_NS_24const_host_device_scalarIT2_EEPKiS6_PKS3_S8_S4_PS3_21rocsparse_index_base_b.num_agpr, 0
	.set _ZN9rocsparseL19gebsrmvn_2xn_kernelILj128ELj4ELj64EfEEvi20rocsparse_direction_NS_24const_host_device_scalarIT2_EEPKiS6_PKS3_S8_S4_PS3_21rocsparse_index_base_b.numbered_sgpr, 20
	.set _ZN9rocsparseL19gebsrmvn_2xn_kernelILj128ELj4ELj64EfEEvi20rocsparse_direction_NS_24const_host_device_scalarIT2_EEPKiS6_PKS3_S8_S4_PS3_21rocsparse_index_base_b.num_named_barrier, 0
	.set _ZN9rocsparseL19gebsrmvn_2xn_kernelILj128ELj4ELj64EfEEvi20rocsparse_direction_NS_24const_host_device_scalarIT2_EEPKiS6_PKS3_S8_S4_PS3_21rocsparse_index_base_b.private_seg_size, 0
	.set _ZN9rocsparseL19gebsrmvn_2xn_kernelILj128ELj4ELj64EfEEvi20rocsparse_direction_NS_24const_host_device_scalarIT2_EEPKiS6_PKS3_S8_S4_PS3_21rocsparse_index_base_b.uses_vcc, 1
	.set _ZN9rocsparseL19gebsrmvn_2xn_kernelILj128ELj4ELj64EfEEvi20rocsparse_direction_NS_24const_host_device_scalarIT2_EEPKiS6_PKS3_S8_S4_PS3_21rocsparse_index_base_b.uses_flat_scratch, 0
	.set _ZN9rocsparseL19gebsrmvn_2xn_kernelILj128ELj4ELj64EfEEvi20rocsparse_direction_NS_24const_host_device_scalarIT2_EEPKiS6_PKS3_S8_S4_PS3_21rocsparse_index_base_b.has_dyn_sized_stack, 0
	.set _ZN9rocsparseL19gebsrmvn_2xn_kernelILj128ELj4ELj64EfEEvi20rocsparse_direction_NS_24const_host_device_scalarIT2_EEPKiS6_PKS3_S8_S4_PS3_21rocsparse_index_base_b.has_recursion, 0
	.set _ZN9rocsparseL19gebsrmvn_2xn_kernelILj128ELj4ELj64EfEEvi20rocsparse_direction_NS_24const_host_device_scalarIT2_EEPKiS6_PKS3_S8_S4_PS3_21rocsparse_index_base_b.has_indirect_call, 0
	.section	.AMDGPU.csdata,"",@progbits
; Kernel info:
; codeLenInByte = 992
; TotalNumSgprs: 24
; NumVgprs: 23
; ScratchSize: 0
; MemoryBound: 0
; FloatMode: 240
; IeeeMode: 1
; LDSByteSize: 0 bytes/workgroup (compile time only)
; SGPRBlocks: 2
; VGPRBlocks: 5
; NumSGPRsForWavesPerEU: 24
; NumVGPRsForWavesPerEU: 23
; Occupancy: 10
; WaveLimiterHint : 1
; COMPUTE_PGM_RSRC2:SCRATCH_EN: 0
; COMPUTE_PGM_RSRC2:USER_SGPR: 6
; COMPUTE_PGM_RSRC2:TRAP_HANDLER: 0
; COMPUTE_PGM_RSRC2:TGID_X_EN: 1
; COMPUTE_PGM_RSRC2:TGID_Y_EN: 0
; COMPUTE_PGM_RSRC2:TGID_Z_EN: 0
; COMPUTE_PGM_RSRC2:TIDIG_COMP_CNT: 0
	.section	.text._ZN9rocsparseL19gebsrmvn_2xn_kernelILj128ELj5ELj4EfEEvi20rocsparse_direction_NS_24const_host_device_scalarIT2_EEPKiS6_PKS3_S8_S4_PS3_21rocsparse_index_base_b,"axG",@progbits,_ZN9rocsparseL19gebsrmvn_2xn_kernelILj128ELj5ELj4EfEEvi20rocsparse_direction_NS_24const_host_device_scalarIT2_EEPKiS6_PKS3_S8_S4_PS3_21rocsparse_index_base_b,comdat
	.globl	_ZN9rocsparseL19gebsrmvn_2xn_kernelILj128ELj5ELj4EfEEvi20rocsparse_direction_NS_24const_host_device_scalarIT2_EEPKiS6_PKS3_S8_S4_PS3_21rocsparse_index_base_b ; -- Begin function _ZN9rocsparseL19gebsrmvn_2xn_kernelILj128ELj5ELj4EfEEvi20rocsparse_direction_NS_24const_host_device_scalarIT2_EEPKiS6_PKS3_S8_S4_PS3_21rocsparse_index_base_b
	.p2align	8
	.type	_ZN9rocsparseL19gebsrmvn_2xn_kernelILj128ELj5ELj4EfEEvi20rocsparse_direction_NS_24const_host_device_scalarIT2_EEPKiS6_PKS3_S8_S4_PS3_21rocsparse_index_base_b,@function
_ZN9rocsparseL19gebsrmvn_2xn_kernelILj128ELj5ELj4EfEEvi20rocsparse_direction_NS_24const_host_device_scalarIT2_EEPKiS6_PKS3_S8_S4_PS3_21rocsparse_index_base_b: ; @_ZN9rocsparseL19gebsrmvn_2xn_kernelILj128ELj5ELj4EfEEvi20rocsparse_direction_NS_24const_host_device_scalarIT2_EEPKiS6_PKS3_S8_S4_PS3_21rocsparse_index_base_b
; %bb.0:
	s_load_dwordx2 s[18:19], s[4:5], 0x40
	s_load_dwordx2 s[16:17], s[4:5], 0x8
	s_load_dwordx2 s[2:3], s[4:5], 0x30
	s_waitcnt lgkmcnt(0)
	s_bitcmp1_b32 s19, 0
	s_cselect_b64 s[8:9], -1, 0
	s_xor_b64 s[0:1], s[8:9], -1
	s_and_b64 vcc, exec, s[8:9]
	s_cbranch_vccnz .LBB15_2
; %bb.1:
	s_load_dword s16, s[16:17], 0x0
.LBB15_2:
	s_andn2_b64 vcc, exec, s[0:1]
	s_cbranch_vccnz .LBB15_4
; %bb.3:
	s_load_dword s2, s[2:3], 0x0
.LBB15_4:
	s_waitcnt lgkmcnt(0)
	v_cmp_eq_f32_e64 s[0:1], s16, 0
	v_cmp_eq_f32_e64 s[8:9], s2, 1.0
	s_and_b64 s[0:1], s[0:1], s[8:9]
	s_and_b64 vcc, exec, s[0:1]
	s_cbranch_vccnz .LBB15_22
; %bb.5:
	s_load_dwordx2 s[0:1], s[4:5], 0x0
	v_lshrrev_b32_e32 v1, 2, v0
	v_lshl_or_b32 v1, s6, 5, v1
	s_waitcnt lgkmcnt(0)
	v_cmp_gt_i32_e32 vcc, s0, v1
	s_and_saveexec_b64 s[6:7], vcc
	s_cbranch_execz .LBB15_22
; %bb.6:
	s_load_dwordx8 s[8:15], s[4:5], 0x10
	v_ashrrev_i32_e32 v2, 31, v1
	v_lshlrev_b64 v[2:3], 2, v[1:2]
	v_and_b32_e32 v0, 3, v0
	s_cmp_lg_u32 s1, 0
	s_waitcnt lgkmcnt(0)
	v_mov_b32_e32 v4, s9
	v_add_co_u32_e32 v2, vcc, s8, v2
	v_addc_co_u32_e32 v3, vcc, v4, v3, vcc
	global_load_dwordx2 v[2:3], v[2:3], off
	s_waitcnt vmcnt(0)
	v_subrev_u32_e32 v2, s18, v2
	v_subrev_u32_e32 v9, s18, v3
	v_add_u32_e32 v2, v2, v0
	v_cmp_lt_i32_e64 s[0:1], v2, v9
	s_cbranch_scc0 .LBB15_12
; %bb.7:
	v_mov_b32_e32 v10, 0
	v_mov_b32_e32 v11, 0
	s_and_saveexec_b64 s[6:7], s[0:1]
	s_cbranch_execz .LBB15_11
; %bb.8:
	v_mad_u64_u32 v[3:4], s[8:9], v2, 10, 8
	v_mov_b32_e32 v6, 0
	s_mov_b64 s[8:9], 0
	v_mov_b32_e32 v12, s11
	v_mov_b32_e32 v13, s13
	;; [unrolled: 1-line block ×6, first 2 shown]
.LBB15_9:                               ; =>This Inner Loop Header: Depth=1
	v_ashrrev_i32_e32 v8, 31, v7
	v_lshlrev_b64 v[4:5], 2, v[7:8]
	v_mov_b32_e32 v16, v6
	v_add_co_u32_e32 v4, vcc, s10, v4
	v_addc_co_u32_e32 v5, vcc, v12, v5, vcc
	global_load_dword v8, v[4:5], off
	v_add_u32_e32 v5, -8, v3
	v_lshlrev_b64 v[17:18], 2, v[5:6]
	v_mov_b32_e32 v4, v6
	v_lshlrev_b64 v[19:20], 2, v[3:4]
	v_add_co_u32_e32 v17, vcc, s12, v17
	v_add_u32_e32 v5, -6, v3
	v_addc_co_u32_e32 v18, vcc, v13, v18, vcc
	v_lshlrev_b64 v[4:5], 2, v[5:6]
	v_add_co_u32_e32 v19, vcc, s12, v19
	v_addc_co_u32_e32 v20, vcc, v13, v20, vcc
	v_add_co_u32_e32 v4, vcc, s12, v4
	global_load_dwordx2 v[17:18], v[17:18], off
	v_addc_co_u32_e32 v5, vcc, v13, v5, vcc
	global_load_dwordx2 v[21:22], v[19:20], off
	global_load_dwordx2 v[23:24], v[4:5], off
	v_add_u32_e32 v7, 4, v7
	s_waitcnt vmcnt(3)
	v_subrev_u32_e32 v4, s18, v8
	v_lshl_add_u32 v15, v4, 2, v4
	v_lshlrev_b64 v[19:20], 2, v[15:16]
	v_add_u32_e32 v5, 1, v15
	v_lshlrev_b64 v[25:26], 2, v[5:6]
	v_add_co_u32_e32 v19, vcc, s14, v19
	v_add_u32_e32 v5, -4, v3
	v_addc_co_u32_e32 v20, vcc, v14, v20, vcc
	v_lshlrev_b64 v[27:28], 2, v[5:6]
	global_load_dword v8, v[19:20], off
	v_add_co_u32_e32 v19, vcc, s14, v25
	v_add_u32_e32 v5, 2, v15
	v_addc_co_u32_e32 v20, vcc, v14, v26, vcc
	v_lshlrev_b64 v[25:26], 2, v[5:6]
	global_load_dword v31, v[19:20], off
	v_add_co_u32_e32 v19, vcc, s12, v27
	v_add_u32_e32 v5, -2, v3
	v_addc_co_u32_e32 v20, vcc, v13, v28, vcc
	v_lshlrev_b64 v[27:28], 2, v[5:6]
	v_add_co_u32_e32 v25, vcc, s14, v25
	v_add_u32_e32 v5, 3, v15
	v_addc_co_u32_e32 v26, vcc, v14, v26, vcc
	v_lshlrev_b64 v[29:30], 2, v[5:6]
	v_add_u32_e32 v5, 4, v15
	v_add_co_u32_e32 v15, vcc, s12, v27
	v_addc_co_u32_e32 v16, vcc, v13, v28, vcc
	global_load_dword v32, v[25:26], off
	v_lshlrev_b64 v[4:5], 2, v[5:6]
	v_add_co_u32_e32 v25, vcc, s14, v29
	v_addc_co_u32_e32 v26, vcc, v14, v30, vcc
	global_load_dwordx2 v[19:20], v[19:20], off
	v_add_co_u32_e32 v4, vcc, s14, v4
	global_load_dwordx2 v[15:16], v[15:16], off
	v_addc_co_u32_e32 v5, vcc, v14, v5, vcc
	global_load_dword v25, v[25:26], off
	v_cmp_ge_i32_e32 vcc, v7, v9
	global_load_dword v4, v[4:5], off
	s_or_b64 s[8:9], vcc, s[8:9]
	v_add_u32_e32 v3, 40, v3
	s_waitcnt vmcnt(6)
	v_fmac_f32_e32 v10, v17, v8
	v_fmac_f32_e32 v11, v18, v8
	s_waitcnt vmcnt(5)
	v_fmac_f32_e32 v10, v23, v31
	v_fmac_f32_e32 v11, v24, v31
	;; [unrolled: 3-line block ×5, first 2 shown]
	s_andn2_b64 exec, exec, s[8:9]
	s_cbranch_execnz .LBB15_9
; %bb.10:
	s_or_b64 exec, exec, s[8:9]
.LBB15_11:
	s_or_b64 exec, exec, s[6:7]
	s_cbranch_execz .LBB15_13
	s_branch .LBB15_18
.LBB15_12:
                                        ; implicit-def: $vgpr10
                                        ; implicit-def: $vgpr11
.LBB15_13:
	v_mov_b32_e32 v10, 0
	v_mov_b32_e32 v11, 0
	s_and_saveexec_b64 s[6:7], s[0:1]
	s_cbranch_execz .LBB15_17
; %bb.14:
	v_mad_u64_u32 v[4:5], s[0:1], v2, 10, 9
	v_mov_b32_e32 v7, 0
	s_mov_b64 s[0:1], 0
	v_mov_b32_e32 v8, s11
	v_mov_b32_e32 v12, s13
	;; [unrolled: 1-line block ×5, first 2 shown]
.LBB15_15:                              ; =>This Inner Loop Header: Depth=1
	v_ashrrev_i32_e32 v3, 31, v2
	v_lshlrev_b64 v[17:18], 2, v[2:3]
	v_add_u32_e32 v6, -9, v4
	v_add_co_u32_e32 v17, vcc, s10, v17
	v_addc_co_u32_e32 v18, vcc, v8, v18, vcc
	global_load_dword v3, v[17:18], off
	v_lshlrev_b64 v[19:20], 2, v[6:7]
	v_add_u32_e32 v14, -4, v4
	v_mov_b32_e32 v15, v7
	v_lshlrev_b64 v[14:15], 2, v[14:15]
	v_add_co_u32_e32 v17, vcc, s12, v19
	v_mov_b32_e32 v5, v7
	v_addc_co_u32_e32 v18, vcc, v12, v20, vcc
	v_lshlrev_b64 v[5:6], 2, v[4:5]
	v_add_co_u32_e32 v14, vcc, s12, v14
	v_addc_co_u32_e32 v15, vcc, v12, v15, vcc
	v_add_co_u32_e32 v5, vcc, s12, v5
	v_mov_b32_e32 v16, v7
	v_addc_co_u32_e32 v6, vcc, v12, v6, vcc
	global_load_dword v27, v[14:15], off
	global_load_dword v28, v[5:6], off
	global_load_dwordx2 v[19:20], v[17:18], off
	v_add_u32_e32 v2, 4, v2
	s_waitcnt vmcnt(3)
	v_subrev_u32_e32 v3, s18, v3
	v_lshl_add_u32 v15, v3, 2, v3
	v_lshlrev_b64 v[16:17], 2, v[15:16]
	v_add_u32_e32 v6, 1, v15
	v_lshlrev_b64 v[21:22], 2, v[6:7]
	v_add_co_u32_e32 v16, vcc, s14, v16
	v_add_u32_e32 v6, -3, v4
	v_addc_co_u32_e32 v17, vcc, v13, v17, vcc
	v_lshlrev_b64 v[23:24], 2, v[6:7]
	v_add_co_u32_e32 v21, vcc, s14, v21
	v_add_u32_e32 v6, -7, v4
	v_addc_co_u32_e32 v22, vcc, v13, v22, vcc
	v_lshlrev_b64 v[25:26], 2, v[6:7]
	global_load_dword v3, v[16:17], off
	global_load_dword v18, v[21:22], off
	v_add_co_u32_e32 v16, vcc, s12, v23
	v_add_u32_e32 v6, 2, v15
	v_addc_co_u32_e32 v17, vcc, v12, v24, vcc
	v_lshlrev_b64 v[23:24], 2, v[6:7]
	v_add_co_u32_e32 v21, vcc, s12, v25
	v_add_u32_e32 v6, -2, v4
	v_addc_co_u32_e32 v22, vcc, v12, v26, vcc
	v_lshlrev_b64 v[25:26], 2, v[6:7]
	global_load_dword v29, v[16:17], off
	global_load_dword v30, v[21:22], off
	v_add_co_u32_e32 v16, vcc, s14, v23
	v_add_u32_e32 v6, -6, v4
	v_addc_co_u32_e32 v17, vcc, v13, v24, vcc
	v_lshlrev_b64 v[23:24], 2, v[6:7]
	v_add_co_u32_e32 v21, vcc, s12, v25
	v_add_u32_e32 v6, 3, v15
	v_addc_co_u32_e32 v22, vcc, v12, v26, vcc
	v_lshlrev_b64 v[25:26], 2, v[6:7]
	global_load_dword v31, v[16:17], off
	v_add_co_u32_e32 v16, vcc, s12, v23
	v_add_u32_e32 v6, -1, v4
	v_addc_co_u32_e32 v17, vcc, v12, v24, vcc
	v_lshlrev_b64 v[23:24], 2, v[6:7]
	v_add_u32_e32 v6, -5, v4
	v_add_co_u32_e32 v14, vcc, s14, v25
	global_load_dword v32, v[21:22], off
	global_load_dword v25, v[16:17], off
	v_lshlrev_b64 v[21:22], 2, v[6:7]
	v_add_u32_e32 v6, 4, v15
	v_addc_co_u32_e32 v15, vcc, v13, v26, vcc
	v_add_co_u32_e32 v16, vcc, s12, v23
	v_addc_co_u32_e32 v17, vcc, v12, v24, vcc
	v_lshlrev_b64 v[5:6], 2, v[6:7]
	global_load_dword v23, v[14:15], off
	v_add_co_u32_e32 v14, vcc, s12, v21
	v_addc_co_u32_e32 v15, vcc, v12, v22, vcc
	global_load_dword v16, v[16:17], off
	v_add_co_u32_e32 v5, vcc, s14, v5
	v_addc_co_u32_e32 v6, vcc, v13, v6, vcc
	global_load_dword v17, v[14:15], off
	global_load_dword v21, v[5:6], off
	v_cmp_ge_i32_e32 vcc, v2, v9
	s_or_b64 s[0:1], vcc, s[0:1]
	v_add_u32_e32 v4, 40, v4
	s_waitcnt vmcnt(10)
	v_fmac_f32_e32 v11, v27, v3
	v_fmac_f32_e32 v10, v19, v3
	s_waitcnt vmcnt(9)
	v_fmac_f32_e32 v10, v20, v18
	s_waitcnt vmcnt(8)
	;; [unrolled: 2-line block ×7, first 2 shown]
	v_fmac_f32_e32 v10, v17, v21
	v_fmac_f32_e32 v11, v28, v21
	s_andn2_b64 exec, exec, s[0:1]
	s_cbranch_execnz .LBB15_15
; %bb.16:
	s_or_b64 exec, exec, s[0:1]
.LBB15_17:
	s_or_b64 exec, exec, s[6:7]
.LBB15_18:
	v_mov_b32_dpp v2, v10 row_shr:1 row_mask:0xf bank_mask:0xf
	v_mov_b32_dpp v4, v11 row_shr:1 row_mask:0xf bank_mask:0xf
	v_add_f32_e32 v2, v10, v2
	v_add_f32_e32 v4, v11, v4
	v_cmp_eq_u32_e32 vcc, 3, v0
	v_mov_b32_dpp v3, v2 row_shr:2 row_mask:0xf bank_mask:0xf
	v_mov_b32_dpp v5, v4 row_shr:2 row_mask:0xf bank_mask:0xf
	s_and_b64 exec, exec, vcc
	s_cbranch_execz .LBB15_22
; %bb.19:
	s_load_dwordx2 s[0:1], s[4:5], 0x38
	v_add_f32_e32 v0, v2, v3
	v_add_f32_e32 v3, v4, v5
	v_cmp_eq_f32_e64 s[4:5], s2, 0
	s_and_b64 vcc, exec, s[4:5]
	v_mul_f32_e32 v2, s16, v0
	v_mul_f32_e32 v3, s16, v3
	v_lshlrev_b32_e32 v0, 1, v1
	s_cbranch_vccz .LBB15_23
; %bb.20:
	v_ashrrev_i32_e32 v1, 31, v0
	v_lshlrev_b64 v[4:5], 2, v[0:1]
	s_waitcnt lgkmcnt(0)
	v_mov_b32_e32 v1, s1
	v_add_co_u32_e32 v4, vcc, s0, v4
	v_addc_co_u32_e32 v5, vcc, v1, v5, vcc
	global_store_dwordx2 v[4:5], v[2:3], off
	s_cbranch_execnz .LBB15_22
.LBB15_21:
	v_ashrrev_i32_e32 v1, 31, v0
	v_lshlrev_b64 v[0:1], 2, v[0:1]
	s_waitcnt lgkmcnt(0)
	v_mov_b32_e32 v4, s1
	v_add_co_u32_e32 v0, vcc, s0, v0
	v_addc_co_u32_e32 v1, vcc, v4, v1, vcc
	global_load_dwordx2 v[4:5], v[0:1], off
	s_waitcnt vmcnt(0)
	v_fmac_f32_e32 v2, s2, v4
	v_fmac_f32_e32 v3, s2, v5
	global_store_dwordx2 v[0:1], v[2:3], off
.LBB15_22:
	s_endpgm
.LBB15_23:
	s_branch .LBB15_21
	.section	.rodata,"a",@progbits
	.p2align	6, 0x0
	.amdhsa_kernel _ZN9rocsparseL19gebsrmvn_2xn_kernelILj128ELj5ELj4EfEEvi20rocsparse_direction_NS_24const_host_device_scalarIT2_EEPKiS6_PKS3_S8_S4_PS3_21rocsparse_index_base_b
		.amdhsa_group_segment_fixed_size 0
		.amdhsa_private_segment_fixed_size 0
		.amdhsa_kernarg_size 72
		.amdhsa_user_sgpr_count 6
		.amdhsa_user_sgpr_private_segment_buffer 1
		.amdhsa_user_sgpr_dispatch_ptr 0
		.amdhsa_user_sgpr_queue_ptr 0
		.amdhsa_user_sgpr_kernarg_segment_ptr 1
		.amdhsa_user_sgpr_dispatch_id 0
		.amdhsa_user_sgpr_flat_scratch_init 0
		.amdhsa_user_sgpr_private_segment_size 0
		.amdhsa_uses_dynamic_stack 0
		.amdhsa_system_sgpr_private_segment_wavefront_offset 0
		.amdhsa_system_sgpr_workgroup_id_x 1
		.amdhsa_system_sgpr_workgroup_id_y 0
		.amdhsa_system_sgpr_workgroup_id_z 0
		.amdhsa_system_sgpr_workgroup_info 0
		.amdhsa_system_vgpr_workitem_id 0
		.amdhsa_next_free_vgpr 33
		.amdhsa_next_free_sgpr 20
		.amdhsa_reserve_vcc 1
		.amdhsa_reserve_flat_scratch 0
		.amdhsa_float_round_mode_32 0
		.amdhsa_float_round_mode_16_64 0
		.amdhsa_float_denorm_mode_32 3
		.amdhsa_float_denorm_mode_16_64 3
		.amdhsa_dx10_clamp 1
		.amdhsa_ieee_mode 1
		.amdhsa_fp16_overflow 0
		.amdhsa_exception_fp_ieee_invalid_op 0
		.amdhsa_exception_fp_denorm_src 0
		.amdhsa_exception_fp_ieee_div_zero 0
		.amdhsa_exception_fp_ieee_overflow 0
		.amdhsa_exception_fp_ieee_underflow 0
		.amdhsa_exception_fp_ieee_inexact 0
		.amdhsa_exception_int_div_zero 0
	.end_amdhsa_kernel
	.section	.text._ZN9rocsparseL19gebsrmvn_2xn_kernelILj128ELj5ELj4EfEEvi20rocsparse_direction_NS_24const_host_device_scalarIT2_EEPKiS6_PKS3_S8_S4_PS3_21rocsparse_index_base_b,"axG",@progbits,_ZN9rocsparseL19gebsrmvn_2xn_kernelILj128ELj5ELj4EfEEvi20rocsparse_direction_NS_24const_host_device_scalarIT2_EEPKiS6_PKS3_S8_S4_PS3_21rocsparse_index_base_b,comdat
.Lfunc_end15:
	.size	_ZN9rocsparseL19gebsrmvn_2xn_kernelILj128ELj5ELj4EfEEvi20rocsparse_direction_NS_24const_host_device_scalarIT2_EEPKiS6_PKS3_S8_S4_PS3_21rocsparse_index_base_b, .Lfunc_end15-_ZN9rocsparseL19gebsrmvn_2xn_kernelILj128ELj5ELj4EfEEvi20rocsparse_direction_NS_24const_host_device_scalarIT2_EEPKiS6_PKS3_S8_S4_PS3_21rocsparse_index_base_b
                                        ; -- End function
	.set _ZN9rocsparseL19gebsrmvn_2xn_kernelILj128ELj5ELj4EfEEvi20rocsparse_direction_NS_24const_host_device_scalarIT2_EEPKiS6_PKS3_S8_S4_PS3_21rocsparse_index_base_b.num_vgpr, 33
	.set _ZN9rocsparseL19gebsrmvn_2xn_kernelILj128ELj5ELj4EfEEvi20rocsparse_direction_NS_24const_host_device_scalarIT2_EEPKiS6_PKS3_S8_S4_PS3_21rocsparse_index_base_b.num_agpr, 0
	.set _ZN9rocsparseL19gebsrmvn_2xn_kernelILj128ELj5ELj4EfEEvi20rocsparse_direction_NS_24const_host_device_scalarIT2_EEPKiS6_PKS3_S8_S4_PS3_21rocsparse_index_base_b.numbered_sgpr, 20
	.set _ZN9rocsparseL19gebsrmvn_2xn_kernelILj128ELj5ELj4EfEEvi20rocsparse_direction_NS_24const_host_device_scalarIT2_EEPKiS6_PKS3_S8_S4_PS3_21rocsparse_index_base_b.num_named_barrier, 0
	.set _ZN9rocsparseL19gebsrmvn_2xn_kernelILj128ELj5ELj4EfEEvi20rocsparse_direction_NS_24const_host_device_scalarIT2_EEPKiS6_PKS3_S8_S4_PS3_21rocsparse_index_base_b.private_seg_size, 0
	.set _ZN9rocsparseL19gebsrmvn_2xn_kernelILj128ELj5ELj4EfEEvi20rocsparse_direction_NS_24const_host_device_scalarIT2_EEPKiS6_PKS3_S8_S4_PS3_21rocsparse_index_base_b.uses_vcc, 1
	.set _ZN9rocsparseL19gebsrmvn_2xn_kernelILj128ELj5ELj4EfEEvi20rocsparse_direction_NS_24const_host_device_scalarIT2_EEPKiS6_PKS3_S8_S4_PS3_21rocsparse_index_base_b.uses_flat_scratch, 0
	.set _ZN9rocsparseL19gebsrmvn_2xn_kernelILj128ELj5ELj4EfEEvi20rocsparse_direction_NS_24const_host_device_scalarIT2_EEPKiS6_PKS3_S8_S4_PS3_21rocsparse_index_base_b.has_dyn_sized_stack, 0
	.set _ZN9rocsparseL19gebsrmvn_2xn_kernelILj128ELj5ELj4EfEEvi20rocsparse_direction_NS_24const_host_device_scalarIT2_EEPKiS6_PKS3_S8_S4_PS3_21rocsparse_index_base_b.has_recursion, 0
	.set _ZN9rocsparseL19gebsrmvn_2xn_kernelILj128ELj5ELj4EfEEvi20rocsparse_direction_NS_24const_host_device_scalarIT2_EEPKiS6_PKS3_S8_S4_PS3_21rocsparse_index_base_b.has_indirect_call, 0
	.section	.AMDGPU.csdata,"",@progbits
; Kernel info:
; codeLenInByte = 1496
; TotalNumSgprs: 24
; NumVgprs: 33
; ScratchSize: 0
; MemoryBound: 0
; FloatMode: 240
; IeeeMode: 1
; LDSByteSize: 0 bytes/workgroup (compile time only)
; SGPRBlocks: 2
; VGPRBlocks: 8
; NumSGPRsForWavesPerEU: 24
; NumVGPRsForWavesPerEU: 33
; Occupancy: 7
; WaveLimiterHint : 1
; COMPUTE_PGM_RSRC2:SCRATCH_EN: 0
; COMPUTE_PGM_RSRC2:USER_SGPR: 6
; COMPUTE_PGM_RSRC2:TRAP_HANDLER: 0
; COMPUTE_PGM_RSRC2:TGID_X_EN: 1
; COMPUTE_PGM_RSRC2:TGID_Y_EN: 0
; COMPUTE_PGM_RSRC2:TGID_Z_EN: 0
; COMPUTE_PGM_RSRC2:TIDIG_COMP_CNT: 0
	.section	.text._ZN9rocsparseL19gebsrmvn_2xn_kernelILj128ELj5ELj8EfEEvi20rocsparse_direction_NS_24const_host_device_scalarIT2_EEPKiS6_PKS3_S8_S4_PS3_21rocsparse_index_base_b,"axG",@progbits,_ZN9rocsparseL19gebsrmvn_2xn_kernelILj128ELj5ELj8EfEEvi20rocsparse_direction_NS_24const_host_device_scalarIT2_EEPKiS6_PKS3_S8_S4_PS3_21rocsparse_index_base_b,comdat
	.globl	_ZN9rocsparseL19gebsrmvn_2xn_kernelILj128ELj5ELj8EfEEvi20rocsparse_direction_NS_24const_host_device_scalarIT2_EEPKiS6_PKS3_S8_S4_PS3_21rocsparse_index_base_b ; -- Begin function _ZN9rocsparseL19gebsrmvn_2xn_kernelILj128ELj5ELj8EfEEvi20rocsparse_direction_NS_24const_host_device_scalarIT2_EEPKiS6_PKS3_S8_S4_PS3_21rocsparse_index_base_b
	.p2align	8
	.type	_ZN9rocsparseL19gebsrmvn_2xn_kernelILj128ELj5ELj8EfEEvi20rocsparse_direction_NS_24const_host_device_scalarIT2_EEPKiS6_PKS3_S8_S4_PS3_21rocsparse_index_base_b,@function
_ZN9rocsparseL19gebsrmvn_2xn_kernelILj128ELj5ELj8EfEEvi20rocsparse_direction_NS_24const_host_device_scalarIT2_EEPKiS6_PKS3_S8_S4_PS3_21rocsparse_index_base_b: ; @_ZN9rocsparseL19gebsrmvn_2xn_kernelILj128ELj5ELj8EfEEvi20rocsparse_direction_NS_24const_host_device_scalarIT2_EEPKiS6_PKS3_S8_S4_PS3_21rocsparse_index_base_b
; %bb.0:
	s_load_dwordx2 s[18:19], s[4:5], 0x40
	s_load_dwordx2 s[16:17], s[4:5], 0x8
	s_load_dwordx2 s[2:3], s[4:5], 0x30
	s_waitcnt lgkmcnt(0)
	s_bitcmp1_b32 s19, 0
	s_cselect_b64 s[8:9], -1, 0
	s_xor_b64 s[0:1], s[8:9], -1
	s_and_b64 vcc, exec, s[8:9]
	s_cbranch_vccnz .LBB16_2
; %bb.1:
	s_load_dword s16, s[16:17], 0x0
.LBB16_2:
	s_andn2_b64 vcc, exec, s[0:1]
	s_cbranch_vccnz .LBB16_4
; %bb.3:
	s_load_dword s2, s[2:3], 0x0
.LBB16_4:
	s_waitcnt lgkmcnt(0)
	v_cmp_eq_f32_e64 s[0:1], s16, 0
	v_cmp_eq_f32_e64 s[8:9], s2, 1.0
	s_and_b64 s[0:1], s[0:1], s[8:9]
	s_and_b64 vcc, exec, s[0:1]
	s_cbranch_vccnz .LBB16_22
; %bb.5:
	s_load_dwordx2 s[0:1], s[4:5], 0x0
	v_lshrrev_b32_e32 v1, 3, v0
	v_lshl_or_b32 v1, s6, 4, v1
	s_waitcnt lgkmcnt(0)
	v_cmp_gt_i32_e32 vcc, s0, v1
	s_and_saveexec_b64 s[6:7], vcc
	s_cbranch_execz .LBB16_22
; %bb.6:
	s_load_dwordx8 s[8:15], s[4:5], 0x10
	v_ashrrev_i32_e32 v2, 31, v1
	v_lshlrev_b64 v[2:3], 2, v[1:2]
	v_and_b32_e32 v0, 7, v0
	s_cmp_lg_u32 s1, 0
	s_waitcnt lgkmcnt(0)
	v_mov_b32_e32 v4, s9
	v_add_co_u32_e32 v2, vcc, s8, v2
	v_addc_co_u32_e32 v3, vcc, v4, v3, vcc
	global_load_dwordx2 v[2:3], v[2:3], off
	s_waitcnt vmcnt(0)
	v_subrev_u32_e32 v2, s18, v2
	v_subrev_u32_e32 v9, s18, v3
	v_add_u32_e32 v2, v2, v0
	v_cmp_lt_i32_e64 s[0:1], v2, v9
	s_cbranch_scc0 .LBB16_12
; %bb.7:
	v_mov_b32_e32 v10, 0
	v_mov_b32_e32 v11, 0
	s_and_saveexec_b64 s[6:7], s[0:1]
	s_cbranch_execz .LBB16_11
; %bb.8:
	v_mad_u64_u32 v[3:4], s[8:9], v2, 10, 8
	v_mov_b32_e32 v6, 0
	s_mov_b64 s[8:9], 0
	v_mov_b32_e32 v12, s11
	v_mov_b32_e32 v13, s13
	;; [unrolled: 1-line block ×6, first 2 shown]
.LBB16_9:                               ; =>This Inner Loop Header: Depth=1
	v_ashrrev_i32_e32 v8, 31, v7
	v_lshlrev_b64 v[4:5], 2, v[7:8]
	v_mov_b32_e32 v16, v6
	v_add_co_u32_e32 v4, vcc, s10, v4
	v_addc_co_u32_e32 v5, vcc, v12, v5, vcc
	global_load_dword v8, v[4:5], off
	v_add_u32_e32 v5, -8, v3
	v_lshlrev_b64 v[17:18], 2, v[5:6]
	v_mov_b32_e32 v4, v6
	v_lshlrev_b64 v[19:20], 2, v[3:4]
	v_add_co_u32_e32 v17, vcc, s12, v17
	v_add_u32_e32 v5, -6, v3
	v_addc_co_u32_e32 v18, vcc, v13, v18, vcc
	v_lshlrev_b64 v[4:5], 2, v[5:6]
	v_add_co_u32_e32 v19, vcc, s12, v19
	v_addc_co_u32_e32 v20, vcc, v13, v20, vcc
	v_add_co_u32_e32 v4, vcc, s12, v4
	global_load_dwordx2 v[17:18], v[17:18], off
	v_addc_co_u32_e32 v5, vcc, v13, v5, vcc
	global_load_dwordx2 v[21:22], v[19:20], off
	global_load_dwordx2 v[23:24], v[4:5], off
	v_add_u32_e32 v7, 8, v7
	s_waitcnt vmcnt(3)
	v_subrev_u32_e32 v4, s18, v8
	v_lshl_add_u32 v15, v4, 2, v4
	v_lshlrev_b64 v[19:20], 2, v[15:16]
	v_add_u32_e32 v5, 1, v15
	v_lshlrev_b64 v[25:26], 2, v[5:6]
	v_add_co_u32_e32 v19, vcc, s14, v19
	v_add_u32_e32 v5, -4, v3
	v_addc_co_u32_e32 v20, vcc, v14, v20, vcc
	v_lshlrev_b64 v[27:28], 2, v[5:6]
	global_load_dword v8, v[19:20], off
	v_add_co_u32_e32 v19, vcc, s14, v25
	v_add_u32_e32 v5, 2, v15
	v_addc_co_u32_e32 v20, vcc, v14, v26, vcc
	v_lshlrev_b64 v[25:26], 2, v[5:6]
	global_load_dword v31, v[19:20], off
	v_add_co_u32_e32 v19, vcc, s12, v27
	v_add_u32_e32 v5, -2, v3
	v_addc_co_u32_e32 v20, vcc, v13, v28, vcc
	v_lshlrev_b64 v[27:28], 2, v[5:6]
	v_add_co_u32_e32 v25, vcc, s14, v25
	v_add_u32_e32 v5, 3, v15
	v_addc_co_u32_e32 v26, vcc, v14, v26, vcc
	v_lshlrev_b64 v[29:30], 2, v[5:6]
	v_add_u32_e32 v5, 4, v15
	v_add_co_u32_e32 v15, vcc, s12, v27
	v_addc_co_u32_e32 v16, vcc, v13, v28, vcc
	global_load_dword v32, v[25:26], off
	v_lshlrev_b64 v[4:5], 2, v[5:6]
	v_add_co_u32_e32 v25, vcc, s14, v29
	v_addc_co_u32_e32 v26, vcc, v14, v30, vcc
	global_load_dwordx2 v[19:20], v[19:20], off
	v_add_co_u32_e32 v4, vcc, s14, v4
	global_load_dwordx2 v[15:16], v[15:16], off
	v_addc_co_u32_e32 v5, vcc, v14, v5, vcc
	global_load_dword v25, v[25:26], off
	v_cmp_ge_i32_e32 vcc, v7, v9
	global_load_dword v4, v[4:5], off
	s_or_b64 s[8:9], vcc, s[8:9]
	v_add_u32_e32 v3, 0x50, v3
	s_waitcnt vmcnt(6)
	v_fmac_f32_e32 v10, v17, v8
	v_fmac_f32_e32 v11, v18, v8
	s_waitcnt vmcnt(5)
	v_fmac_f32_e32 v10, v23, v31
	v_fmac_f32_e32 v11, v24, v31
	;; [unrolled: 3-line block ×5, first 2 shown]
	s_andn2_b64 exec, exec, s[8:9]
	s_cbranch_execnz .LBB16_9
; %bb.10:
	s_or_b64 exec, exec, s[8:9]
.LBB16_11:
	s_or_b64 exec, exec, s[6:7]
	s_cbranch_execz .LBB16_13
	s_branch .LBB16_18
.LBB16_12:
                                        ; implicit-def: $vgpr10
                                        ; implicit-def: $vgpr11
.LBB16_13:
	v_mov_b32_e32 v10, 0
	v_mov_b32_e32 v11, 0
	s_and_saveexec_b64 s[6:7], s[0:1]
	s_cbranch_execz .LBB16_17
; %bb.14:
	v_mad_u64_u32 v[4:5], s[0:1], v2, 10, 9
	v_mov_b32_e32 v7, 0
	s_mov_b64 s[0:1], 0
	v_mov_b32_e32 v8, s11
	v_mov_b32_e32 v12, s13
	;; [unrolled: 1-line block ×5, first 2 shown]
.LBB16_15:                              ; =>This Inner Loop Header: Depth=1
	v_ashrrev_i32_e32 v3, 31, v2
	v_lshlrev_b64 v[17:18], 2, v[2:3]
	v_add_u32_e32 v6, -9, v4
	v_add_co_u32_e32 v17, vcc, s10, v17
	v_addc_co_u32_e32 v18, vcc, v8, v18, vcc
	global_load_dword v3, v[17:18], off
	v_lshlrev_b64 v[19:20], 2, v[6:7]
	v_add_u32_e32 v14, -4, v4
	v_mov_b32_e32 v15, v7
	v_lshlrev_b64 v[14:15], 2, v[14:15]
	v_add_co_u32_e32 v17, vcc, s12, v19
	v_mov_b32_e32 v5, v7
	v_addc_co_u32_e32 v18, vcc, v12, v20, vcc
	v_lshlrev_b64 v[5:6], 2, v[4:5]
	v_add_co_u32_e32 v14, vcc, s12, v14
	v_addc_co_u32_e32 v15, vcc, v12, v15, vcc
	v_add_co_u32_e32 v5, vcc, s12, v5
	v_mov_b32_e32 v16, v7
	v_addc_co_u32_e32 v6, vcc, v12, v6, vcc
	global_load_dword v27, v[14:15], off
	global_load_dword v28, v[5:6], off
	global_load_dwordx2 v[19:20], v[17:18], off
	v_add_u32_e32 v2, 8, v2
	s_waitcnt vmcnt(3)
	v_subrev_u32_e32 v3, s18, v3
	v_lshl_add_u32 v15, v3, 2, v3
	v_lshlrev_b64 v[16:17], 2, v[15:16]
	v_add_u32_e32 v6, 1, v15
	v_lshlrev_b64 v[21:22], 2, v[6:7]
	v_add_co_u32_e32 v16, vcc, s14, v16
	v_add_u32_e32 v6, -3, v4
	v_addc_co_u32_e32 v17, vcc, v13, v17, vcc
	v_lshlrev_b64 v[23:24], 2, v[6:7]
	v_add_co_u32_e32 v21, vcc, s14, v21
	v_add_u32_e32 v6, -7, v4
	v_addc_co_u32_e32 v22, vcc, v13, v22, vcc
	v_lshlrev_b64 v[25:26], 2, v[6:7]
	global_load_dword v3, v[16:17], off
	global_load_dword v18, v[21:22], off
	v_add_co_u32_e32 v16, vcc, s12, v23
	v_add_u32_e32 v6, 2, v15
	v_addc_co_u32_e32 v17, vcc, v12, v24, vcc
	v_lshlrev_b64 v[23:24], 2, v[6:7]
	v_add_co_u32_e32 v21, vcc, s12, v25
	v_add_u32_e32 v6, -2, v4
	v_addc_co_u32_e32 v22, vcc, v12, v26, vcc
	v_lshlrev_b64 v[25:26], 2, v[6:7]
	global_load_dword v29, v[16:17], off
	global_load_dword v30, v[21:22], off
	v_add_co_u32_e32 v16, vcc, s14, v23
	v_add_u32_e32 v6, -6, v4
	v_addc_co_u32_e32 v17, vcc, v13, v24, vcc
	v_lshlrev_b64 v[23:24], 2, v[6:7]
	v_add_co_u32_e32 v21, vcc, s12, v25
	v_add_u32_e32 v6, 3, v15
	v_addc_co_u32_e32 v22, vcc, v12, v26, vcc
	v_lshlrev_b64 v[25:26], 2, v[6:7]
	global_load_dword v31, v[16:17], off
	v_add_co_u32_e32 v16, vcc, s12, v23
	v_add_u32_e32 v6, -1, v4
	v_addc_co_u32_e32 v17, vcc, v12, v24, vcc
	v_lshlrev_b64 v[23:24], 2, v[6:7]
	v_add_u32_e32 v6, -5, v4
	v_add_co_u32_e32 v14, vcc, s14, v25
	global_load_dword v32, v[21:22], off
	global_load_dword v25, v[16:17], off
	v_lshlrev_b64 v[21:22], 2, v[6:7]
	v_add_u32_e32 v6, 4, v15
	v_addc_co_u32_e32 v15, vcc, v13, v26, vcc
	v_add_co_u32_e32 v16, vcc, s12, v23
	v_addc_co_u32_e32 v17, vcc, v12, v24, vcc
	v_lshlrev_b64 v[5:6], 2, v[6:7]
	global_load_dword v23, v[14:15], off
	v_add_co_u32_e32 v14, vcc, s12, v21
	v_addc_co_u32_e32 v15, vcc, v12, v22, vcc
	global_load_dword v16, v[16:17], off
	v_add_co_u32_e32 v5, vcc, s14, v5
	v_addc_co_u32_e32 v6, vcc, v13, v6, vcc
	global_load_dword v17, v[14:15], off
	global_load_dword v21, v[5:6], off
	v_cmp_ge_i32_e32 vcc, v2, v9
	s_or_b64 s[0:1], vcc, s[0:1]
	v_add_u32_e32 v4, 0x50, v4
	s_waitcnt vmcnt(10)
	v_fmac_f32_e32 v11, v27, v3
	v_fmac_f32_e32 v10, v19, v3
	s_waitcnt vmcnt(9)
	v_fmac_f32_e32 v10, v20, v18
	s_waitcnt vmcnt(8)
	;; [unrolled: 2-line block ×7, first 2 shown]
	v_fmac_f32_e32 v10, v17, v21
	v_fmac_f32_e32 v11, v28, v21
	s_andn2_b64 exec, exec, s[0:1]
	s_cbranch_execnz .LBB16_15
; %bb.16:
	s_or_b64 exec, exec, s[0:1]
.LBB16_17:
	s_or_b64 exec, exec, s[6:7]
.LBB16_18:
	v_mov_b32_dpp v2, v10 row_shr:1 row_mask:0xf bank_mask:0xf
	v_mov_b32_dpp v4, v11 row_shr:1 row_mask:0xf bank_mask:0xf
	v_add_f32_e32 v2, v10, v2
	v_add_f32_e32 v4, v11, v4
	v_cmp_eq_u32_e32 vcc, 7, v0
	v_mov_b32_dpp v3, v2 row_shr:2 row_mask:0xf bank_mask:0xf
	v_mov_b32_dpp v5, v4 row_shr:2 row_mask:0xf bank_mask:0xf
	v_add_f32_e32 v2, v2, v3
	v_add_f32_e32 v4, v4, v5
	s_nop 0
	v_mov_b32_dpp v3, v2 row_shr:4 row_mask:0xf bank_mask:0xe
	v_mov_b32_dpp v5, v4 row_shr:4 row_mask:0xf bank_mask:0xe
	s_and_b64 exec, exec, vcc
	s_cbranch_execz .LBB16_22
; %bb.19:
	s_load_dwordx2 s[0:1], s[4:5], 0x38
	v_add_f32_e32 v0, v2, v3
	v_add_f32_e32 v3, v4, v5
	v_cmp_eq_f32_e64 s[4:5], s2, 0
	s_and_b64 vcc, exec, s[4:5]
	v_mul_f32_e32 v2, s16, v0
	v_mul_f32_e32 v3, s16, v3
	v_lshlrev_b32_e32 v0, 1, v1
	s_cbranch_vccz .LBB16_23
; %bb.20:
	v_ashrrev_i32_e32 v1, 31, v0
	v_lshlrev_b64 v[4:5], 2, v[0:1]
	s_waitcnt lgkmcnt(0)
	v_mov_b32_e32 v1, s1
	v_add_co_u32_e32 v4, vcc, s0, v4
	v_addc_co_u32_e32 v5, vcc, v1, v5, vcc
	global_store_dwordx2 v[4:5], v[2:3], off
	s_cbranch_execnz .LBB16_22
.LBB16_21:
	v_ashrrev_i32_e32 v1, 31, v0
	v_lshlrev_b64 v[0:1], 2, v[0:1]
	s_waitcnt lgkmcnt(0)
	v_mov_b32_e32 v4, s1
	v_add_co_u32_e32 v0, vcc, s0, v0
	v_addc_co_u32_e32 v1, vcc, v4, v1, vcc
	global_load_dwordx2 v[4:5], v[0:1], off
	s_waitcnt vmcnt(0)
	v_fmac_f32_e32 v2, s2, v4
	v_fmac_f32_e32 v3, s2, v5
	global_store_dwordx2 v[0:1], v[2:3], off
.LBB16_22:
	s_endpgm
.LBB16_23:
	s_branch .LBB16_21
	.section	.rodata,"a",@progbits
	.p2align	6, 0x0
	.amdhsa_kernel _ZN9rocsparseL19gebsrmvn_2xn_kernelILj128ELj5ELj8EfEEvi20rocsparse_direction_NS_24const_host_device_scalarIT2_EEPKiS6_PKS3_S8_S4_PS3_21rocsparse_index_base_b
		.amdhsa_group_segment_fixed_size 0
		.amdhsa_private_segment_fixed_size 0
		.amdhsa_kernarg_size 72
		.amdhsa_user_sgpr_count 6
		.amdhsa_user_sgpr_private_segment_buffer 1
		.amdhsa_user_sgpr_dispatch_ptr 0
		.amdhsa_user_sgpr_queue_ptr 0
		.amdhsa_user_sgpr_kernarg_segment_ptr 1
		.amdhsa_user_sgpr_dispatch_id 0
		.amdhsa_user_sgpr_flat_scratch_init 0
		.amdhsa_user_sgpr_private_segment_size 0
		.amdhsa_uses_dynamic_stack 0
		.amdhsa_system_sgpr_private_segment_wavefront_offset 0
		.amdhsa_system_sgpr_workgroup_id_x 1
		.amdhsa_system_sgpr_workgroup_id_y 0
		.amdhsa_system_sgpr_workgroup_id_z 0
		.amdhsa_system_sgpr_workgroup_info 0
		.amdhsa_system_vgpr_workitem_id 0
		.amdhsa_next_free_vgpr 33
		.amdhsa_next_free_sgpr 20
		.amdhsa_reserve_vcc 1
		.amdhsa_reserve_flat_scratch 0
		.amdhsa_float_round_mode_32 0
		.amdhsa_float_round_mode_16_64 0
		.amdhsa_float_denorm_mode_32 3
		.amdhsa_float_denorm_mode_16_64 3
		.amdhsa_dx10_clamp 1
		.amdhsa_ieee_mode 1
		.amdhsa_fp16_overflow 0
		.amdhsa_exception_fp_ieee_invalid_op 0
		.amdhsa_exception_fp_denorm_src 0
		.amdhsa_exception_fp_ieee_div_zero 0
		.amdhsa_exception_fp_ieee_overflow 0
		.amdhsa_exception_fp_ieee_underflow 0
		.amdhsa_exception_fp_ieee_inexact 0
		.amdhsa_exception_int_div_zero 0
	.end_amdhsa_kernel
	.section	.text._ZN9rocsparseL19gebsrmvn_2xn_kernelILj128ELj5ELj8EfEEvi20rocsparse_direction_NS_24const_host_device_scalarIT2_EEPKiS6_PKS3_S8_S4_PS3_21rocsparse_index_base_b,"axG",@progbits,_ZN9rocsparseL19gebsrmvn_2xn_kernelILj128ELj5ELj8EfEEvi20rocsparse_direction_NS_24const_host_device_scalarIT2_EEPKiS6_PKS3_S8_S4_PS3_21rocsparse_index_base_b,comdat
.Lfunc_end16:
	.size	_ZN9rocsparseL19gebsrmvn_2xn_kernelILj128ELj5ELj8EfEEvi20rocsparse_direction_NS_24const_host_device_scalarIT2_EEPKiS6_PKS3_S8_S4_PS3_21rocsparse_index_base_b, .Lfunc_end16-_ZN9rocsparseL19gebsrmvn_2xn_kernelILj128ELj5ELj8EfEEvi20rocsparse_direction_NS_24const_host_device_scalarIT2_EEPKiS6_PKS3_S8_S4_PS3_21rocsparse_index_base_b
                                        ; -- End function
	.set _ZN9rocsparseL19gebsrmvn_2xn_kernelILj128ELj5ELj8EfEEvi20rocsparse_direction_NS_24const_host_device_scalarIT2_EEPKiS6_PKS3_S8_S4_PS3_21rocsparse_index_base_b.num_vgpr, 33
	.set _ZN9rocsparseL19gebsrmvn_2xn_kernelILj128ELj5ELj8EfEEvi20rocsparse_direction_NS_24const_host_device_scalarIT2_EEPKiS6_PKS3_S8_S4_PS3_21rocsparse_index_base_b.num_agpr, 0
	.set _ZN9rocsparseL19gebsrmvn_2xn_kernelILj128ELj5ELj8EfEEvi20rocsparse_direction_NS_24const_host_device_scalarIT2_EEPKiS6_PKS3_S8_S4_PS3_21rocsparse_index_base_b.numbered_sgpr, 20
	.set _ZN9rocsparseL19gebsrmvn_2xn_kernelILj128ELj5ELj8EfEEvi20rocsparse_direction_NS_24const_host_device_scalarIT2_EEPKiS6_PKS3_S8_S4_PS3_21rocsparse_index_base_b.num_named_barrier, 0
	.set _ZN9rocsparseL19gebsrmvn_2xn_kernelILj128ELj5ELj8EfEEvi20rocsparse_direction_NS_24const_host_device_scalarIT2_EEPKiS6_PKS3_S8_S4_PS3_21rocsparse_index_base_b.private_seg_size, 0
	.set _ZN9rocsparseL19gebsrmvn_2xn_kernelILj128ELj5ELj8EfEEvi20rocsparse_direction_NS_24const_host_device_scalarIT2_EEPKiS6_PKS3_S8_S4_PS3_21rocsparse_index_base_b.uses_vcc, 1
	.set _ZN9rocsparseL19gebsrmvn_2xn_kernelILj128ELj5ELj8EfEEvi20rocsparse_direction_NS_24const_host_device_scalarIT2_EEPKiS6_PKS3_S8_S4_PS3_21rocsparse_index_base_b.uses_flat_scratch, 0
	.set _ZN9rocsparseL19gebsrmvn_2xn_kernelILj128ELj5ELj8EfEEvi20rocsparse_direction_NS_24const_host_device_scalarIT2_EEPKiS6_PKS3_S8_S4_PS3_21rocsparse_index_base_b.has_dyn_sized_stack, 0
	.set _ZN9rocsparseL19gebsrmvn_2xn_kernelILj128ELj5ELj8EfEEvi20rocsparse_direction_NS_24const_host_device_scalarIT2_EEPKiS6_PKS3_S8_S4_PS3_21rocsparse_index_base_b.has_recursion, 0
	.set _ZN9rocsparseL19gebsrmvn_2xn_kernelILj128ELj5ELj8EfEEvi20rocsparse_direction_NS_24const_host_device_scalarIT2_EEPKiS6_PKS3_S8_S4_PS3_21rocsparse_index_base_b.has_indirect_call, 0
	.section	.AMDGPU.csdata,"",@progbits
; Kernel info:
; codeLenInByte = 1532
; TotalNumSgprs: 24
; NumVgprs: 33
; ScratchSize: 0
; MemoryBound: 0
; FloatMode: 240
; IeeeMode: 1
; LDSByteSize: 0 bytes/workgroup (compile time only)
; SGPRBlocks: 2
; VGPRBlocks: 8
; NumSGPRsForWavesPerEU: 24
; NumVGPRsForWavesPerEU: 33
; Occupancy: 7
; WaveLimiterHint : 1
; COMPUTE_PGM_RSRC2:SCRATCH_EN: 0
; COMPUTE_PGM_RSRC2:USER_SGPR: 6
; COMPUTE_PGM_RSRC2:TRAP_HANDLER: 0
; COMPUTE_PGM_RSRC2:TGID_X_EN: 1
; COMPUTE_PGM_RSRC2:TGID_Y_EN: 0
; COMPUTE_PGM_RSRC2:TGID_Z_EN: 0
; COMPUTE_PGM_RSRC2:TIDIG_COMP_CNT: 0
	.section	.text._ZN9rocsparseL19gebsrmvn_2xn_kernelILj128ELj5ELj16EfEEvi20rocsparse_direction_NS_24const_host_device_scalarIT2_EEPKiS6_PKS3_S8_S4_PS3_21rocsparse_index_base_b,"axG",@progbits,_ZN9rocsparseL19gebsrmvn_2xn_kernelILj128ELj5ELj16EfEEvi20rocsparse_direction_NS_24const_host_device_scalarIT2_EEPKiS6_PKS3_S8_S4_PS3_21rocsparse_index_base_b,comdat
	.globl	_ZN9rocsparseL19gebsrmvn_2xn_kernelILj128ELj5ELj16EfEEvi20rocsparse_direction_NS_24const_host_device_scalarIT2_EEPKiS6_PKS3_S8_S4_PS3_21rocsparse_index_base_b ; -- Begin function _ZN9rocsparseL19gebsrmvn_2xn_kernelILj128ELj5ELj16EfEEvi20rocsparse_direction_NS_24const_host_device_scalarIT2_EEPKiS6_PKS3_S8_S4_PS3_21rocsparse_index_base_b
	.p2align	8
	.type	_ZN9rocsparseL19gebsrmvn_2xn_kernelILj128ELj5ELj16EfEEvi20rocsparse_direction_NS_24const_host_device_scalarIT2_EEPKiS6_PKS3_S8_S4_PS3_21rocsparse_index_base_b,@function
_ZN9rocsparseL19gebsrmvn_2xn_kernelILj128ELj5ELj16EfEEvi20rocsparse_direction_NS_24const_host_device_scalarIT2_EEPKiS6_PKS3_S8_S4_PS3_21rocsparse_index_base_b: ; @_ZN9rocsparseL19gebsrmvn_2xn_kernelILj128ELj5ELj16EfEEvi20rocsparse_direction_NS_24const_host_device_scalarIT2_EEPKiS6_PKS3_S8_S4_PS3_21rocsparse_index_base_b
; %bb.0:
	s_load_dwordx2 s[18:19], s[4:5], 0x40
	s_load_dwordx2 s[16:17], s[4:5], 0x8
	;; [unrolled: 1-line block ×3, first 2 shown]
	s_waitcnt lgkmcnt(0)
	s_bitcmp1_b32 s19, 0
	s_cselect_b64 s[8:9], -1, 0
	s_xor_b64 s[0:1], s[8:9], -1
	s_and_b64 vcc, exec, s[8:9]
	s_cbranch_vccnz .LBB17_2
; %bb.1:
	s_load_dword s16, s[16:17], 0x0
.LBB17_2:
	s_andn2_b64 vcc, exec, s[0:1]
	s_cbranch_vccnz .LBB17_4
; %bb.3:
	s_load_dword s2, s[2:3], 0x0
.LBB17_4:
	s_waitcnt lgkmcnt(0)
	v_cmp_eq_f32_e64 s[0:1], s16, 0
	v_cmp_eq_f32_e64 s[8:9], s2, 1.0
	s_and_b64 s[0:1], s[0:1], s[8:9]
	s_and_b64 vcc, exec, s[0:1]
	s_cbranch_vccnz .LBB17_22
; %bb.5:
	s_load_dwordx2 s[0:1], s[4:5], 0x0
	v_lshrrev_b32_e32 v1, 4, v0
	v_lshl_or_b32 v1, s6, 3, v1
	s_waitcnt lgkmcnt(0)
	v_cmp_gt_i32_e32 vcc, s0, v1
	s_and_saveexec_b64 s[6:7], vcc
	s_cbranch_execz .LBB17_22
; %bb.6:
	s_load_dwordx8 s[8:15], s[4:5], 0x10
	v_ashrrev_i32_e32 v2, 31, v1
	v_lshlrev_b64 v[2:3], 2, v[1:2]
	v_and_b32_e32 v0, 15, v0
	s_cmp_lg_u32 s1, 0
	s_waitcnt lgkmcnt(0)
	v_mov_b32_e32 v4, s9
	v_add_co_u32_e32 v2, vcc, s8, v2
	v_addc_co_u32_e32 v3, vcc, v4, v3, vcc
	global_load_dwordx2 v[2:3], v[2:3], off
	s_waitcnt vmcnt(0)
	v_subrev_u32_e32 v2, s18, v2
	v_subrev_u32_e32 v9, s18, v3
	v_add_u32_e32 v2, v2, v0
	v_cmp_lt_i32_e64 s[0:1], v2, v9
	s_cbranch_scc0 .LBB17_12
; %bb.7:
	v_mov_b32_e32 v10, 0
	v_mov_b32_e32 v11, 0
	s_and_saveexec_b64 s[6:7], s[0:1]
	s_cbranch_execz .LBB17_11
; %bb.8:
	v_mad_u64_u32 v[3:4], s[8:9], v2, 10, 8
	v_mov_b32_e32 v6, 0
	s_mov_b64 s[8:9], 0
	v_mov_b32_e32 v12, s11
	v_mov_b32_e32 v13, s13
	v_mov_b32_e32 v14, s15
	v_mov_b32_e32 v7, v2
	v_mov_b32_e32 v10, 0
	v_mov_b32_e32 v11, 0
.LBB17_9:                               ; =>This Inner Loop Header: Depth=1
	v_ashrrev_i32_e32 v8, 31, v7
	v_lshlrev_b64 v[4:5], 2, v[7:8]
	v_mov_b32_e32 v16, v6
	v_add_co_u32_e32 v4, vcc, s10, v4
	v_addc_co_u32_e32 v5, vcc, v12, v5, vcc
	global_load_dword v8, v[4:5], off
	v_add_u32_e32 v5, -8, v3
	v_lshlrev_b64 v[17:18], 2, v[5:6]
	v_mov_b32_e32 v4, v6
	v_lshlrev_b64 v[19:20], 2, v[3:4]
	v_add_co_u32_e32 v17, vcc, s12, v17
	v_add_u32_e32 v5, -6, v3
	v_addc_co_u32_e32 v18, vcc, v13, v18, vcc
	v_lshlrev_b64 v[4:5], 2, v[5:6]
	v_add_co_u32_e32 v19, vcc, s12, v19
	v_addc_co_u32_e32 v20, vcc, v13, v20, vcc
	v_add_co_u32_e32 v4, vcc, s12, v4
	global_load_dwordx2 v[17:18], v[17:18], off
	v_addc_co_u32_e32 v5, vcc, v13, v5, vcc
	global_load_dwordx2 v[21:22], v[19:20], off
	global_load_dwordx2 v[23:24], v[4:5], off
	v_add_u32_e32 v7, 16, v7
	s_waitcnt vmcnt(3)
	v_subrev_u32_e32 v4, s18, v8
	v_lshl_add_u32 v15, v4, 2, v4
	v_lshlrev_b64 v[19:20], 2, v[15:16]
	v_add_u32_e32 v5, 1, v15
	v_lshlrev_b64 v[25:26], 2, v[5:6]
	v_add_co_u32_e32 v19, vcc, s14, v19
	v_add_u32_e32 v5, -4, v3
	v_addc_co_u32_e32 v20, vcc, v14, v20, vcc
	v_lshlrev_b64 v[27:28], 2, v[5:6]
	global_load_dword v8, v[19:20], off
	v_add_co_u32_e32 v19, vcc, s14, v25
	v_add_u32_e32 v5, 2, v15
	v_addc_co_u32_e32 v20, vcc, v14, v26, vcc
	v_lshlrev_b64 v[25:26], 2, v[5:6]
	global_load_dword v31, v[19:20], off
	v_add_co_u32_e32 v19, vcc, s12, v27
	v_add_u32_e32 v5, -2, v3
	v_addc_co_u32_e32 v20, vcc, v13, v28, vcc
	v_lshlrev_b64 v[27:28], 2, v[5:6]
	v_add_co_u32_e32 v25, vcc, s14, v25
	v_add_u32_e32 v5, 3, v15
	v_addc_co_u32_e32 v26, vcc, v14, v26, vcc
	v_lshlrev_b64 v[29:30], 2, v[5:6]
	v_add_u32_e32 v5, 4, v15
	v_add_co_u32_e32 v15, vcc, s12, v27
	v_addc_co_u32_e32 v16, vcc, v13, v28, vcc
	global_load_dword v32, v[25:26], off
	v_lshlrev_b64 v[4:5], 2, v[5:6]
	v_add_co_u32_e32 v25, vcc, s14, v29
	v_addc_co_u32_e32 v26, vcc, v14, v30, vcc
	global_load_dwordx2 v[19:20], v[19:20], off
	v_add_co_u32_e32 v4, vcc, s14, v4
	global_load_dwordx2 v[15:16], v[15:16], off
	v_addc_co_u32_e32 v5, vcc, v14, v5, vcc
	global_load_dword v25, v[25:26], off
	v_cmp_ge_i32_e32 vcc, v7, v9
	global_load_dword v4, v[4:5], off
	s_or_b64 s[8:9], vcc, s[8:9]
	v_add_u32_e32 v3, 0xa0, v3
	s_waitcnt vmcnt(6)
	v_fmac_f32_e32 v10, v17, v8
	v_fmac_f32_e32 v11, v18, v8
	s_waitcnt vmcnt(5)
	v_fmac_f32_e32 v10, v23, v31
	v_fmac_f32_e32 v11, v24, v31
	;; [unrolled: 3-line block ×5, first 2 shown]
	s_andn2_b64 exec, exec, s[8:9]
	s_cbranch_execnz .LBB17_9
; %bb.10:
	s_or_b64 exec, exec, s[8:9]
.LBB17_11:
	s_or_b64 exec, exec, s[6:7]
	s_cbranch_execz .LBB17_13
	s_branch .LBB17_18
.LBB17_12:
                                        ; implicit-def: $vgpr10
                                        ; implicit-def: $vgpr11
.LBB17_13:
	v_mov_b32_e32 v10, 0
	v_mov_b32_e32 v11, 0
	s_and_saveexec_b64 s[6:7], s[0:1]
	s_cbranch_execz .LBB17_17
; %bb.14:
	v_mad_u64_u32 v[4:5], s[0:1], v2, 10, 9
	v_mov_b32_e32 v7, 0
	s_mov_b64 s[0:1], 0
	v_mov_b32_e32 v8, s11
	v_mov_b32_e32 v12, s13
	;; [unrolled: 1-line block ×5, first 2 shown]
.LBB17_15:                              ; =>This Inner Loop Header: Depth=1
	v_ashrrev_i32_e32 v3, 31, v2
	v_lshlrev_b64 v[17:18], 2, v[2:3]
	v_add_u32_e32 v6, -9, v4
	v_add_co_u32_e32 v17, vcc, s10, v17
	v_addc_co_u32_e32 v18, vcc, v8, v18, vcc
	global_load_dword v3, v[17:18], off
	v_lshlrev_b64 v[19:20], 2, v[6:7]
	v_add_u32_e32 v14, -4, v4
	v_mov_b32_e32 v15, v7
	v_lshlrev_b64 v[14:15], 2, v[14:15]
	v_add_co_u32_e32 v17, vcc, s12, v19
	v_mov_b32_e32 v5, v7
	v_addc_co_u32_e32 v18, vcc, v12, v20, vcc
	v_lshlrev_b64 v[5:6], 2, v[4:5]
	v_add_co_u32_e32 v14, vcc, s12, v14
	v_addc_co_u32_e32 v15, vcc, v12, v15, vcc
	v_add_co_u32_e32 v5, vcc, s12, v5
	v_mov_b32_e32 v16, v7
	v_addc_co_u32_e32 v6, vcc, v12, v6, vcc
	global_load_dword v27, v[14:15], off
	global_load_dword v28, v[5:6], off
	global_load_dwordx2 v[19:20], v[17:18], off
	v_add_u32_e32 v2, 16, v2
	s_waitcnt vmcnt(3)
	v_subrev_u32_e32 v3, s18, v3
	v_lshl_add_u32 v15, v3, 2, v3
	v_lshlrev_b64 v[16:17], 2, v[15:16]
	v_add_u32_e32 v6, 1, v15
	v_lshlrev_b64 v[21:22], 2, v[6:7]
	v_add_co_u32_e32 v16, vcc, s14, v16
	v_add_u32_e32 v6, -3, v4
	v_addc_co_u32_e32 v17, vcc, v13, v17, vcc
	v_lshlrev_b64 v[23:24], 2, v[6:7]
	v_add_co_u32_e32 v21, vcc, s14, v21
	v_add_u32_e32 v6, -7, v4
	v_addc_co_u32_e32 v22, vcc, v13, v22, vcc
	v_lshlrev_b64 v[25:26], 2, v[6:7]
	global_load_dword v3, v[16:17], off
	global_load_dword v18, v[21:22], off
	v_add_co_u32_e32 v16, vcc, s12, v23
	v_add_u32_e32 v6, 2, v15
	v_addc_co_u32_e32 v17, vcc, v12, v24, vcc
	v_lshlrev_b64 v[23:24], 2, v[6:7]
	v_add_co_u32_e32 v21, vcc, s12, v25
	v_add_u32_e32 v6, -2, v4
	v_addc_co_u32_e32 v22, vcc, v12, v26, vcc
	v_lshlrev_b64 v[25:26], 2, v[6:7]
	global_load_dword v29, v[16:17], off
	global_load_dword v30, v[21:22], off
	v_add_co_u32_e32 v16, vcc, s14, v23
	v_add_u32_e32 v6, -6, v4
	v_addc_co_u32_e32 v17, vcc, v13, v24, vcc
	v_lshlrev_b64 v[23:24], 2, v[6:7]
	v_add_co_u32_e32 v21, vcc, s12, v25
	v_add_u32_e32 v6, 3, v15
	v_addc_co_u32_e32 v22, vcc, v12, v26, vcc
	v_lshlrev_b64 v[25:26], 2, v[6:7]
	global_load_dword v31, v[16:17], off
	v_add_co_u32_e32 v16, vcc, s12, v23
	v_add_u32_e32 v6, -1, v4
	v_addc_co_u32_e32 v17, vcc, v12, v24, vcc
	v_lshlrev_b64 v[23:24], 2, v[6:7]
	v_add_u32_e32 v6, -5, v4
	v_add_co_u32_e32 v14, vcc, s14, v25
	global_load_dword v32, v[21:22], off
	global_load_dword v25, v[16:17], off
	v_lshlrev_b64 v[21:22], 2, v[6:7]
	v_add_u32_e32 v6, 4, v15
	v_addc_co_u32_e32 v15, vcc, v13, v26, vcc
	v_add_co_u32_e32 v16, vcc, s12, v23
	v_addc_co_u32_e32 v17, vcc, v12, v24, vcc
	v_lshlrev_b64 v[5:6], 2, v[6:7]
	global_load_dword v23, v[14:15], off
	v_add_co_u32_e32 v14, vcc, s12, v21
	v_addc_co_u32_e32 v15, vcc, v12, v22, vcc
	global_load_dword v16, v[16:17], off
	v_add_co_u32_e32 v5, vcc, s14, v5
	v_addc_co_u32_e32 v6, vcc, v13, v6, vcc
	global_load_dword v17, v[14:15], off
	global_load_dword v21, v[5:6], off
	v_cmp_ge_i32_e32 vcc, v2, v9
	s_or_b64 s[0:1], vcc, s[0:1]
	v_add_u32_e32 v4, 0xa0, v4
	s_waitcnt vmcnt(10)
	v_fmac_f32_e32 v11, v27, v3
	v_fmac_f32_e32 v10, v19, v3
	s_waitcnt vmcnt(9)
	v_fmac_f32_e32 v10, v20, v18
	s_waitcnt vmcnt(8)
	;; [unrolled: 2-line block ×7, first 2 shown]
	v_fmac_f32_e32 v10, v17, v21
	v_fmac_f32_e32 v11, v28, v21
	s_andn2_b64 exec, exec, s[0:1]
	s_cbranch_execnz .LBB17_15
; %bb.16:
	s_or_b64 exec, exec, s[0:1]
.LBB17_17:
	s_or_b64 exec, exec, s[6:7]
.LBB17_18:
	v_mov_b32_dpp v2, v10 row_shr:1 row_mask:0xf bank_mask:0xf
	v_mov_b32_dpp v4, v11 row_shr:1 row_mask:0xf bank_mask:0xf
	v_add_f32_e32 v2, v10, v2
	v_add_f32_e32 v4, v11, v4
	v_cmp_eq_u32_e32 vcc, 15, v0
	v_mov_b32_dpp v3, v2 row_shr:2 row_mask:0xf bank_mask:0xf
	v_mov_b32_dpp v5, v4 row_shr:2 row_mask:0xf bank_mask:0xf
	v_add_f32_e32 v2, v2, v3
	v_add_f32_e32 v4, v4, v5
	s_nop 0
	v_mov_b32_dpp v3, v2 row_shr:4 row_mask:0xf bank_mask:0xe
	v_mov_b32_dpp v5, v4 row_shr:4 row_mask:0xf bank_mask:0xe
	v_add_f32_e32 v2, v2, v3
	v_add_f32_e32 v4, v4, v5
	s_nop 0
	v_mov_b32_dpp v3, v2 row_shr:8 row_mask:0xf bank_mask:0xc
	v_mov_b32_dpp v5, v4 row_shr:8 row_mask:0xf bank_mask:0xc
	s_and_b64 exec, exec, vcc
	s_cbranch_execz .LBB17_22
; %bb.19:
	s_load_dwordx2 s[0:1], s[4:5], 0x38
	v_add_f32_e32 v0, v2, v3
	v_add_f32_e32 v3, v4, v5
	v_cmp_eq_f32_e64 s[4:5], s2, 0
	s_and_b64 vcc, exec, s[4:5]
	v_mul_f32_e32 v2, s16, v0
	v_mul_f32_e32 v3, s16, v3
	v_lshlrev_b32_e32 v0, 1, v1
	s_cbranch_vccz .LBB17_23
; %bb.20:
	v_ashrrev_i32_e32 v1, 31, v0
	v_lshlrev_b64 v[4:5], 2, v[0:1]
	s_waitcnt lgkmcnt(0)
	v_mov_b32_e32 v1, s1
	v_add_co_u32_e32 v4, vcc, s0, v4
	v_addc_co_u32_e32 v5, vcc, v1, v5, vcc
	global_store_dwordx2 v[4:5], v[2:3], off
	s_cbranch_execnz .LBB17_22
.LBB17_21:
	v_ashrrev_i32_e32 v1, 31, v0
	v_lshlrev_b64 v[0:1], 2, v[0:1]
	s_waitcnt lgkmcnt(0)
	v_mov_b32_e32 v4, s1
	v_add_co_u32_e32 v0, vcc, s0, v0
	v_addc_co_u32_e32 v1, vcc, v4, v1, vcc
	global_load_dwordx2 v[4:5], v[0:1], off
	s_waitcnt vmcnt(0)
	v_fmac_f32_e32 v2, s2, v4
	v_fmac_f32_e32 v3, s2, v5
	global_store_dwordx2 v[0:1], v[2:3], off
.LBB17_22:
	s_endpgm
.LBB17_23:
	s_branch .LBB17_21
	.section	.rodata,"a",@progbits
	.p2align	6, 0x0
	.amdhsa_kernel _ZN9rocsparseL19gebsrmvn_2xn_kernelILj128ELj5ELj16EfEEvi20rocsparse_direction_NS_24const_host_device_scalarIT2_EEPKiS6_PKS3_S8_S4_PS3_21rocsparse_index_base_b
		.amdhsa_group_segment_fixed_size 0
		.amdhsa_private_segment_fixed_size 0
		.amdhsa_kernarg_size 72
		.amdhsa_user_sgpr_count 6
		.amdhsa_user_sgpr_private_segment_buffer 1
		.amdhsa_user_sgpr_dispatch_ptr 0
		.amdhsa_user_sgpr_queue_ptr 0
		.amdhsa_user_sgpr_kernarg_segment_ptr 1
		.amdhsa_user_sgpr_dispatch_id 0
		.amdhsa_user_sgpr_flat_scratch_init 0
		.amdhsa_user_sgpr_private_segment_size 0
		.amdhsa_uses_dynamic_stack 0
		.amdhsa_system_sgpr_private_segment_wavefront_offset 0
		.amdhsa_system_sgpr_workgroup_id_x 1
		.amdhsa_system_sgpr_workgroup_id_y 0
		.amdhsa_system_sgpr_workgroup_id_z 0
		.amdhsa_system_sgpr_workgroup_info 0
		.amdhsa_system_vgpr_workitem_id 0
		.amdhsa_next_free_vgpr 33
		.amdhsa_next_free_sgpr 20
		.amdhsa_reserve_vcc 1
		.amdhsa_reserve_flat_scratch 0
		.amdhsa_float_round_mode_32 0
		.amdhsa_float_round_mode_16_64 0
		.amdhsa_float_denorm_mode_32 3
		.amdhsa_float_denorm_mode_16_64 3
		.amdhsa_dx10_clamp 1
		.amdhsa_ieee_mode 1
		.amdhsa_fp16_overflow 0
		.amdhsa_exception_fp_ieee_invalid_op 0
		.amdhsa_exception_fp_denorm_src 0
		.amdhsa_exception_fp_ieee_div_zero 0
		.amdhsa_exception_fp_ieee_overflow 0
		.amdhsa_exception_fp_ieee_underflow 0
		.amdhsa_exception_fp_ieee_inexact 0
		.amdhsa_exception_int_div_zero 0
	.end_amdhsa_kernel
	.section	.text._ZN9rocsparseL19gebsrmvn_2xn_kernelILj128ELj5ELj16EfEEvi20rocsparse_direction_NS_24const_host_device_scalarIT2_EEPKiS6_PKS3_S8_S4_PS3_21rocsparse_index_base_b,"axG",@progbits,_ZN9rocsparseL19gebsrmvn_2xn_kernelILj128ELj5ELj16EfEEvi20rocsparse_direction_NS_24const_host_device_scalarIT2_EEPKiS6_PKS3_S8_S4_PS3_21rocsparse_index_base_b,comdat
.Lfunc_end17:
	.size	_ZN9rocsparseL19gebsrmvn_2xn_kernelILj128ELj5ELj16EfEEvi20rocsparse_direction_NS_24const_host_device_scalarIT2_EEPKiS6_PKS3_S8_S4_PS3_21rocsparse_index_base_b, .Lfunc_end17-_ZN9rocsparseL19gebsrmvn_2xn_kernelILj128ELj5ELj16EfEEvi20rocsparse_direction_NS_24const_host_device_scalarIT2_EEPKiS6_PKS3_S8_S4_PS3_21rocsparse_index_base_b
                                        ; -- End function
	.set _ZN9rocsparseL19gebsrmvn_2xn_kernelILj128ELj5ELj16EfEEvi20rocsparse_direction_NS_24const_host_device_scalarIT2_EEPKiS6_PKS3_S8_S4_PS3_21rocsparse_index_base_b.num_vgpr, 33
	.set _ZN9rocsparseL19gebsrmvn_2xn_kernelILj128ELj5ELj16EfEEvi20rocsparse_direction_NS_24const_host_device_scalarIT2_EEPKiS6_PKS3_S8_S4_PS3_21rocsparse_index_base_b.num_agpr, 0
	.set _ZN9rocsparseL19gebsrmvn_2xn_kernelILj128ELj5ELj16EfEEvi20rocsparse_direction_NS_24const_host_device_scalarIT2_EEPKiS6_PKS3_S8_S4_PS3_21rocsparse_index_base_b.numbered_sgpr, 20
	.set _ZN9rocsparseL19gebsrmvn_2xn_kernelILj128ELj5ELj16EfEEvi20rocsparse_direction_NS_24const_host_device_scalarIT2_EEPKiS6_PKS3_S8_S4_PS3_21rocsparse_index_base_b.num_named_barrier, 0
	.set _ZN9rocsparseL19gebsrmvn_2xn_kernelILj128ELj5ELj16EfEEvi20rocsparse_direction_NS_24const_host_device_scalarIT2_EEPKiS6_PKS3_S8_S4_PS3_21rocsparse_index_base_b.private_seg_size, 0
	.set _ZN9rocsparseL19gebsrmvn_2xn_kernelILj128ELj5ELj16EfEEvi20rocsparse_direction_NS_24const_host_device_scalarIT2_EEPKiS6_PKS3_S8_S4_PS3_21rocsparse_index_base_b.uses_vcc, 1
	.set _ZN9rocsparseL19gebsrmvn_2xn_kernelILj128ELj5ELj16EfEEvi20rocsparse_direction_NS_24const_host_device_scalarIT2_EEPKiS6_PKS3_S8_S4_PS3_21rocsparse_index_base_b.uses_flat_scratch, 0
	.set _ZN9rocsparseL19gebsrmvn_2xn_kernelILj128ELj5ELj16EfEEvi20rocsparse_direction_NS_24const_host_device_scalarIT2_EEPKiS6_PKS3_S8_S4_PS3_21rocsparse_index_base_b.has_dyn_sized_stack, 0
	.set _ZN9rocsparseL19gebsrmvn_2xn_kernelILj128ELj5ELj16EfEEvi20rocsparse_direction_NS_24const_host_device_scalarIT2_EEPKiS6_PKS3_S8_S4_PS3_21rocsparse_index_base_b.has_recursion, 0
	.set _ZN9rocsparseL19gebsrmvn_2xn_kernelILj128ELj5ELj16EfEEvi20rocsparse_direction_NS_24const_host_device_scalarIT2_EEPKiS6_PKS3_S8_S4_PS3_21rocsparse_index_base_b.has_indirect_call, 0
	.section	.AMDGPU.csdata,"",@progbits
; Kernel info:
; codeLenInByte = 1560
; TotalNumSgprs: 24
; NumVgprs: 33
; ScratchSize: 0
; MemoryBound: 0
; FloatMode: 240
; IeeeMode: 1
; LDSByteSize: 0 bytes/workgroup (compile time only)
; SGPRBlocks: 2
; VGPRBlocks: 8
; NumSGPRsForWavesPerEU: 24
; NumVGPRsForWavesPerEU: 33
; Occupancy: 7
; WaveLimiterHint : 1
; COMPUTE_PGM_RSRC2:SCRATCH_EN: 0
; COMPUTE_PGM_RSRC2:USER_SGPR: 6
; COMPUTE_PGM_RSRC2:TRAP_HANDLER: 0
; COMPUTE_PGM_RSRC2:TGID_X_EN: 1
; COMPUTE_PGM_RSRC2:TGID_Y_EN: 0
; COMPUTE_PGM_RSRC2:TGID_Z_EN: 0
; COMPUTE_PGM_RSRC2:TIDIG_COMP_CNT: 0
	.section	.text._ZN9rocsparseL19gebsrmvn_2xn_kernelILj128ELj5ELj32EfEEvi20rocsparse_direction_NS_24const_host_device_scalarIT2_EEPKiS6_PKS3_S8_S4_PS3_21rocsparse_index_base_b,"axG",@progbits,_ZN9rocsparseL19gebsrmvn_2xn_kernelILj128ELj5ELj32EfEEvi20rocsparse_direction_NS_24const_host_device_scalarIT2_EEPKiS6_PKS3_S8_S4_PS3_21rocsparse_index_base_b,comdat
	.globl	_ZN9rocsparseL19gebsrmvn_2xn_kernelILj128ELj5ELj32EfEEvi20rocsparse_direction_NS_24const_host_device_scalarIT2_EEPKiS6_PKS3_S8_S4_PS3_21rocsparse_index_base_b ; -- Begin function _ZN9rocsparseL19gebsrmvn_2xn_kernelILj128ELj5ELj32EfEEvi20rocsparse_direction_NS_24const_host_device_scalarIT2_EEPKiS6_PKS3_S8_S4_PS3_21rocsparse_index_base_b
	.p2align	8
	.type	_ZN9rocsparseL19gebsrmvn_2xn_kernelILj128ELj5ELj32EfEEvi20rocsparse_direction_NS_24const_host_device_scalarIT2_EEPKiS6_PKS3_S8_S4_PS3_21rocsparse_index_base_b,@function
_ZN9rocsparseL19gebsrmvn_2xn_kernelILj128ELj5ELj32EfEEvi20rocsparse_direction_NS_24const_host_device_scalarIT2_EEPKiS6_PKS3_S8_S4_PS3_21rocsparse_index_base_b: ; @_ZN9rocsparseL19gebsrmvn_2xn_kernelILj128ELj5ELj32EfEEvi20rocsparse_direction_NS_24const_host_device_scalarIT2_EEPKiS6_PKS3_S8_S4_PS3_21rocsparse_index_base_b
; %bb.0:
	s_load_dwordx2 s[18:19], s[4:5], 0x40
	s_load_dwordx2 s[16:17], s[4:5], 0x8
	;; [unrolled: 1-line block ×3, first 2 shown]
	s_waitcnt lgkmcnt(0)
	s_bitcmp1_b32 s19, 0
	s_cselect_b64 s[8:9], -1, 0
	s_xor_b64 s[0:1], s[8:9], -1
	s_and_b64 vcc, exec, s[8:9]
	s_cbranch_vccnz .LBB18_2
; %bb.1:
	s_load_dword s16, s[16:17], 0x0
.LBB18_2:
	s_andn2_b64 vcc, exec, s[0:1]
	s_cbranch_vccnz .LBB18_4
; %bb.3:
	s_load_dword s2, s[2:3], 0x0
.LBB18_4:
	s_waitcnt lgkmcnt(0)
	v_cmp_eq_f32_e64 s[0:1], s16, 0
	v_cmp_eq_f32_e64 s[8:9], s2, 1.0
	s_and_b64 s[0:1], s[0:1], s[8:9]
	s_and_b64 vcc, exec, s[0:1]
	s_cbranch_vccnz .LBB18_22
; %bb.5:
	s_load_dwordx2 s[0:1], s[4:5], 0x0
	v_lshrrev_b32_e32 v1, 5, v0
	v_lshl_or_b32 v1, s6, 2, v1
	s_waitcnt lgkmcnt(0)
	v_cmp_gt_i32_e32 vcc, s0, v1
	s_and_saveexec_b64 s[6:7], vcc
	s_cbranch_execz .LBB18_22
; %bb.6:
	s_load_dwordx8 s[8:15], s[4:5], 0x10
	v_ashrrev_i32_e32 v2, 31, v1
	v_lshlrev_b64 v[2:3], 2, v[1:2]
	v_and_b32_e32 v0, 31, v0
	s_cmp_lg_u32 s1, 0
	s_waitcnt lgkmcnt(0)
	v_mov_b32_e32 v4, s9
	v_add_co_u32_e32 v2, vcc, s8, v2
	v_addc_co_u32_e32 v3, vcc, v4, v3, vcc
	global_load_dwordx2 v[2:3], v[2:3], off
	s_waitcnt vmcnt(0)
	v_subrev_u32_e32 v2, s18, v2
	v_subrev_u32_e32 v9, s18, v3
	v_add_u32_e32 v2, v2, v0
	v_cmp_lt_i32_e64 s[0:1], v2, v9
	s_cbranch_scc0 .LBB18_12
; %bb.7:
	v_mov_b32_e32 v11, 0
	v_mov_b32_e32 v10, 0
	s_and_saveexec_b64 s[6:7], s[0:1]
	s_cbranch_execz .LBB18_11
; %bb.8:
	v_mad_u64_u32 v[3:4], s[8:9], v2, 10, 8
	v_mov_b32_e32 v6, 0
	s_mov_b64 s[8:9], 0
	v_mov_b32_e32 v12, s11
	v_mov_b32_e32 v13, s13
	;; [unrolled: 1-line block ×6, first 2 shown]
.LBB18_9:                               ; =>This Inner Loop Header: Depth=1
	v_ashrrev_i32_e32 v8, 31, v7
	v_lshlrev_b64 v[4:5], 2, v[7:8]
	v_mov_b32_e32 v16, v6
	v_add_co_u32_e32 v4, vcc, s10, v4
	v_addc_co_u32_e32 v5, vcc, v12, v5, vcc
	global_load_dword v8, v[4:5], off
	v_add_u32_e32 v5, -8, v3
	v_lshlrev_b64 v[17:18], 2, v[5:6]
	v_mov_b32_e32 v4, v6
	v_lshlrev_b64 v[19:20], 2, v[3:4]
	v_add_co_u32_e32 v17, vcc, s12, v17
	v_add_u32_e32 v5, -6, v3
	v_addc_co_u32_e32 v18, vcc, v13, v18, vcc
	v_lshlrev_b64 v[4:5], 2, v[5:6]
	v_add_co_u32_e32 v19, vcc, s12, v19
	v_addc_co_u32_e32 v20, vcc, v13, v20, vcc
	v_add_co_u32_e32 v4, vcc, s12, v4
	global_load_dwordx2 v[17:18], v[17:18], off
	v_addc_co_u32_e32 v5, vcc, v13, v5, vcc
	global_load_dwordx2 v[21:22], v[19:20], off
	global_load_dwordx2 v[23:24], v[4:5], off
	v_add_u32_e32 v7, 32, v7
	s_waitcnt vmcnt(3)
	v_subrev_u32_e32 v4, s18, v8
	v_lshl_add_u32 v15, v4, 2, v4
	v_lshlrev_b64 v[19:20], 2, v[15:16]
	v_add_u32_e32 v5, 1, v15
	v_lshlrev_b64 v[25:26], 2, v[5:6]
	v_add_co_u32_e32 v19, vcc, s14, v19
	v_add_u32_e32 v5, -4, v3
	v_addc_co_u32_e32 v20, vcc, v14, v20, vcc
	v_lshlrev_b64 v[27:28], 2, v[5:6]
	global_load_dword v8, v[19:20], off
	v_add_co_u32_e32 v19, vcc, s14, v25
	v_add_u32_e32 v5, 2, v15
	v_addc_co_u32_e32 v20, vcc, v14, v26, vcc
	v_lshlrev_b64 v[25:26], 2, v[5:6]
	global_load_dword v31, v[19:20], off
	v_add_co_u32_e32 v19, vcc, s12, v27
	v_add_u32_e32 v5, -2, v3
	v_addc_co_u32_e32 v20, vcc, v13, v28, vcc
	v_lshlrev_b64 v[27:28], 2, v[5:6]
	v_add_co_u32_e32 v25, vcc, s14, v25
	v_add_u32_e32 v5, 3, v15
	v_addc_co_u32_e32 v26, vcc, v14, v26, vcc
	v_lshlrev_b64 v[29:30], 2, v[5:6]
	v_add_u32_e32 v5, 4, v15
	v_add_co_u32_e32 v15, vcc, s12, v27
	v_addc_co_u32_e32 v16, vcc, v13, v28, vcc
	global_load_dword v32, v[25:26], off
	v_lshlrev_b64 v[4:5], 2, v[5:6]
	v_add_co_u32_e32 v25, vcc, s14, v29
	v_addc_co_u32_e32 v26, vcc, v14, v30, vcc
	global_load_dwordx2 v[19:20], v[19:20], off
	v_add_co_u32_e32 v4, vcc, s14, v4
	global_load_dwordx2 v[15:16], v[15:16], off
	v_addc_co_u32_e32 v5, vcc, v14, v5, vcc
	global_load_dword v25, v[25:26], off
	v_cmp_ge_i32_e32 vcc, v7, v9
	global_load_dword v4, v[4:5], off
	s_or_b64 s[8:9], vcc, s[8:9]
	v_add_u32_e32 v3, 0x140, v3
	s_waitcnt vmcnt(6)
	v_fmac_f32_e32 v11, v17, v8
	v_fmac_f32_e32 v10, v18, v8
	s_waitcnt vmcnt(5)
	v_fmac_f32_e32 v11, v23, v31
	v_fmac_f32_e32 v10, v24, v31
	;; [unrolled: 3-line block ×5, first 2 shown]
	s_andn2_b64 exec, exec, s[8:9]
	s_cbranch_execnz .LBB18_9
; %bb.10:
	s_or_b64 exec, exec, s[8:9]
.LBB18_11:
	s_or_b64 exec, exec, s[6:7]
	s_cbranch_execz .LBB18_13
	s_branch .LBB18_18
.LBB18_12:
                                        ; implicit-def: $vgpr11
                                        ; implicit-def: $vgpr10
.LBB18_13:
	v_mov_b32_e32 v11, 0
	v_mov_b32_e32 v10, 0
	s_and_saveexec_b64 s[6:7], s[0:1]
	s_cbranch_execz .LBB18_17
; %bb.14:
	v_mad_u64_u32 v[4:5], s[0:1], v2, 10, 9
	v_mov_b32_e32 v7, 0
	s_mov_b64 s[0:1], 0
	v_mov_b32_e32 v8, s11
	v_mov_b32_e32 v12, s13
	;; [unrolled: 1-line block ×5, first 2 shown]
.LBB18_15:                              ; =>This Inner Loop Header: Depth=1
	v_ashrrev_i32_e32 v3, 31, v2
	v_lshlrev_b64 v[17:18], 2, v[2:3]
	v_add_u32_e32 v6, -9, v4
	v_add_co_u32_e32 v17, vcc, s10, v17
	v_addc_co_u32_e32 v18, vcc, v8, v18, vcc
	global_load_dword v3, v[17:18], off
	v_lshlrev_b64 v[19:20], 2, v[6:7]
	v_add_u32_e32 v14, -4, v4
	v_mov_b32_e32 v15, v7
	v_lshlrev_b64 v[14:15], 2, v[14:15]
	v_add_co_u32_e32 v17, vcc, s12, v19
	v_mov_b32_e32 v5, v7
	v_addc_co_u32_e32 v18, vcc, v12, v20, vcc
	v_lshlrev_b64 v[5:6], 2, v[4:5]
	v_add_co_u32_e32 v14, vcc, s12, v14
	v_addc_co_u32_e32 v15, vcc, v12, v15, vcc
	v_add_co_u32_e32 v5, vcc, s12, v5
	v_mov_b32_e32 v16, v7
	v_addc_co_u32_e32 v6, vcc, v12, v6, vcc
	global_load_dword v27, v[14:15], off
	global_load_dword v28, v[5:6], off
	global_load_dwordx2 v[19:20], v[17:18], off
	v_add_u32_e32 v2, 32, v2
	s_waitcnt vmcnt(3)
	v_subrev_u32_e32 v3, s18, v3
	v_lshl_add_u32 v15, v3, 2, v3
	v_lshlrev_b64 v[16:17], 2, v[15:16]
	v_add_u32_e32 v6, 1, v15
	v_lshlrev_b64 v[21:22], 2, v[6:7]
	v_add_co_u32_e32 v16, vcc, s14, v16
	v_add_u32_e32 v6, -3, v4
	v_addc_co_u32_e32 v17, vcc, v13, v17, vcc
	v_lshlrev_b64 v[23:24], 2, v[6:7]
	v_add_co_u32_e32 v21, vcc, s14, v21
	v_add_u32_e32 v6, -7, v4
	v_addc_co_u32_e32 v22, vcc, v13, v22, vcc
	v_lshlrev_b64 v[25:26], 2, v[6:7]
	global_load_dword v3, v[16:17], off
	global_load_dword v18, v[21:22], off
	v_add_co_u32_e32 v16, vcc, s12, v23
	v_add_u32_e32 v6, 2, v15
	v_addc_co_u32_e32 v17, vcc, v12, v24, vcc
	v_lshlrev_b64 v[23:24], 2, v[6:7]
	v_add_co_u32_e32 v21, vcc, s12, v25
	v_add_u32_e32 v6, -2, v4
	v_addc_co_u32_e32 v22, vcc, v12, v26, vcc
	v_lshlrev_b64 v[25:26], 2, v[6:7]
	global_load_dword v29, v[16:17], off
	global_load_dword v30, v[21:22], off
	v_add_co_u32_e32 v16, vcc, s14, v23
	v_add_u32_e32 v6, -6, v4
	v_addc_co_u32_e32 v17, vcc, v13, v24, vcc
	v_lshlrev_b64 v[23:24], 2, v[6:7]
	v_add_co_u32_e32 v21, vcc, s12, v25
	v_add_u32_e32 v6, 3, v15
	v_addc_co_u32_e32 v22, vcc, v12, v26, vcc
	v_lshlrev_b64 v[25:26], 2, v[6:7]
	global_load_dword v31, v[16:17], off
	v_add_co_u32_e32 v16, vcc, s12, v23
	v_add_u32_e32 v6, -1, v4
	v_addc_co_u32_e32 v17, vcc, v12, v24, vcc
	v_lshlrev_b64 v[23:24], 2, v[6:7]
	v_add_u32_e32 v6, -5, v4
	v_add_co_u32_e32 v14, vcc, s14, v25
	global_load_dword v32, v[21:22], off
	global_load_dword v25, v[16:17], off
	v_lshlrev_b64 v[21:22], 2, v[6:7]
	v_add_u32_e32 v6, 4, v15
	v_addc_co_u32_e32 v15, vcc, v13, v26, vcc
	v_add_co_u32_e32 v16, vcc, s12, v23
	v_addc_co_u32_e32 v17, vcc, v12, v24, vcc
	v_lshlrev_b64 v[5:6], 2, v[6:7]
	global_load_dword v23, v[14:15], off
	v_add_co_u32_e32 v14, vcc, s12, v21
	v_addc_co_u32_e32 v15, vcc, v12, v22, vcc
	global_load_dword v16, v[16:17], off
	v_add_co_u32_e32 v5, vcc, s14, v5
	v_addc_co_u32_e32 v6, vcc, v13, v6, vcc
	global_load_dword v17, v[14:15], off
	global_load_dword v21, v[5:6], off
	v_cmp_ge_i32_e32 vcc, v2, v9
	s_or_b64 s[0:1], vcc, s[0:1]
	v_add_u32_e32 v4, 0x140, v4
	s_waitcnt vmcnt(10)
	v_fmac_f32_e32 v10, v27, v3
	v_fmac_f32_e32 v11, v19, v3
	s_waitcnt vmcnt(9)
	v_fmac_f32_e32 v11, v20, v18
	s_waitcnt vmcnt(8)
	;; [unrolled: 2-line block ×7, first 2 shown]
	v_fmac_f32_e32 v11, v17, v21
	v_fmac_f32_e32 v10, v28, v21
	s_andn2_b64 exec, exec, s[0:1]
	s_cbranch_execnz .LBB18_15
; %bb.16:
	s_or_b64 exec, exec, s[0:1]
.LBB18_17:
	s_or_b64 exec, exec, s[6:7]
.LBB18_18:
	v_mov_b32_dpp v2, v11 row_shr:1 row_mask:0xf bank_mask:0xf
	v_mov_b32_dpp v4, v10 row_shr:1 row_mask:0xf bank_mask:0xf
	v_add_f32_e32 v2, v11, v2
	v_add_f32_e32 v4, v10, v4
	v_cmp_eq_u32_e32 vcc, 31, v0
	v_mov_b32_dpp v3, v2 row_shr:2 row_mask:0xf bank_mask:0xf
	v_mov_b32_dpp v5, v4 row_shr:2 row_mask:0xf bank_mask:0xf
	v_add_f32_e32 v2, v2, v3
	v_add_f32_e32 v4, v4, v5
	s_nop 0
	v_mov_b32_dpp v3, v2 row_shr:4 row_mask:0xf bank_mask:0xe
	v_mov_b32_dpp v5, v4 row_shr:4 row_mask:0xf bank_mask:0xe
	v_add_f32_e32 v2, v2, v3
	v_add_f32_e32 v4, v4, v5
	s_nop 0
	;; [unrolled: 5-line block ×3, first 2 shown]
	v_mov_b32_dpp v3, v2 row_bcast:15 row_mask:0xa bank_mask:0xf
	v_mov_b32_dpp v5, v4 row_bcast:15 row_mask:0xa bank_mask:0xf
	s_and_b64 exec, exec, vcc
	s_cbranch_execz .LBB18_22
; %bb.19:
	s_load_dwordx2 s[0:1], s[4:5], 0x38
	v_add_f32_e32 v0, v2, v3
	v_add_f32_e32 v3, v4, v5
	v_cmp_eq_f32_e64 s[4:5], s2, 0
	s_and_b64 vcc, exec, s[4:5]
	v_mul_f32_e32 v2, s16, v0
	v_mul_f32_e32 v3, s16, v3
	v_lshlrev_b32_e32 v0, 1, v1
	s_cbranch_vccz .LBB18_23
; %bb.20:
	v_ashrrev_i32_e32 v1, 31, v0
	v_lshlrev_b64 v[4:5], 2, v[0:1]
	s_waitcnt lgkmcnt(0)
	v_mov_b32_e32 v1, s1
	v_add_co_u32_e32 v4, vcc, s0, v4
	v_addc_co_u32_e32 v5, vcc, v1, v5, vcc
	global_store_dwordx2 v[4:5], v[2:3], off
	s_cbranch_execnz .LBB18_22
.LBB18_21:
	v_ashrrev_i32_e32 v1, 31, v0
	v_lshlrev_b64 v[0:1], 2, v[0:1]
	s_waitcnt lgkmcnt(0)
	v_mov_b32_e32 v4, s1
	v_add_co_u32_e32 v0, vcc, s0, v0
	v_addc_co_u32_e32 v1, vcc, v4, v1, vcc
	global_load_dwordx2 v[4:5], v[0:1], off
	s_waitcnt vmcnt(0)
	v_fmac_f32_e32 v2, s2, v4
	v_fmac_f32_e32 v3, s2, v5
	global_store_dwordx2 v[0:1], v[2:3], off
.LBB18_22:
	s_endpgm
.LBB18_23:
	s_branch .LBB18_21
	.section	.rodata,"a",@progbits
	.p2align	6, 0x0
	.amdhsa_kernel _ZN9rocsparseL19gebsrmvn_2xn_kernelILj128ELj5ELj32EfEEvi20rocsparse_direction_NS_24const_host_device_scalarIT2_EEPKiS6_PKS3_S8_S4_PS3_21rocsparse_index_base_b
		.amdhsa_group_segment_fixed_size 0
		.amdhsa_private_segment_fixed_size 0
		.amdhsa_kernarg_size 72
		.amdhsa_user_sgpr_count 6
		.amdhsa_user_sgpr_private_segment_buffer 1
		.amdhsa_user_sgpr_dispatch_ptr 0
		.amdhsa_user_sgpr_queue_ptr 0
		.amdhsa_user_sgpr_kernarg_segment_ptr 1
		.amdhsa_user_sgpr_dispatch_id 0
		.amdhsa_user_sgpr_flat_scratch_init 0
		.amdhsa_user_sgpr_private_segment_size 0
		.amdhsa_uses_dynamic_stack 0
		.amdhsa_system_sgpr_private_segment_wavefront_offset 0
		.amdhsa_system_sgpr_workgroup_id_x 1
		.amdhsa_system_sgpr_workgroup_id_y 0
		.amdhsa_system_sgpr_workgroup_id_z 0
		.amdhsa_system_sgpr_workgroup_info 0
		.amdhsa_system_vgpr_workitem_id 0
		.amdhsa_next_free_vgpr 33
		.amdhsa_next_free_sgpr 20
		.amdhsa_reserve_vcc 1
		.amdhsa_reserve_flat_scratch 0
		.amdhsa_float_round_mode_32 0
		.amdhsa_float_round_mode_16_64 0
		.amdhsa_float_denorm_mode_32 3
		.amdhsa_float_denorm_mode_16_64 3
		.amdhsa_dx10_clamp 1
		.amdhsa_ieee_mode 1
		.amdhsa_fp16_overflow 0
		.amdhsa_exception_fp_ieee_invalid_op 0
		.amdhsa_exception_fp_denorm_src 0
		.amdhsa_exception_fp_ieee_div_zero 0
		.amdhsa_exception_fp_ieee_overflow 0
		.amdhsa_exception_fp_ieee_underflow 0
		.amdhsa_exception_fp_ieee_inexact 0
		.amdhsa_exception_int_div_zero 0
	.end_amdhsa_kernel
	.section	.text._ZN9rocsparseL19gebsrmvn_2xn_kernelILj128ELj5ELj32EfEEvi20rocsparse_direction_NS_24const_host_device_scalarIT2_EEPKiS6_PKS3_S8_S4_PS3_21rocsparse_index_base_b,"axG",@progbits,_ZN9rocsparseL19gebsrmvn_2xn_kernelILj128ELj5ELj32EfEEvi20rocsparse_direction_NS_24const_host_device_scalarIT2_EEPKiS6_PKS3_S8_S4_PS3_21rocsparse_index_base_b,comdat
.Lfunc_end18:
	.size	_ZN9rocsparseL19gebsrmvn_2xn_kernelILj128ELj5ELj32EfEEvi20rocsparse_direction_NS_24const_host_device_scalarIT2_EEPKiS6_PKS3_S8_S4_PS3_21rocsparse_index_base_b, .Lfunc_end18-_ZN9rocsparseL19gebsrmvn_2xn_kernelILj128ELj5ELj32EfEEvi20rocsparse_direction_NS_24const_host_device_scalarIT2_EEPKiS6_PKS3_S8_S4_PS3_21rocsparse_index_base_b
                                        ; -- End function
	.set _ZN9rocsparseL19gebsrmvn_2xn_kernelILj128ELj5ELj32EfEEvi20rocsparse_direction_NS_24const_host_device_scalarIT2_EEPKiS6_PKS3_S8_S4_PS3_21rocsparse_index_base_b.num_vgpr, 33
	.set _ZN9rocsparseL19gebsrmvn_2xn_kernelILj128ELj5ELj32EfEEvi20rocsparse_direction_NS_24const_host_device_scalarIT2_EEPKiS6_PKS3_S8_S4_PS3_21rocsparse_index_base_b.num_agpr, 0
	.set _ZN9rocsparseL19gebsrmvn_2xn_kernelILj128ELj5ELj32EfEEvi20rocsparse_direction_NS_24const_host_device_scalarIT2_EEPKiS6_PKS3_S8_S4_PS3_21rocsparse_index_base_b.numbered_sgpr, 20
	.set _ZN9rocsparseL19gebsrmvn_2xn_kernelILj128ELj5ELj32EfEEvi20rocsparse_direction_NS_24const_host_device_scalarIT2_EEPKiS6_PKS3_S8_S4_PS3_21rocsparse_index_base_b.num_named_barrier, 0
	.set _ZN9rocsparseL19gebsrmvn_2xn_kernelILj128ELj5ELj32EfEEvi20rocsparse_direction_NS_24const_host_device_scalarIT2_EEPKiS6_PKS3_S8_S4_PS3_21rocsparse_index_base_b.private_seg_size, 0
	.set _ZN9rocsparseL19gebsrmvn_2xn_kernelILj128ELj5ELj32EfEEvi20rocsparse_direction_NS_24const_host_device_scalarIT2_EEPKiS6_PKS3_S8_S4_PS3_21rocsparse_index_base_b.uses_vcc, 1
	.set _ZN9rocsparseL19gebsrmvn_2xn_kernelILj128ELj5ELj32EfEEvi20rocsparse_direction_NS_24const_host_device_scalarIT2_EEPKiS6_PKS3_S8_S4_PS3_21rocsparse_index_base_b.uses_flat_scratch, 0
	.set _ZN9rocsparseL19gebsrmvn_2xn_kernelILj128ELj5ELj32EfEEvi20rocsparse_direction_NS_24const_host_device_scalarIT2_EEPKiS6_PKS3_S8_S4_PS3_21rocsparse_index_base_b.has_dyn_sized_stack, 0
	.set _ZN9rocsparseL19gebsrmvn_2xn_kernelILj128ELj5ELj32EfEEvi20rocsparse_direction_NS_24const_host_device_scalarIT2_EEPKiS6_PKS3_S8_S4_PS3_21rocsparse_index_base_b.has_recursion, 0
	.set _ZN9rocsparseL19gebsrmvn_2xn_kernelILj128ELj5ELj32EfEEvi20rocsparse_direction_NS_24const_host_device_scalarIT2_EEPKiS6_PKS3_S8_S4_PS3_21rocsparse_index_base_b.has_indirect_call, 0
	.section	.AMDGPU.csdata,"",@progbits
; Kernel info:
; codeLenInByte = 1588
; TotalNumSgprs: 24
; NumVgprs: 33
; ScratchSize: 0
; MemoryBound: 0
; FloatMode: 240
; IeeeMode: 1
; LDSByteSize: 0 bytes/workgroup (compile time only)
; SGPRBlocks: 2
; VGPRBlocks: 8
; NumSGPRsForWavesPerEU: 24
; NumVGPRsForWavesPerEU: 33
; Occupancy: 7
; WaveLimiterHint : 1
; COMPUTE_PGM_RSRC2:SCRATCH_EN: 0
; COMPUTE_PGM_RSRC2:USER_SGPR: 6
; COMPUTE_PGM_RSRC2:TRAP_HANDLER: 0
; COMPUTE_PGM_RSRC2:TGID_X_EN: 1
; COMPUTE_PGM_RSRC2:TGID_Y_EN: 0
; COMPUTE_PGM_RSRC2:TGID_Z_EN: 0
; COMPUTE_PGM_RSRC2:TIDIG_COMP_CNT: 0
	.section	.text._ZN9rocsparseL19gebsrmvn_2xn_kernelILj128ELj5ELj64EfEEvi20rocsparse_direction_NS_24const_host_device_scalarIT2_EEPKiS6_PKS3_S8_S4_PS3_21rocsparse_index_base_b,"axG",@progbits,_ZN9rocsparseL19gebsrmvn_2xn_kernelILj128ELj5ELj64EfEEvi20rocsparse_direction_NS_24const_host_device_scalarIT2_EEPKiS6_PKS3_S8_S4_PS3_21rocsparse_index_base_b,comdat
	.globl	_ZN9rocsparseL19gebsrmvn_2xn_kernelILj128ELj5ELj64EfEEvi20rocsparse_direction_NS_24const_host_device_scalarIT2_EEPKiS6_PKS3_S8_S4_PS3_21rocsparse_index_base_b ; -- Begin function _ZN9rocsparseL19gebsrmvn_2xn_kernelILj128ELj5ELj64EfEEvi20rocsparse_direction_NS_24const_host_device_scalarIT2_EEPKiS6_PKS3_S8_S4_PS3_21rocsparse_index_base_b
	.p2align	8
	.type	_ZN9rocsparseL19gebsrmvn_2xn_kernelILj128ELj5ELj64EfEEvi20rocsparse_direction_NS_24const_host_device_scalarIT2_EEPKiS6_PKS3_S8_S4_PS3_21rocsparse_index_base_b,@function
_ZN9rocsparseL19gebsrmvn_2xn_kernelILj128ELj5ELj64EfEEvi20rocsparse_direction_NS_24const_host_device_scalarIT2_EEPKiS6_PKS3_S8_S4_PS3_21rocsparse_index_base_b: ; @_ZN9rocsparseL19gebsrmvn_2xn_kernelILj128ELj5ELj64EfEEvi20rocsparse_direction_NS_24const_host_device_scalarIT2_EEPKiS6_PKS3_S8_S4_PS3_21rocsparse_index_base_b
; %bb.0:
	s_load_dwordx2 s[18:19], s[4:5], 0x40
	s_load_dwordx2 s[16:17], s[4:5], 0x8
	;; [unrolled: 1-line block ×3, first 2 shown]
	s_waitcnt lgkmcnt(0)
	s_bitcmp1_b32 s19, 0
	s_cselect_b64 s[8:9], -1, 0
	s_xor_b64 s[0:1], s[8:9], -1
	s_and_b64 vcc, exec, s[8:9]
	s_cbranch_vccnz .LBB19_2
; %bb.1:
	s_load_dword s16, s[16:17], 0x0
.LBB19_2:
	s_andn2_b64 vcc, exec, s[0:1]
	s_cbranch_vccnz .LBB19_4
; %bb.3:
	s_load_dword s2, s[2:3], 0x0
.LBB19_4:
	s_waitcnt lgkmcnt(0)
	v_cmp_eq_f32_e64 s[0:1], s16, 0
	v_cmp_eq_f32_e64 s[8:9], s2, 1.0
	s_and_b64 s[0:1], s[0:1], s[8:9]
	s_and_b64 vcc, exec, s[0:1]
	s_cbranch_vccnz .LBB19_22
; %bb.5:
	s_load_dwordx2 s[0:1], s[4:5], 0x0
	v_lshrrev_b32_e32 v1, 6, v0
	v_lshl_or_b32 v1, s6, 1, v1
	s_waitcnt lgkmcnt(0)
	v_cmp_gt_i32_e32 vcc, s0, v1
	s_and_saveexec_b64 s[6:7], vcc
	s_cbranch_execz .LBB19_22
; %bb.6:
	s_load_dwordx8 s[8:15], s[4:5], 0x10
	v_ashrrev_i32_e32 v2, 31, v1
	v_lshlrev_b64 v[2:3], 2, v[1:2]
	v_and_b32_e32 v0, 63, v0
	s_cmp_lg_u32 s1, 0
	s_waitcnt lgkmcnt(0)
	v_mov_b32_e32 v4, s9
	v_add_co_u32_e32 v2, vcc, s8, v2
	v_addc_co_u32_e32 v3, vcc, v4, v3, vcc
	global_load_dwordx2 v[2:3], v[2:3], off
	s_waitcnt vmcnt(0)
	v_subrev_u32_e32 v2, s18, v2
	v_subrev_u32_e32 v9, s18, v3
	v_add_u32_e32 v2, v2, v0
	v_cmp_lt_i32_e64 s[0:1], v2, v9
	s_cbranch_scc0 .LBB19_12
; %bb.7:
	v_mov_b32_e32 v11, 0
	v_mov_b32_e32 v10, 0
	s_and_saveexec_b64 s[6:7], s[0:1]
	s_cbranch_execz .LBB19_11
; %bb.8:
	v_mad_u64_u32 v[3:4], s[8:9], v2, 10, 8
	v_mov_b32_e32 v6, 0
	s_mov_b64 s[8:9], 0
	v_mov_b32_e32 v12, s11
	v_mov_b32_e32 v13, s13
	;; [unrolled: 1-line block ×6, first 2 shown]
.LBB19_9:                               ; =>This Inner Loop Header: Depth=1
	v_ashrrev_i32_e32 v8, 31, v7
	v_lshlrev_b64 v[4:5], 2, v[7:8]
	v_mov_b32_e32 v16, v6
	v_add_co_u32_e32 v4, vcc, s10, v4
	v_addc_co_u32_e32 v5, vcc, v12, v5, vcc
	global_load_dword v8, v[4:5], off
	v_add_u32_e32 v5, -8, v3
	v_lshlrev_b64 v[17:18], 2, v[5:6]
	v_mov_b32_e32 v4, v6
	v_lshlrev_b64 v[19:20], 2, v[3:4]
	v_add_co_u32_e32 v17, vcc, s12, v17
	v_add_u32_e32 v5, -6, v3
	v_addc_co_u32_e32 v18, vcc, v13, v18, vcc
	v_lshlrev_b64 v[4:5], 2, v[5:6]
	v_add_co_u32_e32 v19, vcc, s12, v19
	v_addc_co_u32_e32 v20, vcc, v13, v20, vcc
	v_add_co_u32_e32 v4, vcc, s12, v4
	global_load_dwordx2 v[17:18], v[17:18], off
	v_addc_co_u32_e32 v5, vcc, v13, v5, vcc
	global_load_dwordx2 v[21:22], v[19:20], off
	global_load_dwordx2 v[23:24], v[4:5], off
	v_add_u32_e32 v7, 64, v7
	s_waitcnt vmcnt(3)
	v_subrev_u32_e32 v4, s18, v8
	v_lshl_add_u32 v15, v4, 2, v4
	v_lshlrev_b64 v[19:20], 2, v[15:16]
	v_add_u32_e32 v5, 1, v15
	v_lshlrev_b64 v[25:26], 2, v[5:6]
	v_add_co_u32_e32 v19, vcc, s14, v19
	v_add_u32_e32 v5, -4, v3
	v_addc_co_u32_e32 v20, vcc, v14, v20, vcc
	v_lshlrev_b64 v[27:28], 2, v[5:6]
	global_load_dword v8, v[19:20], off
	v_add_co_u32_e32 v19, vcc, s14, v25
	v_add_u32_e32 v5, 2, v15
	v_addc_co_u32_e32 v20, vcc, v14, v26, vcc
	v_lshlrev_b64 v[25:26], 2, v[5:6]
	global_load_dword v31, v[19:20], off
	v_add_co_u32_e32 v19, vcc, s12, v27
	v_add_u32_e32 v5, -2, v3
	v_addc_co_u32_e32 v20, vcc, v13, v28, vcc
	v_lshlrev_b64 v[27:28], 2, v[5:6]
	v_add_co_u32_e32 v25, vcc, s14, v25
	v_add_u32_e32 v5, 3, v15
	v_addc_co_u32_e32 v26, vcc, v14, v26, vcc
	v_lshlrev_b64 v[29:30], 2, v[5:6]
	v_add_u32_e32 v5, 4, v15
	v_add_co_u32_e32 v15, vcc, s12, v27
	v_addc_co_u32_e32 v16, vcc, v13, v28, vcc
	global_load_dword v32, v[25:26], off
	v_lshlrev_b64 v[4:5], 2, v[5:6]
	v_add_co_u32_e32 v25, vcc, s14, v29
	v_addc_co_u32_e32 v26, vcc, v14, v30, vcc
	global_load_dwordx2 v[19:20], v[19:20], off
	v_add_co_u32_e32 v4, vcc, s14, v4
	global_load_dwordx2 v[15:16], v[15:16], off
	v_addc_co_u32_e32 v5, vcc, v14, v5, vcc
	global_load_dword v25, v[25:26], off
	v_cmp_ge_i32_e32 vcc, v7, v9
	global_load_dword v4, v[4:5], off
	s_or_b64 s[8:9], vcc, s[8:9]
	v_add_u32_e32 v3, 0x280, v3
	s_waitcnt vmcnt(6)
	v_fmac_f32_e32 v11, v17, v8
	v_fmac_f32_e32 v10, v18, v8
	s_waitcnt vmcnt(5)
	v_fmac_f32_e32 v11, v23, v31
	v_fmac_f32_e32 v10, v24, v31
	;; [unrolled: 3-line block ×5, first 2 shown]
	s_andn2_b64 exec, exec, s[8:9]
	s_cbranch_execnz .LBB19_9
; %bb.10:
	s_or_b64 exec, exec, s[8:9]
.LBB19_11:
	s_or_b64 exec, exec, s[6:7]
	s_cbranch_execz .LBB19_13
	s_branch .LBB19_18
.LBB19_12:
                                        ; implicit-def: $vgpr11
                                        ; implicit-def: $vgpr10
.LBB19_13:
	v_mov_b32_e32 v11, 0
	v_mov_b32_e32 v10, 0
	s_and_saveexec_b64 s[6:7], s[0:1]
	s_cbranch_execz .LBB19_17
; %bb.14:
	v_mad_u64_u32 v[4:5], s[0:1], v2, 10, 9
	v_mov_b32_e32 v7, 0
	s_mov_b64 s[0:1], 0
	v_mov_b32_e32 v8, s11
	v_mov_b32_e32 v12, s13
	;; [unrolled: 1-line block ×5, first 2 shown]
.LBB19_15:                              ; =>This Inner Loop Header: Depth=1
	v_ashrrev_i32_e32 v3, 31, v2
	v_lshlrev_b64 v[17:18], 2, v[2:3]
	v_add_u32_e32 v6, -9, v4
	v_add_co_u32_e32 v17, vcc, s10, v17
	v_addc_co_u32_e32 v18, vcc, v8, v18, vcc
	global_load_dword v3, v[17:18], off
	v_lshlrev_b64 v[19:20], 2, v[6:7]
	v_add_u32_e32 v14, -4, v4
	v_mov_b32_e32 v15, v7
	v_lshlrev_b64 v[14:15], 2, v[14:15]
	v_add_co_u32_e32 v17, vcc, s12, v19
	v_mov_b32_e32 v5, v7
	v_addc_co_u32_e32 v18, vcc, v12, v20, vcc
	v_lshlrev_b64 v[5:6], 2, v[4:5]
	v_add_co_u32_e32 v14, vcc, s12, v14
	v_addc_co_u32_e32 v15, vcc, v12, v15, vcc
	v_add_co_u32_e32 v5, vcc, s12, v5
	v_mov_b32_e32 v16, v7
	v_addc_co_u32_e32 v6, vcc, v12, v6, vcc
	global_load_dword v27, v[14:15], off
	global_load_dword v28, v[5:6], off
	global_load_dwordx2 v[19:20], v[17:18], off
	v_add_u32_e32 v2, 64, v2
	s_waitcnt vmcnt(3)
	v_subrev_u32_e32 v3, s18, v3
	v_lshl_add_u32 v15, v3, 2, v3
	v_lshlrev_b64 v[16:17], 2, v[15:16]
	v_add_u32_e32 v6, 1, v15
	v_lshlrev_b64 v[21:22], 2, v[6:7]
	v_add_co_u32_e32 v16, vcc, s14, v16
	v_add_u32_e32 v6, -3, v4
	v_addc_co_u32_e32 v17, vcc, v13, v17, vcc
	v_lshlrev_b64 v[23:24], 2, v[6:7]
	v_add_co_u32_e32 v21, vcc, s14, v21
	v_add_u32_e32 v6, -7, v4
	v_addc_co_u32_e32 v22, vcc, v13, v22, vcc
	v_lshlrev_b64 v[25:26], 2, v[6:7]
	global_load_dword v3, v[16:17], off
	global_load_dword v18, v[21:22], off
	v_add_co_u32_e32 v16, vcc, s12, v23
	v_add_u32_e32 v6, 2, v15
	v_addc_co_u32_e32 v17, vcc, v12, v24, vcc
	v_lshlrev_b64 v[23:24], 2, v[6:7]
	v_add_co_u32_e32 v21, vcc, s12, v25
	v_add_u32_e32 v6, -2, v4
	v_addc_co_u32_e32 v22, vcc, v12, v26, vcc
	v_lshlrev_b64 v[25:26], 2, v[6:7]
	global_load_dword v29, v[16:17], off
	global_load_dword v30, v[21:22], off
	v_add_co_u32_e32 v16, vcc, s14, v23
	v_add_u32_e32 v6, -6, v4
	v_addc_co_u32_e32 v17, vcc, v13, v24, vcc
	v_lshlrev_b64 v[23:24], 2, v[6:7]
	v_add_co_u32_e32 v21, vcc, s12, v25
	v_add_u32_e32 v6, 3, v15
	v_addc_co_u32_e32 v22, vcc, v12, v26, vcc
	v_lshlrev_b64 v[25:26], 2, v[6:7]
	global_load_dword v31, v[16:17], off
	v_add_co_u32_e32 v16, vcc, s12, v23
	v_add_u32_e32 v6, -1, v4
	v_addc_co_u32_e32 v17, vcc, v12, v24, vcc
	v_lshlrev_b64 v[23:24], 2, v[6:7]
	v_add_u32_e32 v6, -5, v4
	v_add_co_u32_e32 v14, vcc, s14, v25
	global_load_dword v32, v[21:22], off
	global_load_dword v25, v[16:17], off
	v_lshlrev_b64 v[21:22], 2, v[6:7]
	v_add_u32_e32 v6, 4, v15
	v_addc_co_u32_e32 v15, vcc, v13, v26, vcc
	v_add_co_u32_e32 v16, vcc, s12, v23
	v_addc_co_u32_e32 v17, vcc, v12, v24, vcc
	v_lshlrev_b64 v[5:6], 2, v[6:7]
	global_load_dword v23, v[14:15], off
	v_add_co_u32_e32 v14, vcc, s12, v21
	v_addc_co_u32_e32 v15, vcc, v12, v22, vcc
	global_load_dword v16, v[16:17], off
	v_add_co_u32_e32 v5, vcc, s14, v5
	v_addc_co_u32_e32 v6, vcc, v13, v6, vcc
	global_load_dword v17, v[14:15], off
	global_load_dword v21, v[5:6], off
	v_cmp_ge_i32_e32 vcc, v2, v9
	s_or_b64 s[0:1], vcc, s[0:1]
	v_add_u32_e32 v4, 0x280, v4
	s_waitcnt vmcnt(10)
	v_fmac_f32_e32 v10, v27, v3
	v_fmac_f32_e32 v11, v19, v3
	s_waitcnt vmcnt(9)
	v_fmac_f32_e32 v11, v20, v18
	s_waitcnt vmcnt(8)
	;; [unrolled: 2-line block ×7, first 2 shown]
	v_fmac_f32_e32 v11, v17, v21
	v_fmac_f32_e32 v10, v28, v21
	s_andn2_b64 exec, exec, s[0:1]
	s_cbranch_execnz .LBB19_15
; %bb.16:
	s_or_b64 exec, exec, s[0:1]
.LBB19_17:
	s_or_b64 exec, exec, s[6:7]
.LBB19_18:
	v_mov_b32_dpp v2, v11 row_shr:1 row_mask:0xf bank_mask:0xf
	v_mov_b32_dpp v4, v10 row_shr:1 row_mask:0xf bank_mask:0xf
	v_add_f32_e32 v2, v11, v2
	v_add_f32_e32 v4, v10, v4
	v_cmp_eq_u32_e32 vcc, 63, v0
	v_mov_b32_dpp v3, v2 row_shr:2 row_mask:0xf bank_mask:0xf
	v_mov_b32_dpp v5, v4 row_shr:2 row_mask:0xf bank_mask:0xf
	v_add_f32_e32 v2, v2, v3
	v_add_f32_e32 v4, v4, v5
	s_nop 0
	v_mov_b32_dpp v3, v2 row_shr:4 row_mask:0xf bank_mask:0xe
	v_mov_b32_dpp v5, v4 row_shr:4 row_mask:0xf bank_mask:0xe
	v_add_f32_e32 v2, v2, v3
	v_add_f32_e32 v4, v4, v5
	s_nop 0
	;; [unrolled: 5-line block ×3, first 2 shown]
	v_mov_b32_dpp v3, v2 row_bcast:15 row_mask:0xa bank_mask:0xf
	v_mov_b32_dpp v5, v4 row_bcast:15 row_mask:0xa bank_mask:0xf
	v_add_f32_e32 v2, v2, v3
	v_add_f32_e32 v4, v4, v5
	s_nop 0
	v_mov_b32_dpp v3, v2 row_bcast:31 row_mask:0xc bank_mask:0xf
	v_mov_b32_dpp v5, v4 row_bcast:31 row_mask:0xc bank_mask:0xf
	s_and_b64 exec, exec, vcc
	s_cbranch_execz .LBB19_22
; %bb.19:
	s_load_dwordx2 s[0:1], s[4:5], 0x38
	v_add_f32_e32 v0, v2, v3
	v_add_f32_e32 v3, v4, v5
	v_cmp_eq_f32_e64 s[4:5], s2, 0
	s_and_b64 vcc, exec, s[4:5]
	v_mul_f32_e32 v2, s16, v0
	v_mul_f32_e32 v3, s16, v3
	v_lshlrev_b32_e32 v0, 1, v1
	s_cbranch_vccz .LBB19_23
; %bb.20:
	v_ashrrev_i32_e32 v1, 31, v0
	v_lshlrev_b64 v[4:5], 2, v[0:1]
	s_waitcnt lgkmcnt(0)
	v_mov_b32_e32 v1, s1
	v_add_co_u32_e32 v4, vcc, s0, v4
	v_addc_co_u32_e32 v5, vcc, v1, v5, vcc
	global_store_dwordx2 v[4:5], v[2:3], off
	s_cbranch_execnz .LBB19_22
.LBB19_21:
	v_ashrrev_i32_e32 v1, 31, v0
	v_lshlrev_b64 v[0:1], 2, v[0:1]
	s_waitcnt lgkmcnt(0)
	v_mov_b32_e32 v4, s1
	v_add_co_u32_e32 v0, vcc, s0, v0
	v_addc_co_u32_e32 v1, vcc, v4, v1, vcc
	global_load_dwordx2 v[4:5], v[0:1], off
	s_waitcnt vmcnt(0)
	v_fmac_f32_e32 v2, s2, v4
	v_fmac_f32_e32 v3, s2, v5
	global_store_dwordx2 v[0:1], v[2:3], off
.LBB19_22:
	s_endpgm
.LBB19_23:
	s_branch .LBB19_21
	.section	.rodata,"a",@progbits
	.p2align	6, 0x0
	.amdhsa_kernel _ZN9rocsparseL19gebsrmvn_2xn_kernelILj128ELj5ELj64EfEEvi20rocsparse_direction_NS_24const_host_device_scalarIT2_EEPKiS6_PKS3_S8_S4_PS3_21rocsparse_index_base_b
		.amdhsa_group_segment_fixed_size 0
		.amdhsa_private_segment_fixed_size 0
		.amdhsa_kernarg_size 72
		.amdhsa_user_sgpr_count 6
		.amdhsa_user_sgpr_private_segment_buffer 1
		.amdhsa_user_sgpr_dispatch_ptr 0
		.amdhsa_user_sgpr_queue_ptr 0
		.amdhsa_user_sgpr_kernarg_segment_ptr 1
		.amdhsa_user_sgpr_dispatch_id 0
		.amdhsa_user_sgpr_flat_scratch_init 0
		.amdhsa_user_sgpr_private_segment_size 0
		.amdhsa_uses_dynamic_stack 0
		.amdhsa_system_sgpr_private_segment_wavefront_offset 0
		.amdhsa_system_sgpr_workgroup_id_x 1
		.amdhsa_system_sgpr_workgroup_id_y 0
		.amdhsa_system_sgpr_workgroup_id_z 0
		.amdhsa_system_sgpr_workgroup_info 0
		.amdhsa_system_vgpr_workitem_id 0
		.amdhsa_next_free_vgpr 33
		.amdhsa_next_free_sgpr 20
		.amdhsa_reserve_vcc 1
		.amdhsa_reserve_flat_scratch 0
		.amdhsa_float_round_mode_32 0
		.amdhsa_float_round_mode_16_64 0
		.amdhsa_float_denorm_mode_32 3
		.amdhsa_float_denorm_mode_16_64 3
		.amdhsa_dx10_clamp 1
		.amdhsa_ieee_mode 1
		.amdhsa_fp16_overflow 0
		.amdhsa_exception_fp_ieee_invalid_op 0
		.amdhsa_exception_fp_denorm_src 0
		.amdhsa_exception_fp_ieee_div_zero 0
		.amdhsa_exception_fp_ieee_overflow 0
		.amdhsa_exception_fp_ieee_underflow 0
		.amdhsa_exception_fp_ieee_inexact 0
		.amdhsa_exception_int_div_zero 0
	.end_amdhsa_kernel
	.section	.text._ZN9rocsparseL19gebsrmvn_2xn_kernelILj128ELj5ELj64EfEEvi20rocsparse_direction_NS_24const_host_device_scalarIT2_EEPKiS6_PKS3_S8_S4_PS3_21rocsparse_index_base_b,"axG",@progbits,_ZN9rocsparseL19gebsrmvn_2xn_kernelILj128ELj5ELj64EfEEvi20rocsparse_direction_NS_24const_host_device_scalarIT2_EEPKiS6_PKS3_S8_S4_PS3_21rocsparse_index_base_b,comdat
.Lfunc_end19:
	.size	_ZN9rocsparseL19gebsrmvn_2xn_kernelILj128ELj5ELj64EfEEvi20rocsparse_direction_NS_24const_host_device_scalarIT2_EEPKiS6_PKS3_S8_S4_PS3_21rocsparse_index_base_b, .Lfunc_end19-_ZN9rocsparseL19gebsrmvn_2xn_kernelILj128ELj5ELj64EfEEvi20rocsparse_direction_NS_24const_host_device_scalarIT2_EEPKiS6_PKS3_S8_S4_PS3_21rocsparse_index_base_b
                                        ; -- End function
	.set _ZN9rocsparseL19gebsrmvn_2xn_kernelILj128ELj5ELj64EfEEvi20rocsparse_direction_NS_24const_host_device_scalarIT2_EEPKiS6_PKS3_S8_S4_PS3_21rocsparse_index_base_b.num_vgpr, 33
	.set _ZN9rocsparseL19gebsrmvn_2xn_kernelILj128ELj5ELj64EfEEvi20rocsparse_direction_NS_24const_host_device_scalarIT2_EEPKiS6_PKS3_S8_S4_PS3_21rocsparse_index_base_b.num_agpr, 0
	.set _ZN9rocsparseL19gebsrmvn_2xn_kernelILj128ELj5ELj64EfEEvi20rocsparse_direction_NS_24const_host_device_scalarIT2_EEPKiS6_PKS3_S8_S4_PS3_21rocsparse_index_base_b.numbered_sgpr, 20
	.set _ZN9rocsparseL19gebsrmvn_2xn_kernelILj128ELj5ELj64EfEEvi20rocsparse_direction_NS_24const_host_device_scalarIT2_EEPKiS6_PKS3_S8_S4_PS3_21rocsparse_index_base_b.num_named_barrier, 0
	.set _ZN9rocsparseL19gebsrmvn_2xn_kernelILj128ELj5ELj64EfEEvi20rocsparse_direction_NS_24const_host_device_scalarIT2_EEPKiS6_PKS3_S8_S4_PS3_21rocsparse_index_base_b.private_seg_size, 0
	.set _ZN9rocsparseL19gebsrmvn_2xn_kernelILj128ELj5ELj64EfEEvi20rocsparse_direction_NS_24const_host_device_scalarIT2_EEPKiS6_PKS3_S8_S4_PS3_21rocsparse_index_base_b.uses_vcc, 1
	.set _ZN9rocsparseL19gebsrmvn_2xn_kernelILj128ELj5ELj64EfEEvi20rocsparse_direction_NS_24const_host_device_scalarIT2_EEPKiS6_PKS3_S8_S4_PS3_21rocsparse_index_base_b.uses_flat_scratch, 0
	.set _ZN9rocsparseL19gebsrmvn_2xn_kernelILj128ELj5ELj64EfEEvi20rocsparse_direction_NS_24const_host_device_scalarIT2_EEPKiS6_PKS3_S8_S4_PS3_21rocsparse_index_base_b.has_dyn_sized_stack, 0
	.set _ZN9rocsparseL19gebsrmvn_2xn_kernelILj128ELj5ELj64EfEEvi20rocsparse_direction_NS_24const_host_device_scalarIT2_EEPKiS6_PKS3_S8_S4_PS3_21rocsparse_index_base_b.has_recursion, 0
	.set _ZN9rocsparseL19gebsrmvn_2xn_kernelILj128ELj5ELj64EfEEvi20rocsparse_direction_NS_24const_host_device_scalarIT2_EEPKiS6_PKS3_S8_S4_PS3_21rocsparse_index_base_b.has_indirect_call, 0
	.section	.AMDGPU.csdata,"",@progbits
; Kernel info:
; codeLenInByte = 1616
; TotalNumSgprs: 24
; NumVgprs: 33
; ScratchSize: 0
; MemoryBound: 0
; FloatMode: 240
; IeeeMode: 1
; LDSByteSize: 0 bytes/workgroup (compile time only)
; SGPRBlocks: 2
; VGPRBlocks: 8
; NumSGPRsForWavesPerEU: 24
; NumVGPRsForWavesPerEU: 33
; Occupancy: 7
; WaveLimiterHint : 1
; COMPUTE_PGM_RSRC2:SCRATCH_EN: 0
; COMPUTE_PGM_RSRC2:USER_SGPR: 6
; COMPUTE_PGM_RSRC2:TRAP_HANDLER: 0
; COMPUTE_PGM_RSRC2:TGID_X_EN: 1
; COMPUTE_PGM_RSRC2:TGID_Y_EN: 0
; COMPUTE_PGM_RSRC2:TGID_Z_EN: 0
; COMPUTE_PGM_RSRC2:TIDIG_COMP_CNT: 0
	.section	.text._ZN9rocsparseL19gebsrmvn_2xn_kernelILj128ELj6ELj4EfEEvi20rocsparse_direction_NS_24const_host_device_scalarIT2_EEPKiS6_PKS3_S8_S4_PS3_21rocsparse_index_base_b,"axG",@progbits,_ZN9rocsparseL19gebsrmvn_2xn_kernelILj128ELj6ELj4EfEEvi20rocsparse_direction_NS_24const_host_device_scalarIT2_EEPKiS6_PKS3_S8_S4_PS3_21rocsparse_index_base_b,comdat
	.globl	_ZN9rocsparseL19gebsrmvn_2xn_kernelILj128ELj6ELj4EfEEvi20rocsparse_direction_NS_24const_host_device_scalarIT2_EEPKiS6_PKS3_S8_S4_PS3_21rocsparse_index_base_b ; -- Begin function _ZN9rocsparseL19gebsrmvn_2xn_kernelILj128ELj6ELj4EfEEvi20rocsparse_direction_NS_24const_host_device_scalarIT2_EEPKiS6_PKS3_S8_S4_PS3_21rocsparse_index_base_b
	.p2align	8
	.type	_ZN9rocsparseL19gebsrmvn_2xn_kernelILj128ELj6ELj4EfEEvi20rocsparse_direction_NS_24const_host_device_scalarIT2_EEPKiS6_PKS3_S8_S4_PS3_21rocsparse_index_base_b,@function
_ZN9rocsparseL19gebsrmvn_2xn_kernelILj128ELj6ELj4EfEEvi20rocsparse_direction_NS_24const_host_device_scalarIT2_EEPKiS6_PKS3_S8_S4_PS3_21rocsparse_index_base_b: ; @_ZN9rocsparseL19gebsrmvn_2xn_kernelILj128ELj6ELj4EfEEvi20rocsparse_direction_NS_24const_host_device_scalarIT2_EEPKiS6_PKS3_S8_S4_PS3_21rocsparse_index_base_b
; %bb.0:
	s_load_dwordx2 s[18:19], s[4:5], 0x40
	s_load_dwordx2 s[16:17], s[4:5], 0x8
	;; [unrolled: 1-line block ×3, first 2 shown]
	s_waitcnt lgkmcnt(0)
	s_bitcmp1_b32 s19, 0
	s_cselect_b64 s[8:9], -1, 0
	s_xor_b64 s[0:1], s[8:9], -1
	s_and_b64 vcc, exec, s[8:9]
	s_cbranch_vccnz .LBB20_2
; %bb.1:
	s_load_dword s16, s[16:17], 0x0
.LBB20_2:
	s_andn2_b64 vcc, exec, s[0:1]
	s_cbranch_vccnz .LBB20_4
; %bb.3:
	s_load_dword s2, s[2:3], 0x0
.LBB20_4:
	s_waitcnt lgkmcnt(0)
	v_cmp_eq_f32_e64 s[0:1], s16, 0
	v_cmp_eq_f32_e64 s[8:9], s2, 1.0
	s_and_b64 s[0:1], s[0:1], s[8:9]
	s_and_b64 vcc, exec, s[0:1]
	s_cbranch_vccnz .LBB20_22
; %bb.5:
	s_load_dwordx2 s[0:1], s[4:5], 0x0
	v_lshrrev_b32_e32 v1, 2, v0
	v_lshl_or_b32 v1, s6, 5, v1
	s_waitcnt lgkmcnt(0)
	v_cmp_gt_i32_e32 vcc, s0, v1
	s_and_saveexec_b64 s[6:7], vcc
	s_cbranch_execz .LBB20_22
; %bb.6:
	s_load_dwordx8 s[8:15], s[4:5], 0x10
	v_ashrrev_i32_e32 v2, 31, v1
	v_lshlrev_b64 v[2:3], 2, v[1:2]
	v_and_b32_e32 v0, 3, v0
	s_cmp_lg_u32 s1, 0
	s_waitcnt lgkmcnt(0)
	v_mov_b32_e32 v4, s9
	v_add_co_u32_e32 v2, vcc, s8, v2
	v_addc_co_u32_e32 v3, vcc, v4, v3, vcc
	global_load_dwordx2 v[2:3], v[2:3], off
	s_waitcnt vmcnt(0)
	v_subrev_u32_e32 v2, s18, v2
	v_subrev_u32_e32 v8, s18, v3
	v_add_u32_e32 v2, v2, v0
	v_cmp_lt_i32_e64 s[0:1], v2, v8
	s_cbranch_scc0 .LBB20_12
; %bb.7:
	v_mov_b32_e32 v9, 0
	v_mov_b32_e32 v10, 0
	s_and_saveexec_b64 s[6:7], s[0:1]
	s_cbranch_execz .LBB20_11
; %bb.8:
	v_mad_u64_u32 v[3:4], s[8:9], v2, 12, 10
	v_mov_b32_e32 v5, 0
	s_mov_b64 s[8:9], 0
	v_mov_b32_e32 v11, s11
	v_mov_b32_e32 v12, s13
	;; [unrolled: 1-line block ×6, first 2 shown]
.LBB20_9:                               ; =>This Inner Loop Header: Depth=1
	v_ashrrev_i32_e32 v7, 31, v6
	v_lshlrev_b64 v[14:15], 2, v[6:7]
	v_add_u32_e32 v4, -10, v3
	v_add_co_u32_e32 v14, vcc, s10, v14
	v_addc_co_u32_e32 v15, vcc, v11, v15, vcc
	v_lshlrev_b64 v[16:17], 2, v[4:5]
	global_load_dword v4, v[14:15], off
	v_mov_b32_e32 v21, v5
	v_add_co_u32_e32 v18, vcc, s12, v16
	v_addc_co_u32_e32 v19, vcc, v12, v17, vcc
	v_add_u32_e32 v6, 4, v6
	s_waitcnt vmcnt(0)
	v_subrev_u32_e32 v4, s18, v4
	v_mul_lo_u32 v20, v4, 6
	v_add_u32_e32 v4, -6, v3
	v_lshlrev_b64 v[14:15], 2, v[20:21]
	v_add_co_u32_e32 v21, vcc, s14, v14
	v_addc_co_u32_e32 v22, vcc, v13, v15, vcc
	global_load_dwordx2 v[23:24], v[21:22], off
	global_load_dwordx4 v[14:17], v[18:19], off
	s_waitcnt vmcnt(0)
	v_fmac_f32_e32 v9, v14, v23
	v_fmac_f32_e32 v10, v15, v23
	v_lshlrev_b64 v[14:15], 2, v[4:5]
	v_add_u32_e32 v4, 2, v20
	v_fmac_f32_e32 v9, v16, v24
	v_fmac_f32_e32 v10, v17, v24
	v_add_co_u32_e32 v14, vcc, s12, v14
	v_lshlrev_b64 v[16:17], 2, v[4:5]
	v_addc_co_u32_e32 v15, vcc, v12, v15, vcc
	v_add_u32_e32 v4, -4, v3
	v_add_co_u32_e32 v16, vcc, s14, v16
	v_lshlrev_b64 v[18:19], 2, v[4:5]
	v_addc_co_u32_e32 v17, vcc, v13, v17, vcc
	v_add_co_u32_e32 v18, vcc, s12, v18
	v_addc_co_u32_e32 v19, vcc, v12, v19, vcc
	global_load_dwordx2 v[21:22], v[14:15], off
	global_load_dwordx2 v[23:24], v[16:17], off
	v_mov_b32_e32 v4, v5
	global_load_dwordx2 v[14:15], v[18:19], off
	s_waitcnt vmcnt(1)
	v_fmac_f32_e32 v9, v21, v23
	v_fmac_f32_e32 v10, v22, v23
	s_waitcnt vmcnt(0)
	v_fmac_f32_e32 v9, v14, v24
	v_fmac_f32_e32 v10, v15, v24
	v_lshlrev_b64 v[14:15], 2, v[3:4]
	v_add_u32_e32 v4, -2, v3
	v_add_co_u32_e32 v14, vcc, s12, v14
	v_lshlrev_b64 v[16:17], 2, v[4:5]
	v_addc_co_u32_e32 v15, vcc, v12, v15, vcc
	v_add_u32_e32 v4, 4, v20
	v_add_co_u32_e32 v16, vcc, s12, v16
	v_lshlrev_b64 v[18:19], 2, v[4:5]
	v_addc_co_u32_e32 v17, vcc, v12, v17, vcc
	v_add_co_u32_e32 v18, vcc, s14, v18
	v_addc_co_u32_e32 v19, vcc, v13, v19, vcc
	global_load_dwordx2 v[20:21], v[16:17], off
	global_load_dwordx2 v[22:23], v[18:19], off
	v_cmp_ge_i32_e32 vcc, v6, v8
	global_load_dwordx2 v[14:15], v[14:15], off
	s_or_b64 s[8:9], vcc, s[8:9]
	v_add_u32_e32 v3, 48, v3
	s_waitcnt vmcnt(1)
	v_fmac_f32_e32 v9, v20, v22
	v_fmac_f32_e32 v10, v21, v22
	s_waitcnt vmcnt(0)
	v_fmac_f32_e32 v9, v14, v23
	v_fmac_f32_e32 v10, v15, v23
	s_andn2_b64 exec, exec, s[8:9]
	s_cbranch_execnz .LBB20_9
; %bb.10:
	s_or_b64 exec, exec, s[8:9]
.LBB20_11:
	s_or_b64 exec, exec, s[6:7]
	s_cbranch_execz .LBB20_13
	s_branch .LBB20_18
.LBB20_12:
                                        ; implicit-def: $vgpr9
                                        ; implicit-def: $vgpr10
.LBB20_13:
	v_mov_b32_e32 v9, 0
	v_mov_b32_e32 v10, 0
	s_and_saveexec_b64 s[6:7], s[0:1]
	s_cbranch_execz .LBB20_17
; %bb.14:
	v_mad_u64_u32 v[4:5], s[0:1], v2, 12, 11
	v_mov_b32_e32 v6, 0
	s_mov_b64 s[0:1], 0
	v_mov_b32_e32 v7, s11
	v_mov_b32_e32 v11, s13
	;; [unrolled: 1-line block ×5, first 2 shown]
.LBB20_15:                              ; =>This Inner Loop Header: Depth=1
	v_ashrrev_i32_e32 v3, 31, v2
	v_lshlrev_b64 v[15:16], 2, v[2:3]
	v_add_u32_e32 v5, -11, v4
	v_add_co_u32_e32 v15, vcc, s10, v15
	v_addc_co_u32_e32 v16, vcc, v7, v16, vcc
	global_load_dword v3, v[15:16], off
	v_lshlrev_b64 v[17:18], 2, v[5:6]
	v_add_u32_e32 v13, -5, v4
	v_mov_b32_e32 v14, v6
	v_lshlrev_b64 v[13:14], 2, v[13:14]
	v_add_co_u32_e32 v17, vcc, s12, v17
	v_add_u32_e32 v5, -4, v4
	v_addc_co_u32_e32 v18, vcc, v11, v18, vcc
	v_add_co_u32_e32 v13, vcc, s12, v13
	v_lshlrev_b64 v[19:20], 2, v[5:6]
	v_addc_co_u32_e32 v14, vcc, v11, v14, vcc
	v_mov_b32_e32 v22, v6
	v_add_co_u32_e32 v19, vcc, s12, v19
	v_addc_co_u32_e32 v20, vcc, v11, v20, vcc
	v_add_u32_e32 v2, 4, v2
	s_waitcnt vmcnt(0)
	v_subrev_u32_e32 v3, s18, v3
	v_mul_lo_u32 v21, v3, 6
	v_lshlrev_b64 v[15:16], 2, v[21:22]
	v_add_u32_e32 v5, 2, v21
	v_add_co_u32_e32 v15, vcc, s14, v15
	v_addc_co_u32_e32 v16, vcc, v12, v16, vcc
	v_lshlrev_b64 v[22:23], 2, v[5:6]
	global_load_dword v3, v[13:14], off
	global_load_dword v5, v[19:20], off
	global_load_dwordx2 v[24:25], v[15:16], off
	v_add_co_u32_e32 v22, vcc, s14, v22
	global_load_dwordx4 v[13:16], v[17:18], off
	v_addc_co_u32_e32 v23, vcc, v12, v23, vcc
	s_waitcnt vmcnt(1)
	v_fmac_f32_e32 v10, v3, v24
	v_fmac_f32_e32 v10, v5, v25
	v_mov_b32_e32 v5, v6
	s_waitcnt vmcnt(0)
	v_fmac_f32_e32 v9, v13, v24
	v_fmac_f32_e32 v9, v14, v25
	global_load_dwordx2 v[13:14], v[22:23], off
	s_waitcnt vmcnt(0)
	v_fmac_f32_e32 v9, v15, v13
	v_fmac_f32_e32 v9, v16, v14
	v_lshlrev_b64 v[15:16], 2, v[4:5]
	v_add_u32_e32 v5, -3, v4
	v_add_co_u32_e32 v15, vcc, s12, v15
	v_lshlrev_b64 v[17:18], 2, v[5:6]
	v_addc_co_u32_e32 v16, vcc, v11, v16, vcc
	v_add_u32_e32 v5, -2, v4
	v_add_co_u32_e32 v17, vcc, s12, v17
	v_lshlrev_b64 v[19:20], 2, v[5:6]
	v_addc_co_u32_e32 v18, vcc, v11, v18, vcc
	v_add_u32_e32 v5, -7, v4
	v_lshlrev_b64 v[22:23], 2, v[5:6]
	v_add_co_u32_e32 v19, vcc, s12, v19
	v_addc_co_u32_e32 v20, vcc, v11, v20, vcc
	v_add_u32_e32 v5, 4, v21
	v_add_co_u32_e32 v21, vcc, s12, v22
	v_addc_co_u32_e32 v22, vcc, v11, v23, vcc
	global_load_dword v3, v[17:18], off
	global_load_dword v25, v[19:20], off
	;; [unrolled: 1-line block ×3, first 2 shown]
	v_lshlrev_b64 v[23:24], 2, v[5:6]
	v_add_u32_e32 v5, -1, v4
	v_add_co_u32_e32 v23, vcc, s14, v23
	v_addc_co_u32_e32 v24, vcc, v12, v24, vcc
	s_waitcnt vmcnt(2)
	v_fmac_f32_e32 v10, v3, v13
	s_waitcnt vmcnt(1)
	v_fmac_f32_e32 v10, v25, v14
	v_lshlrev_b64 v[13:14], 2, v[5:6]
	v_add_u32_e32 v5, -6, v4
	v_add_co_u32_e32 v13, vcc, s12, v13
	v_lshlrev_b64 v[17:18], 2, v[5:6]
	v_addc_co_u32_e32 v14, vcc, v11, v14, vcc
	v_add_co_u32_e32 v17, vcc, s12, v17
	v_addc_co_u32_e32 v18, vcc, v11, v18, vcc
	global_load_dword v3, v[13:14], off
	global_load_dwordx2 v[19:20], v[23:24], off
	global_load_dword v5, v[17:18], off
	global_load_dword v21, v[15:16], off
	v_cmp_ge_i32_e32 vcc, v2, v8
	s_or_b64 s[0:1], vcc, s[0:1]
	v_add_u32_e32 v4, 48, v4
	s_waitcnt vmcnt(2)
	v_fmac_f32_e32 v9, v26, v19
	v_fmac_f32_e32 v10, v3, v19
	s_waitcnt vmcnt(1)
	v_fmac_f32_e32 v9, v5, v20
	s_waitcnt vmcnt(0)
	v_fmac_f32_e32 v10, v21, v20
	s_andn2_b64 exec, exec, s[0:1]
	s_cbranch_execnz .LBB20_15
; %bb.16:
	s_or_b64 exec, exec, s[0:1]
.LBB20_17:
	s_or_b64 exec, exec, s[6:7]
.LBB20_18:
	v_mov_b32_dpp v2, v9 row_shr:1 row_mask:0xf bank_mask:0xf
	v_mov_b32_dpp v4, v10 row_shr:1 row_mask:0xf bank_mask:0xf
	v_add_f32_e32 v2, v9, v2
	v_add_f32_e32 v4, v10, v4
	v_cmp_eq_u32_e32 vcc, 3, v0
	v_mov_b32_dpp v3, v2 row_shr:2 row_mask:0xf bank_mask:0xf
	v_mov_b32_dpp v5, v4 row_shr:2 row_mask:0xf bank_mask:0xf
	s_and_b64 exec, exec, vcc
	s_cbranch_execz .LBB20_22
; %bb.19:
	s_load_dwordx2 s[0:1], s[4:5], 0x38
	v_add_f32_e32 v0, v2, v3
	v_add_f32_e32 v3, v4, v5
	v_cmp_eq_f32_e64 s[4:5], s2, 0
	s_and_b64 vcc, exec, s[4:5]
	v_mul_f32_e32 v2, s16, v0
	v_mul_f32_e32 v3, s16, v3
	v_lshlrev_b32_e32 v0, 1, v1
	s_cbranch_vccz .LBB20_23
; %bb.20:
	v_ashrrev_i32_e32 v1, 31, v0
	v_lshlrev_b64 v[4:5], 2, v[0:1]
	s_waitcnt lgkmcnt(0)
	v_mov_b32_e32 v1, s1
	v_add_co_u32_e32 v4, vcc, s0, v4
	v_addc_co_u32_e32 v5, vcc, v1, v5, vcc
	global_store_dwordx2 v[4:5], v[2:3], off
	s_cbranch_execnz .LBB20_22
.LBB20_21:
	v_ashrrev_i32_e32 v1, 31, v0
	v_lshlrev_b64 v[0:1], 2, v[0:1]
	s_waitcnt lgkmcnt(0)
	v_mov_b32_e32 v4, s1
	v_add_co_u32_e32 v0, vcc, s0, v0
	v_addc_co_u32_e32 v1, vcc, v4, v1, vcc
	global_load_dwordx2 v[4:5], v[0:1], off
	s_waitcnt vmcnt(0)
	v_fmac_f32_e32 v2, s2, v4
	v_fmac_f32_e32 v3, s2, v5
	global_store_dwordx2 v[0:1], v[2:3], off
.LBB20_22:
	s_endpgm
.LBB20_23:
	s_branch .LBB20_21
	.section	.rodata,"a",@progbits
	.p2align	6, 0x0
	.amdhsa_kernel _ZN9rocsparseL19gebsrmvn_2xn_kernelILj128ELj6ELj4EfEEvi20rocsparse_direction_NS_24const_host_device_scalarIT2_EEPKiS6_PKS3_S8_S4_PS3_21rocsparse_index_base_b
		.amdhsa_group_segment_fixed_size 0
		.amdhsa_private_segment_fixed_size 0
		.amdhsa_kernarg_size 72
		.amdhsa_user_sgpr_count 6
		.amdhsa_user_sgpr_private_segment_buffer 1
		.amdhsa_user_sgpr_dispatch_ptr 0
		.amdhsa_user_sgpr_queue_ptr 0
		.amdhsa_user_sgpr_kernarg_segment_ptr 1
		.amdhsa_user_sgpr_dispatch_id 0
		.amdhsa_user_sgpr_flat_scratch_init 0
		.amdhsa_user_sgpr_private_segment_size 0
		.amdhsa_uses_dynamic_stack 0
		.amdhsa_system_sgpr_private_segment_wavefront_offset 0
		.amdhsa_system_sgpr_workgroup_id_x 1
		.amdhsa_system_sgpr_workgroup_id_y 0
		.amdhsa_system_sgpr_workgroup_id_z 0
		.amdhsa_system_sgpr_workgroup_info 0
		.amdhsa_system_vgpr_workitem_id 0
		.amdhsa_next_free_vgpr 27
		.amdhsa_next_free_sgpr 20
		.amdhsa_reserve_vcc 1
		.amdhsa_reserve_flat_scratch 0
		.amdhsa_float_round_mode_32 0
		.amdhsa_float_round_mode_16_64 0
		.amdhsa_float_denorm_mode_32 3
		.amdhsa_float_denorm_mode_16_64 3
		.amdhsa_dx10_clamp 1
		.amdhsa_ieee_mode 1
		.amdhsa_fp16_overflow 0
		.amdhsa_exception_fp_ieee_invalid_op 0
		.amdhsa_exception_fp_denorm_src 0
		.amdhsa_exception_fp_ieee_div_zero 0
		.amdhsa_exception_fp_ieee_overflow 0
		.amdhsa_exception_fp_ieee_underflow 0
		.amdhsa_exception_fp_ieee_inexact 0
		.amdhsa_exception_int_div_zero 0
	.end_amdhsa_kernel
	.section	.text._ZN9rocsparseL19gebsrmvn_2xn_kernelILj128ELj6ELj4EfEEvi20rocsparse_direction_NS_24const_host_device_scalarIT2_EEPKiS6_PKS3_S8_S4_PS3_21rocsparse_index_base_b,"axG",@progbits,_ZN9rocsparseL19gebsrmvn_2xn_kernelILj128ELj6ELj4EfEEvi20rocsparse_direction_NS_24const_host_device_scalarIT2_EEPKiS6_PKS3_S8_S4_PS3_21rocsparse_index_base_b,comdat
.Lfunc_end20:
	.size	_ZN9rocsparseL19gebsrmvn_2xn_kernelILj128ELj6ELj4EfEEvi20rocsparse_direction_NS_24const_host_device_scalarIT2_EEPKiS6_PKS3_S8_S4_PS3_21rocsparse_index_base_b, .Lfunc_end20-_ZN9rocsparseL19gebsrmvn_2xn_kernelILj128ELj6ELj4EfEEvi20rocsparse_direction_NS_24const_host_device_scalarIT2_EEPKiS6_PKS3_S8_S4_PS3_21rocsparse_index_base_b
                                        ; -- End function
	.set _ZN9rocsparseL19gebsrmvn_2xn_kernelILj128ELj6ELj4EfEEvi20rocsparse_direction_NS_24const_host_device_scalarIT2_EEPKiS6_PKS3_S8_S4_PS3_21rocsparse_index_base_b.num_vgpr, 27
	.set _ZN9rocsparseL19gebsrmvn_2xn_kernelILj128ELj6ELj4EfEEvi20rocsparse_direction_NS_24const_host_device_scalarIT2_EEPKiS6_PKS3_S8_S4_PS3_21rocsparse_index_base_b.num_agpr, 0
	.set _ZN9rocsparseL19gebsrmvn_2xn_kernelILj128ELj6ELj4EfEEvi20rocsparse_direction_NS_24const_host_device_scalarIT2_EEPKiS6_PKS3_S8_S4_PS3_21rocsparse_index_base_b.numbered_sgpr, 20
	.set _ZN9rocsparseL19gebsrmvn_2xn_kernelILj128ELj6ELj4EfEEvi20rocsparse_direction_NS_24const_host_device_scalarIT2_EEPKiS6_PKS3_S8_S4_PS3_21rocsparse_index_base_b.num_named_barrier, 0
	.set _ZN9rocsparseL19gebsrmvn_2xn_kernelILj128ELj6ELj4EfEEvi20rocsparse_direction_NS_24const_host_device_scalarIT2_EEPKiS6_PKS3_S8_S4_PS3_21rocsparse_index_base_b.private_seg_size, 0
	.set _ZN9rocsparseL19gebsrmvn_2xn_kernelILj128ELj6ELj4EfEEvi20rocsparse_direction_NS_24const_host_device_scalarIT2_EEPKiS6_PKS3_S8_S4_PS3_21rocsparse_index_base_b.uses_vcc, 1
	.set _ZN9rocsparseL19gebsrmvn_2xn_kernelILj128ELj6ELj4EfEEvi20rocsparse_direction_NS_24const_host_device_scalarIT2_EEPKiS6_PKS3_S8_S4_PS3_21rocsparse_index_base_b.uses_flat_scratch, 0
	.set _ZN9rocsparseL19gebsrmvn_2xn_kernelILj128ELj6ELj4EfEEvi20rocsparse_direction_NS_24const_host_device_scalarIT2_EEPKiS6_PKS3_S8_S4_PS3_21rocsparse_index_base_b.has_dyn_sized_stack, 0
	.set _ZN9rocsparseL19gebsrmvn_2xn_kernelILj128ELj6ELj4EfEEvi20rocsparse_direction_NS_24const_host_device_scalarIT2_EEPKiS6_PKS3_S8_S4_PS3_21rocsparse_index_base_b.has_recursion, 0
	.set _ZN9rocsparseL19gebsrmvn_2xn_kernelILj128ELj6ELj4EfEEvi20rocsparse_direction_NS_24const_host_device_scalarIT2_EEPKiS6_PKS3_S8_S4_PS3_21rocsparse_index_base_b.has_indirect_call, 0
	.section	.AMDGPU.csdata,"",@progbits
; Kernel info:
; codeLenInByte = 1400
; TotalNumSgprs: 24
; NumVgprs: 27
; ScratchSize: 0
; MemoryBound: 0
; FloatMode: 240
; IeeeMode: 1
; LDSByteSize: 0 bytes/workgroup (compile time only)
; SGPRBlocks: 2
; VGPRBlocks: 6
; NumSGPRsForWavesPerEU: 24
; NumVGPRsForWavesPerEU: 27
; Occupancy: 9
; WaveLimiterHint : 1
; COMPUTE_PGM_RSRC2:SCRATCH_EN: 0
; COMPUTE_PGM_RSRC2:USER_SGPR: 6
; COMPUTE_PGM_RSRC2:TRAP_HANDLER: 0
; COMPUTE_PGM_RSRC2:TGID_X_EN: 1
; COMPUTE_PGM_RSRC2:TGID_Y_EN: 0
; COMPUTE_PGM_RSRC2:TGID_Z_EN: 0
; COMPUTE_PGM_RSRC2:TIDIG_COMP_CNT: 0
	.section	.text._ZN9rocsparseL19gebsrmvn_2xn_kernelILj128ELj6ELj8EfEEvi20rocsparse_direction_NS_24const_host_device_scalarIT2_EEPKiS6_PKS3_S8_S4_PS3_21rocsparse_index_base_b,"axG",@progbits,_ZN9rocsparseL19gebsrmvn_2xn_kernelILj128ELj6ELj8EfEEvi20rocsparse_direction_NS_24const_host_device_scalarIT2_EEPKiS6_PKS3_S8_S4_PS3_21rocsparse_index_base_b,comdat
	.globl	_ZN9rocsparseL19gebsrmvn_2xn_kernelILj128ELj6ELj8EfEEvi20rocsparse_direction_NS_24const_host_device_scalarIT2_EEPKiS6_PKS3_S8_S4_PS3_21rocsparse_index_base_b ; -- Begin function _ZN9rocsparseL19gebsrmvn_2xn_kernelILj128ELj6ELj8EfEEvi20rocsparse_direction_NS_24const_host_device_scalarIT2_EEPKiS6_PKS3_S8_S4_PS3_21rocsparse_index_base_b
	.p2align	8
	.type	_ZN9rocsparseL19gebsrmvn_2xn_kernelILj128ELj6ELj8EfEEvi20rocsparse_direction_NS_24const_host_device_scalarIT2_EEPKiS6_PKS3_S8_S4_PS3_21rocsparse_index_base_b,@function
_ZN9rocsparseL19gebsrmvn_2xn_kernelILj128ELj6ELj8EfEEvi20rocsparse_direction_NS_24const_host_device_scalarIT2_EEPKiS6_PKS3_S8_S4_PS3_21rocsparse_index_base_b: ; @_ZN9rocsparseL19gebsrmvn_2xn_kernelILj128ELj6ELj8EfEEvi20rocsparse_direction_NS_24const_host_device_scalarIT2_EEPKiS6_PKS3_S8_S4_PS3_21rocsparse_index_base_b
; %bb.0:
	s_load_dwordx2 s[18:19], s[4:5], 0x40
	s_load_dwordx2 s[16:17], s[4:5], 0x8
	;; [unrolled: 1-line block ×3, first 2 shown]
	s_waitcnt lgkmcnt(0)
	s_bitcmp1_b32 s19, 0
	s_cselect_b64 s[8:9], -1, 0
	s_xor_b64 s[0:1], s[8:9], -1
	s_and_b64 vcc, exec, s[8:9]
	s_cbranch_vccnz .LBB21_2
; %bb.1:
	s_load_dword s16, s[16:17], 0x0
.LBB21_2:
	s_andn2_b64 vcc, exec, s[0:1]
	s_cbranch_vccnz .LBB21_4
; %bb.3:
	s_load_dword s2, s[2:3], 0x0
.LBB21_4:
	s_waitcnt lgkmcnt(0)
	v_cmp_eq_f32_e64 s[0:1], s16, 0
	v_cmp_eq_f32_e64 s[8:9], s2, 1.0
	s_and_b64 s[0:1], s[0:1], s[8:9]
	s_and_b64 vcc, exec, s[0:1]
	s_cbranch_vccnz .LBB21_22
; %bb.5:
	s_load_dwordx2 s[0:1], s[4:5], 0x0
	v_lshrrev_b32_e32 v1, 3, v0
	v_lshl_or_b32 v1, s6, 4, v1
	s_waitcnt lgkmcnt(0)
	v_cmp_gt_i32_e32 vcc, s0, v1
	s_and_saveexec_b64 s[6:7], vcc
	s_cbranch_execz .LBB21_22
; %bb.6:
	s_load_dwordx8 s[8:15], s[4:5], 0x10
	v_ashrrev_i32_e32 v2, 31, v1
	v_lshlrev_b64 v[2:3], 2, v[1:2]
	v_and_b32_e32 v0, 7, v0
	s_cmp_lg_u32 s1, 0
	s_waitcnt lgkmcnt(0)
	v_mov_b32_e32 v4, s9
	v_add_co_u32_e32 v2, vcc, s8, v2
	v_addc_co_u32_e32 v3, vcc, v4, v3, vcc
	global_load_dwordx2 v[2:3], v[2:3], off
	s_waitcnt vmcnt(0)
	v_subrev_u32_e32 v2, s18, v2
	v_subrev_u32_e32 v8, s18, v3
	v_add_u32_e32 v2, v2, v0
	v_cmp_lt_i32_e64 s[0:1], v2, v8
	s_cbranch_scc0 .LBB21_12
; %bb.7:
	v_mov_b32_e32 v9, 0
	v_mov_b32_e32 v10, 0
	s_and_saveexec_b64 s[6:7], s[0:1]
	s_cbranch_execz .LBB21_11
; %bb.8:
	v_mad_u64_u32 v[3:4], s[8:9], v2, 12, 10
	v_mov_b32_e32 v5, 0
	s_mov_b64 s[8:9], 0
	v_mov_b32_e32 v11, s11
	v_mov_b32_e32 v12, s13
	;; [unrolled: 1-line block ×6, first 2 shown]
.LBB21_9:                               ; =>This Inner Loop Header: Depth=1
	v_ashrrev_i32_e32 v7, 31, v6
	v_lshlrev_b64 v[14:15], 2, v[6:7]
	v_add_u32_e32 v4, -10, v3
	v_add_co_u32_e32 v14, vcc, s10, v14
	v_addc_co_u32_e32 v15, vcc, v11, v15, vcc
	v_lshlrev_b64 v[16:17], 2, v[4:5]
	global_load_dword v4, v[14:15], off
	v_mov_b32_e32 v21, v5
	v_add_co_u32_e32 v18, vcc, s12, v16
	v_addc_co_u32_e32 v19, vcc, v12, v17, vcc
	v_add_u32_e32 v6, 8, v6
	s_waitcnt vmcnt(0)
	v_subrev_u32_e32 v4, s18, v4
	v_mul_lo_u32 v20, v4, 6
	v_add_u32_e32 v4, -6, v3
	v_lshlrev_b64 v[14:15], 2, v[20:21]
	v_add_co_u32_e32 v21, vcc, s14, v14
	v_addc_co_u32_e32 v22, vcc, v13, v15, vcc
	global_load_dwordx2 v[23:24], v[21:22], off
	global_load_dwordx4 v[14:17], v[18:19], off
	s_waitcnt vmcnt(0)
	v_fmac_f32_e32 v9, v14, v23
	v_fmac_f32_e32 v10, v15, v23
	v_lshlrev_b64 v[14:15], 2, v[4:5]
	v_add_u32_e32 v4, 2, v20
	v_fmac_f32_e32 v9, v16, v24
	v_fmac_f32_e32 v10, v17, v24
	v_add_co_u32_e32 v14, vcc, s12, v14
	v_lshlrev_b64 v[16:17], 2, v[4:5]
	v_addc_co_u32_e32 v15, vcc, v12, v15, vcc
	v_add_u32_e32 v4, -4, v3
	v_add_co_u32_e32 v16, vcc, s14, v16
	v_lshlrev_b64 v[18:19], 2, v[4:5]
	v_addc_co_u32_e32 v17, vcc, v13, v17, vcc
	v_add_co_u32_e32 v18, vcc, s12, v18
	v_addc_co_u32_e32 v19, vcc, v12, v19, vcc
	global_load_dwordx2 v[21:22], v[14:15], off
	global_load_dwordx2 v[23:24], v[16:17], off
	v_mov_b32_e32 v4, v5
	global_load_dwordx2 v[14:15], v[18:19], off
	s_waitcnt vmcnt(1)
	v_fmac_f32_e32 v9, v21, v23
	v_fmac_f32_e32 v10, v22, v23
	s_waitcnt vmcnt(0)
	v_fmac_f32_e32 v9, v14, v24
	v_fmac_f32_e32 v10, v15, v24
	v_lshlrev_b64 v[14:15], 2, v[3:4]
	v_add_u32_e32 v4, -2, v3
	v_add_co_u32_e32 v14, vcc, s12, v14
	v_lshlrev_b64 v[16:17], 2, v[4:5]
	v_addc_co_u32_e32 v15, vcc, v12, v15, vcc
	v_add_u32_e32 v4, 4, v20
	v_add_co_u32_e32 v16, vcc, s12, v16
	v_lshlrev_b64 v[18:19], 2, v[4:5]
	v_addc_co_u32_e32 v17, vcc, v12, v17, vcc
	v_add_co_u32_e32 v18, vcc, s14, v18
	v_addc_co_u32_e32 v19, vcc, v13, v19, vcc
	global_load_dwordx2 v[20:21], v[16:17], off
	global_load_dwordx2 v[22:23], v[18:19], off
	v_cmp_ge_i32_e32 vcc, v6, v8
	global_load_dwordx2 v[14:15], v[14:15], off
	s_or_b64 s[8:9], vcc, s[8:9]
	v_add_u32_e32 v3, 0x60, v3
	s_waitcnt vmcnt(1)
	v_fmac_f32_e32 v9, v20, v22
	v_fmac_f32_e32 v10, v21, v22
	s_waitcnt vmcnt(0)
	v_fmac_f32_e32 v9, v14, v23
	v_fmac_f32_e32 v10, v15, v23
	s_andn2_b64 exec, exec, s[8:9]
	s_cbranch_execnz .LBB21_9
; %bb.10:
	s_or_b64 exec, exec, s[8:9]
.LBB21_11:
	s_or_b64 exec, exec, s[6:7]
	s_cbranch_execz .LBB21_13
	s_branch .LBB21_18
.LBB21_12:
                                        ; implicit-def: $vgpr9
                                        ; implicit-def: $vgpr10
.LBB21_13:
	v_mov_b32_e32 v9, 0
	v_mov_b32_e32 v10, 0
	s_and_saveexec_b64 s[6:7], s[0:1]
	s_cbranch_execz .LBB21_17
; %bb.14:
	v_mad_u64_u32 v[4:5], s[0:1], v2, 12, 11
	v_mov_b32_e32 v6, 0
	s_mov_b64 s[0:1], 0
	v_mov_b32_e32 v7, s11
	v_mov_b32_e32 v11, s13
	v_mov_b32_e32 v12, s15
	v_mov_b32_e32 v9, 0
	v_mov_b32_e32 v10, 0
.LBB21_15:                              ; =>This Inner Loop Header: Depth=1
	v_ashrrev_i32_e32 v3, 31, v2
	v_lshlrev_b64 v[15:16], 2, v[2:3]
	v_add_u32_e32 v5, -11, v4
	v_add_co_u32_e32 v15, vcc, s10, v15
	v_addc_co_u32_e32 v16, vcc, v7, v16, vcc
	global_load_dword v3, v[15:16], off
	v_lshlrev_b64 v[17:18], 2, v[5:6]
	v_add_u32_e32 v13, -5, v4
	v_mov_b32_e32 v14, v6
	v_lshlrev_b64 v[13:14], 2, v[13:14]
	v_add_co_u32_e32 v17, vcc, s12, v17
	v_add_u32_e32 v5, -4, v4
	v_addc_co_u32_e32 v18, vcc, v11, v18, vcc
	v_add_co_u32_e32 v13, vcc, s12, v13
	v_lshlrev_b64 v[19:20], 2, v[5:6]
	v_addc_co_u32_e32 v14, vcc, v11, v14, vcc
	v_mov_b32_e32 v22, v6
	v_add_co_u32_e32 v19, vcc, s12, v19
	v_addc_co_u32_e32 v20, vcc, v11, v20, vcc
	v_add_u32_e32 v2, 8, v2
	s_waitcnt vmcnt(0)
	v_subrev_u32_e32 v3, s18, v3
	v_mul_lo_u32 v21, v3, 6
	v_lshlrev_b64 v[15:16], 2, v[21:22]
	v_add_u32_e32 v5, 2, v21
	v_add_co_u32_e32 v15, vcc, s14, v15
	v_addc_co_u32_e32 v16, vcc, v12, v16, vcc
	v_lshlrev_b64 v[22:23], 2, v[5:6]
	global_load_dword v3, v[13:14], off
	global_load_dword v5, v[19:20], off
	global_load_dwordx2 v[24:25], v[15:16], off
	v_add_co_u32_e32 v22, vcc, s14, v22
	global_load_dwordx4 v[13:16], v[17:18], off
	v_addc_co_u32_e32 v23, vcc, v12, v23, vcc
	s_waitcnt vmcnt(1)
	v_fmac_f32_e32 v10, v3, v24
	v_fmac_f32_e32 v10, v5, v25
	v_mov_b32_e32 v5, v6
	s_waitcnt vmcnt(0)
	v_fmac_f32_e32 v9, v13, v24
	v_fmac_f32_e32 v9, v14, v25
	global_load_dwordx2 v[13:14], v[22:23], off
	s_waitcnt vmcnt(0)
	v_fmac_f32_e32 v9, v15, v13
	v_fmac_f32_e32 v9, v16, v14
	v_lshlrev_b64 v[15:16], 2, v[4:5]
	v_add_u32_e32 v5, -3, v4
	v_add_co_u32_e32 v15, vcc, s12, v15
	v_lshlrev_b64 v[17:18], 2, v[5:6]
	v_addc_co_u32_e32 v16, vcc, v11, v16, vcc
	v_add_u32_e32 v5, -2, v4
	v_add_co_u32_e32 v17, vcc, s12, v17
	v_lshlrev_b64 v[19:20], 2, v[5:6]
	v_addc_co_u32_e32 v18, vcc, v11, v18, vcc
	v_add_u32_e32 v5, -7, v4
	v_lshlrev_b64 v[22:23], 2, v[5:6]
	v_add_co_u32_e32 v19, vcc, s12, v19
	v_addc_co_u32_e32 v20, vcc, v11, v20, vcc
	v_add_u32_e32 v5, 4, v21
	v_add_co_u32_e32 v21, vcc, s12, v22
	v_addc_co_u32_e32 v22, vcc, v11, v23, vcc
	global_load_dword v3, v[17:18], off
	global_load_dword v25, v[19:20], off
	global_load_dword v26, v[21:22], off
	v_lshlrev_b64 v[23:24], 2, v[5:6]
	v_add_u32_e32 v5, -1, v4
	v_add_co_u32_e32 v23, vcc, s14, v23
	v_addc_co_u32_e32 v24, vcc, v12, v24, vcc
	s_waitcnt vmcnt(2)
	v_fmac_f32_e32 v10, v3, v13
	s_waitcnt vmcnt(1)
	v_fmac_f32_e32 v10, v25, v14
	v_lshlrev_b64 v[13:14], 2, v[5:6]
	v_add_u32_e32 v5, -6, v4
	v_add_co_u32_e32 v13, vcc, s12, v13
	v_lshlrev_b64 v[17:18], 2, v[5:6]
	v_addc_co_u32_e32 v14, vcc, v11, v14, vcc
	v_add_co_u32_e32 v17, vcc, s12, v17
	v_addc_co_u32_e32 v18, vcc, v11, v18, vcc
	global_load_dword v3, v[13:14], off
	global_load_dwordx2 v[19:20], v[23:24], off
	global_load_dword v5, v[17:18], off
	global_load_dword v21, v[15:16], off
	v_cmp_ge_i32_e32 vcc, v2, v8
	s_or_b64 s[0:1], vcc, s[0:1]
	v_add_u32_e32 v4, 0x60, v4
	s_waitcnt vmcnt(2)
	v_fmac_f32_e32 v9, v26, v19
	v_fmac_f32_e32 v10, v3, v19
	s_waitcnt vmcnt(1)
	v_fmac_f32_e32 v9, v5, v20
	s_waitcnt vmcnt(0)
	v_fmac_f32_e32 v10, v21, v20
	s_andn2_b64 exec, exec, s[0:1]
	s_cbranch_execnz .LBB21_15
; %bb.16:
	s_or_b64 exec, exec, s[0:1]
.LBB21_17:
	s_or_b64 exec, exec, s[6:7]
.LBB21_18:
	v_mov_b32_dpp v2, v9 row_shr:1 row_mask:0xf bank_mask:0xf
	v_mov_b32_dpp v4, v10 row_shr:1 row_mask:0xf bank_mask:0xf
	v_add_f32_e32 v2, v9, v2
	v_add_f32_e32 v4, v10, v4
	v_cmp_eq_u32_e32 vcc, 7, v0
	v_mov_b32_dpp v3, v2 row_shr:2 row_mask:0xf bank_mask:0xf
	v_mov_b32_dpp v5, v4 row_shr:2 row_mask:0xf bank_mask:0xf
	v_add_f32_e32 v2, v2, v3
	v_add_f32_e32 v4, v4, v5
	s_nop 0
	v_mov_b32_dpp v3, v2 row_shr:4 row_mask:0xf bank_mask:0xe
	v_mov_b32_dpp v5, v4 row_shr:4 row_mask:0xf bank_mask:0xe
	s_and_b64 exec, exec, vcc
	s_cbranch_execz .LBB21_22
; %bb.19:
	s_load_dwordx2 s[0:1], s[4:5], 0x38
	v_add_f32_e32 v0, v2, v3
	v_add_f32_e32 v3, v4, v5
	v_cmp_eq_f32_e64 s[4:5], s2, 0
	s_and_b64 vcc, exec, s[4:5]
	v_mul_f32_e32 v2, s16, v0
	v_mul_f32_e32 v3, s16, v3
	v_lshlrev_b32_e32 v0, 1, v1
	s_cbranch_vccz .LBB21_23
; %bb.20:
	v_ashrrev_i32_e32 v1, 31, v0
	v_lshlrev_b64 v[4:5], 2, v[0:1]
	s_waitcnt lgkmcnt(0)
	v_mov_b32_e32 v1, s1
	v_add_co_u32_e32 v4, vcc, s0, v4
	v_addc_co_u32_e32 v5, vcc, v1, v5, vcc
	global_store_dwordx2 v[4:5], v[2:3], off
	s_cbranch_execnz .LBB21_22
.LBB21_21:
	v_ashrrev_i32_e32 v1, 31, v0
	v_lshlrev_b64 v[0:1], 2, v[0:1]
	s_waitcnt lgkmcnt(0)
	v_mov_b32_e32 v4, s1
	v_add_co_u32_e32 v0, vcc, s0, v0
	v_addc_co_u32_e32 v1, vcc, v4, v1, vcc
	global_load_dwordx2 v[4:5], v[0:1], off
	s_waitcnt vmcnt(0)
	v_fmac_f32_e32 v2, s2, v4
	v_fmac_f32_e32 v3, s2, v5
	global_store_dwordx2 v[0:1], v[2:3], off
.LBB21_22:
	s_endpgm
.LBB21_23:
	s_branch .LBB21_21
	.section	.rodata,"a",@progbits
	.p2align	6, 0x0
	.amdhsa_kernel _ZN9rocsparseL19gebsrmvn_2xn_kernelILj128ELj6ELj8EfEEvi20rocsparse_direction_NS_24const_host_device_scalarIT2_EEPKiS6_PKS3_S8_S4_PS3_21rocsparse_index_base_b
		.amdhsa_group_segment_fixed_size 0
		.amdhsa_private_segment_fixed_size 0
		.amdhsa_kernarg_size 72
		.amdhsa_user_sgpr_count 6
		.amdhsa_user_sgpr_private_segment_buffer 1
		.amdhsa_user_sgpr_dispatch_ptr 0
		.amdhsa_user_sgpr_queue_ptr 0
		.amdhsa_user_sgpr_kernarg_segment_ptr 1
		.amdhsa_user_sgpr_dispatch_id 0
		.amdhsa_user_sgpr_flat_scratch_init 0
		.amdhsa_user_sgpr_private_segment_size 0
		.amdhsa_uses_dynamic_stack 0
		.amdhsa_system_sgpr_private_segment_wavefront_offset 0
		.amdhsa_system_sgpr_workgroup_id_x 1
		.amdhsa_system_sgpr_workgroup_id_y 0
		.amdhsa_system_sgpr_workgroup_id_z 0
		.amdhsa_system_sgpr_workgroup_info 0
		.amdhsa_system_vgpr_workitem_id 0
		.amdhsa_next_free_vgpr 27
		.amdhsa_next_free_sgpr 20
		.amdhsa_reserve_vcc 1
		.amdhsa_reserve_flat_scratch 0
		.amdhsa_float_round_mode_32 0
		.amdhsa_float_round_mode_16_64 0
		.amdhsa_float_denorm_mode_32 3
		.amdhsa_float_denorm_mode_16_64 3
		.amdhsa_dx10_clamp 1
		.amdhsa_ieee_mode 1
		.amdhsa_fp16_overflow 0
		.amdhsa_exception_fp_ieee_invalid_op 0
		.amdhsa_exception_fp_denorm_src 0
		.amdhsa_exception_fp_ieee_div_zero 0
		.amdhsa_exception_fp_ieee_overflow 0
		.amdhsa_exception_fp_ieee_underflow 0
		.amdhsa_exception_fp_ieee_inexact 0
		.amdhsa_exception_int_div_zero 0
	.end_amdhsa_kernel
	.section	.text._ZN9rocsparseL19gebsrmvn_2xn_kernelILj128ELj6ELj8EfEEvi20rocsparse_direction_NS_24const_host_device_scalarIT2_EEPKiS6_PKS3_S8_S4_PS3_21rocsparse_index_base_b,"axG",@progbits,_ZN9rocsparseL19gebsrmvn_2xn_kernelILj128ELj6ELj8EfEEvi20rocsparse_direction_NS_24const_host_device_scalarIT2_EEPKiS6_PKS3_S8_S4_PS3_21rocsparse_index_base_b,comdat
.Lfunc_end21:
	.size	_ZN9rocsparseL19gebsrmvn_2xn_kernelILj128ELj6ELj8EfEEvi20rocsparse_direction_NS_24const_host_device_scalarIT2_EEPKiS6_PKS3_S8_S4_PS3_21rocsparse_index_base_b, .Lfunc_end21-_ZN9rocsparseL19gebsrmvn_2xn_kernelILj128ELj6ELj8EfEEvi20rocsparse_direction_NS_24const_host_device_scalarIT2_EEPKiS6_PKS3_S8_S4_PS3_21rocsparse_index_base_b
                                        ; -- End function
	.set _ZN9rocsparseL19gebsrmvn_2xn_kernelILj128ELj6ELj8EfEEvi20rocsparse_direction_NS_24const_host_device_scalarIT2_EEPKiS6_PKS3_S8_S4_PS3_21rocsparse_index_base_b.num_vgpr, 27
	.set _ZN9rocsparseL19gebsrmvn_2xn_kernelILj128ELj6ELj8EfEEvi20rocsparse_direction_NS_24const_host_device_scalarIT2_EEPKiS6_PKS3_S8_S4_PS3_21rocsparse_index_base_b.num_agpr, 0
	.set _ZN9rocsparseL19gebsrmvn_2xn_kernelILj128ELj6ELj8EfEEvi20rocsparse_direction_NS_24const_host_device_scalarIT2_EEPKiS6_PKS3_S8_S4_PS3_21rocsparse_index_base_b.numbered_sgpr, 20
	.set _ZN9rocsparseL19gebsrmvn_2xn_kernelILj128ELj6ELj8EfEEvi20rocsparse_direction_NS_24const_host_device_scalarIT2_EEPKiS6_PKS3_S8_S4_PS3_21rocsparse_index_base_b.num_named_barrier, 0
	.set _ZN9rocsparseL19gebsrmvn_2xn_kernelILj128ELj6ELj8EfEEvi20rocsparse_direction_NS_24const_host_device_scalarIT2_EEPKiS6_PKS3_S8_S4_PS3_21rocsparse_index_base_b.private_seg_size, 0
	.set _ZN9rocsparseL19gebsrmvn_2xn_kernelILj128ELj6ELj8EfEEvi20rocsparse_direction_NS_24const_host_device_scalarIT2_EEPKiS6_PKS3_S8_S4_PS3_21rocsparse_index_base_b.uses_vcc, 1
	.set _ZN9rocsparseL19gebsrmvn_2xn_kernelILj128ELj6ELj8EfEEvi20rocsparse_direction_NS_24const_host_device_scalarIT2_EEPKiS6_PKS3_S8_S4_PS3_21rocsparse_index_base_b.uses_flat_scratch, 0
	.set _ZN9rocsparseL19gebsrmvn_2xn_kernelILj128ELj6ELj8EfEEvi20rocsparse_direction_NS_24const_host_device_scalarIT2_EEPKiS6_PKS3_S8_S4_PS3_21rocsparse_index_base_b.has_dyn_sized_stack, 0
	.set _ZN9rocsparseL19gebsrmvn_2xn_kernelILj128ELj6ELj8EfEEvi20rocsparse_direction_NS_24const_host_device_scalarIT2_EEPKiS6_PKS3_S8_S4_PS3_21rocsparse_index_base_b.has_recursion, 0
	.set _ZN9rocsparseL19gebsrmvn_2xn_kernelILj128ELj6ELj8EfEEvi20rocsparse_direction_NS_24const_host_device_scalarIT2_EEPKiS6_PKS3_S8_S4_PS3_21rocsparse_index_base_b.has_indirect_call, 0
	.section	.AMDGPU.csdata,"",@progbits
; Kernel info:
; codeLenInByte = 1436
; TotalNumSgprs: 24
; NumVgprs: 27
; ScratchSize: 0
; MemoryBound: 0
; FloatMode: 240
; IeeeMode: 1
; LDSByteSize: 0 bytes/workgroup (compile time only)
; SGPRBlocks: 2
; VGPRBlocks: 6
; NumSGPRsForWavesPerEU: 24
; NumVGPRsForWavesPerEU: 27
; Occupancy: 9
; WaveLimiterHint : 1
; COMPUTE_PGM_RSRC2:SCRATCH_EN: 0
; COMPUTE_PGM_RSRC2:USER_SGPR: 6
; COMPUTE_PGM_RSRC2:TRAP_HANDLER: 0
; COMPUTE_PGM_RSRC2:TGID_X_EN: 1
; COMPUTE_PGM_RSRC2:TGID_Y_EN: 0
; COMPUTE_PGM_RSRC2:TGID_Z_EN: 0
; COMPUTE_PGM_RSRC2:TIDIG_COMP_CNT: 0
	.section	.text._ZN9rocsparseL19gebsrmvn_2xn_kernelILj128ELj6ELj16EfEEvi20rocsparse_direction_NS_24const_host_device_scalarIT2_EEPKiS6_PKS3_S8_S4_PS3_21rocsparse_index_base_b,"axG",@progbits,_ZN9rocsparseL19gebsrmvn_2xn_kernelILj128ELj6ELj16EfEEvi20rocsparse_direction_NS_24const_host_device_scalarIT2_EEPKiS6_PKS3_S8_S4_PS3_21rocsparse_index_base_b,comdat
	.globl	_ZN9rocsparseL19gebsrmvn_2xn_kernelILj128ELj6ELj16EfEEvi20rocsparse_direction_NS_24const_host_device_scalarIT2_EEPKiS6_PKS3_S8_S4_PS3_21rocsparse_index_base_b ; -- Begin function _ZN9rocsparseL19gebsrmvn_2xn_kernelILj128ELj6ELj16EfEEvi20rocsparse_direction_NS_24const_host_device_scalarIT2_EEPKiS6_PKS3_S8_S4_PS3_21rocsparse_index_base_b
	.p2align	8
	.type	_ZN9rocsparseL19gebsrmvn_2xn_kernelILj128ELj6ELj16EfEEvi20rocsparse_direction_NS_24const_host_device_scalarIT2_EEPKiS6_PKS3_S8_S4_PS3_21rocsparse_index_base_b,@function
_ZN9rocsparseL19gebsrmvn_2xn_kernelILj128ELj6ELj16EfEEvi20rocsparse_direction_NS_24const_host_device_scalarIT2_EEPKiS6_PKS3_S8_S4_PS3_21rocsparse_index_base_b: ; @_ZN9rocsparseL19gebsrmvn_2xn_kernelILj128ELj6ELj16EfEEvi20rocsparse_direction_NS_24const_host_device_scalarIT2_EEPKiS6_PKS3_S8_S4_PS3_21rocsparse_index_base_b
; %bb.0:
	s_load_dwordx2 s[18:19], s[4:5], 0x40
	s_load_dwordx2 s[16:17], s[4:5], 0x8
	s_load_dwordx2 s[2:3], s[4:5], 0x30
	s_waitcnt lgkmcnt(0)
	s_bitcmp1_b32 s19, 0
	s_cselect_b64 s[8:9], -1, 0
	s_xor_b64 s[0:1], s[8:9], -1
	s_and_b64 vcc, exec, s[8:9]
	s_cbranch_vccnz .LBB22_2
; %bb.1:
	s_load_dword s16, s[16:17], 0x0
.LBB22_2:
	s_andn2_b64 vcc, exec, s[0:1]
	s_cbranch_vccnz .LBB22_4
; %bb.3:
	s_load_dword s2, s[2:3], 0x0
.LBB22_4:
	s_waitcnt lgkmcnt(0)
	v_cmp_eq_f32_e64 s[0:1], s16, 0
	v_cmp_eq_f32_e64 s[8:9], s2, 1.0
	s_and_b64 s[0:1], s[0:1], s[8:9]
	s_and_b64 vcc, exec, s[0:1]
	s_cbranch_vccnz .LBB22_22
; %bb.5:
	s_load_dwordx2 s[0:1], s[4:5], 0x0
	v_lshrrev_b32_e32 v1, 4, v0
	v_lshl_or_b32 v1, s6, 3, v1
	s_waitcnt lgkmcnt(0)
	v_cmp_gt_i32_e32 vcc, s0, v1
	s_and_saveexec_b64 s[6:7], vcc
	s_cbranch_execz .LBB22_22
; %bb.6:
	s_load_dwordx8 s[8:15], s[4:5], 0x10
	v_ashrrev_i32_e32 v2, 31, v1
	v_lshlrev_b64 v[2:3], 2, v[1:2]
	v_and_b32_e32 v0, 15, v0
	s_cmp_lg_u32 s1, 0
	s_waitcnt lgkmcnt(0)
	v_mov_b32_e32 v4, s9
	v_add_co_u32_e32 v2, vcc, s8, v2
	v_addc_co_u32_e32 v3, vcc, v4, v3, vcc
	global_load_dwordx2 v[2:3], v[2:3], off
	s_waitcnt vmcnt(0)
	v_subrev_u32_e32 v2, s18, v2
	v_subrev_u32_e32 v8, s18, v3
	v_add_u32_e32 v2, v2, v0
	v_cmp_lt_i32_e64 s[0:1], v2, v8
	s_cbranch_scc0 .LBB22_12
; %bb.7:
	v_mov_b32_e32 v9, 0
	v_mov_b32_e32 v10, 0
	s_and_saveexec_b64 s[6:7], s[0:1]
	s_cbranch_execz .LBB22_11
; %bb.8:
	v_mad_u64_u32 v[3:4], s[8:9], v2, 12, 10
	v_mov_b32_e32 v5, 0
	s_mov_b64 s[8:9], 0
	v_mov_b32_e32 v11, s11
	v_mov_b32_e32 v12, s13
	;; [unrolled: 1-line block ×6, first 2 shown]
.LBB22_9:                               ; =>This Inner Loop Header: Depth=1
	v_ashrrev_i32_e32 v7, 31, v6
	v_lshlrev_b64 v[14:15], 2, v[6:7]
	v_add_u32_e32 v4, -10, v3
	v_add_co_u32_e32 v14, vcc, s10, v14
	v_addc_co_u32_e32 v15, vcc, v11, v15, vcc
	v_lshlrev_b64 v[16:17], 2, v[4:5]
	global_load_dword v4, v[14:15], off
	v_mov_b32_e32 v21, v5
	v_add_co_u32_e32 v18, vcc, s12, v16
	v_addc_co_u32_e32 v19, vcc, v12, v17, vcc
	v_add_u32_e32 v6, 16, v6
	s_waitcnt vmcnt(0)
	v_subrev_u32_e32 v4, s18, v4
	v_mul_lo_u32 v20, v4, 6
	v_add_u32_e32 v4, -6, v3
	v_lshlrev_b64 v[14:15], 2, v[20:21]
	v_add_co_u32_e32 v21, vcc, s14, v14
	v_addc_co_u32_e32 v22, vcc, v13, v15, vcc
	global_load_dwordx2 v[23:24], v[21:22], off
	global_load_dwordx4 v[14:17], v[18:19], off
	s_waitcnt vmcnt(0)
	v_fmac_f32_e32 v9, v14, v23
	v_fmac_f32_e32 v10, v15, v23
	v_lshlrev_b64 v[14:15], 2, v[4:5]
	v_add_u32_e32 v4, 2, v20
	v_fmac_f32_e32 v9, v16, v24
	v_fmac_f32_e32 v10, v17, v24
	v_add_co_u32_e32 v14, vcc, s12, v14
	v_lshlrev_b64 v[16:17], 2, v[4:5]
	v_addc_co_u32_e32 v15, vcc, v12, v15, vcc
	v_add_u32_e32 v4, -4, v3
	v_add_co_u32_e32 v16, vcc, s14, v16
	v_lshlrev_b64 v[18:19], 2, v[4:5]
	v_addc_co_u32_e32 v17, vcc, v13, v17, vcc
	v_add_co_u32_e32 v18, vcc, s12, v18
	v_addc_co_u32_e32 v19, vcc, v12, v19, vcc
	global_load_dwordx2 v[21:22], v[14:15], off
	global_load_dwordx2 v[23:24], v[16:17], off
	v_mov_b32_e32 v4, v5
	global_load_dwordx2 v[14:15], v[18:19], off
	s_waitcnt vmcnt(1)
	v_fmac_f32_e32 v9, v21, v23
	v_fmac_f32_e32 v10, v22, v23
	s_waitcnt vmcnt(0)
	v_fmac_f32_e32 v9, v14, v24
	v_fmac_f32_e32 v10, v15, v24
	v_lshlrev_b64 v[14:15], 2, v[3:4]
	v_add_u32_e32 v4, -2, v3
	v_add_co_u32_e32 v14, vcc, s12, v14
	v_lshlrev_b64 v[16:17], 2, v[4:5]
	v_addc_co_u32_e32 v15, vcc, v12, v15, vcc
	v_add_u32_e32 v4, 4, v20
	v_add_co_u32_e32 v16, vcc, s12, v16
	v_lshlrev_b64 v[18:19], 2, v[4:5]
	v_addc_co_u32_e32 v17, vcc, v12, v17, vcc
	v_add_co_u32_e32 v18, vcc, s14, v18
	v_addc_co_u32_e32 v19, vcc, v13, v19, vcc
	global_load_dwordx2 v[20:21], v[16:17], off
	global_load_dwordx2 v[22:23], v[18:19], off
	v_cmp_ge_i32_e32 vcc, v6, v8
	global_load_dwordx2 v[14:15], v[14:15], off
	s_or_b64 s[8:9], vcc, s[8:9]
	v_add_u32_e32 v3, 0xc0, v3
	s_waitcnt vmcnt(1)
	v_fmac_f32_e32 v9, v20, v22
	v_fmac_f32_e32 v10, v21, v22
	s_waitcnt vmcnt(0)
	v_fmac_f32_e32 v9, v14, v23
	v_fmac_f32_e32 v10, v15, v23
	s_andn2_b64 exec, exec, s[8:9]
	s_cbranch_execnz .LBB22_9
; %bb.10:
	s_or_b64 exec, exec, s[8:9]
.LBB22_11:
	s_or_b64 exec, exec, s[6:7]
	s_cbranch_execz .LBB22_13
	s_branch .LBB22_18
.LBB22_12:
                                        ; implicit-def: $vgpr9
                                        ; implicit-def: $vgpr10
.LBB22_13:
	v_mov_b32_e32 v9, 0
	v_mov_b32_e32 v10, 0
	s_and_saveexec_b64 s[6:7], s[0:1]
	s_cbranch_execz .LBB22_17
; %bb.14:
	v_mad_u64_u32 v[4:5], s[0:1], v2, 12, 11
	v_mov_b32_e32 v6, 0
	s_mov_b64 s[0:1], 0
	v_mov_b32_e32 v7, s11
	v_mov_b32_e32 v11, s13
	;; [unrolled: 1-line block ×5, first 2 shown]
.LBB22_15:                              ; =>This Inner Loop Header: Depth=1
	v_ashrrev_i32_e32 v3, 31, v2
	v_lshlrev_b64 v[15:16], 2, v[2:3]
	v_add_u32_e32 v5, -11, v4
	v_add_co_u32_e32 v15, vcc, s10, v15
	v_addc_co_u32_e32 v16, vcc, v7, v16, vcc
	global_load_dword v3, v[15:16], off
	v_lshlrev_b64 v[17:18], 2, v[5:6]
	v_add_u32_e32 v13, -5, v4
	v_mov_b32_e32 v14, v6
	v_lshlrev_b64 v[13:14], 2, v[13:14]
	v_add_co_u32_e32 v17, vcc, s12, v17
	v_add_u32_e32 v5, -4, v4
	v_addc_co_u32_e32 v18, vcc, v11, v18, vcc
	v_add_co_u32_e32 v13, vcc, s12, v13
	v_lshlrev_b64 v[19:20], 2, v[5:6]
	v_addc_co_u32_e32 v14, vcc, v11, v14, vcc
	v_mov_b32_e32 v22, v6
	v_add_co_u32_e32 v19, vcc, s12, v19
	v_addc_co_u32_e32 v20, vcc, v11, v20, vcc
	v_add_u32_e32 v2, 16, v2
	s_waitcnt vmcnt(0)
	v_subrev_u32_e32 v3, s18, v3
	v_mul_lo_u32 v21, v3, 6
	v_lshlrev_b64 v[15:16], 2, v[21:22]
	v_add_u32_e32 v5, 2, v21
	v_add_co_u32_e32 v15, vcc, s14, v15
	v_addc_co_u32_e32 v16, vcc, v12, v16, vcc
	v_lshlrev_b64 v[22:23], 2, v[5:6]
	global_load_dword v3, v[13:14], off
	global_load_dword v5, v[19:20], off
	global_load_dwordx2 v[24:25], v[15:16], off
	v_add_co_u32_e32 v22, vcc, s14, v22
	global_load_dwordx4 v[13:16], v[17:18], off
	v_addc_co_u32_e32 v23, vcc, v12, v23, vcc
	s_waitcnt vmcnt(1)
	v_fmac_f32_e32 v10, v3, v24
	v_fmac_f32_e32 v10, v5, v25
	v_mov_b32_e32 v5, v6
	s_waitcnt vmcnt(0)
	v_fmac_f32_e32 v9, v13, v24
	v_fmac_f32_e32 v9, v14, v25
	global_load_dwordx2 v[13:14], v[22:23], off
	s_waitcnt vmcnt(0)
	v_fmac_f32_e32 v9, v15, v13
	v_fmac_f32_e32 v9, v16, v14
	v_lshlrev_b64 v[15:16], 2, v[4:5]
	v_add_u32_e32 v5, -3, v4
	v_add_co_u32_e32 v15, vcc, s12, v15
	v_lshlrev_b64 v[17:18], 2, v[5:6]
	v_addc_co_u32_e32 v16, vcc, v11, v16, vcc
	v_add_u32_e32 v5, -2, v4
	v_add_co_u32_e32 v17, vcc, s12, v17
	v_lshlrev_b64 v[19:20], 2, v[5:6]
	v_addc_co_u32_e32 v18, vcc, v11, v18, vcc
	v_add_u32_e32 v5, -7, v4
	v_lshlrev_b64 v[22:23], 2, v[5:6]
	v_add_co_u32_e32 v19, vcc, s12, v19
	v_addc_co_u32_e32 v20, vcc, v11, v20, vcc
	v_add_u32_e32 v5, 4, v21
	v_add_co_u32_e32 v21, vcc, s12, v22
	v_addc_co_u32_e32 v22, vcc, v11, v23, vcc
	global_load_dword v3, v[17:18], off
	global_load_dword v25, v[19:20], off
	;; [unrolled: 1-line block ×3, first 2 shown]
	v_lshlrev_b64 v[23:24], 2, v[5:6]
	v_add_u32_e32 v5, -1, v4
	v_add_co_u32_e32 v23, vcc, s14, v23
	v_addc_co_u32_e32 v24, vcc, v12, v24, vcc
	s_waitcnt vmcnt(2)
	v_fmac_f32_e32 v10, v3, v13
	s_waitcnt vmcnt(1)
	v_fmac_f32_e32 v10, v25, v14
	v_lshlrev_b64 v[13:14], 2, v[5:6]
	v_add_u32_e32 v5, -6, v4
	v_add_co_u32_e32 v13, vcc, s12, v13
	v_lshlrev_b64 v[17:18], 2, v[5:6]
	v_addc_co_u32_e32 v14, vcc, v11, v14, vcc
	v_add_co_u32_e32 v17, vcc, s12, v17
	v_addc_co_u32_e32 v18, vcc, v11, v18, vcc
	global_load_dword v3, v[13:14], off
	global_load_dwordx2 v[19:20], v[23:24], off
	global_load_dword v5, v[17:18], off
	global_load_dword v21, v[15:16], off
	v_cmp_ge_i32_e32 vcc, v2, v8
	s_or_b64 s[0:1], vcc, s[0:1]
	v_add_u32_e32 v4, 0xc0, v4
	s_waitcnt vmcnt(2)
	v_fmac_f32_e32 v9, v26, v19
	v_fmac_f32_e32 v10, v3, v19
	s_waitcnt vmcnt(1)
	v_fmac_f32_e32 v9, v5, v20
	s_waitcnt vmcnt(0)
	v_fmac_f32_e32 v10, v21, v20
	s_andn2_b64 exec, exec, s[0:1]
	s_cbranch_execnz .LBB22_15
; %bb.16:
	s_or_b64 exec, exec, s[0:1]
.LBB22_17:
	s_or_b64 exec, exec, s[6:7]
.LBB22_18:
	v_mov_b32_dpp v2, v9 row_shr:1 row_mask:0xf bank_mask:0xf
	v_mov_b32_dpp v4, v10 row_shr:1 row_mask:0xf bank_mask:0xf
	v_add_f32_e32 v2, v9, v2
	v_add_f32_e32 v4, v10, v4
	v_cmp_eq_u32_e32 vcc, 15, v0
	v_mov_b32_dpp v3, v2 row_shr:2 row_mask:0xf bank_mask:0xf
	v_mov_b32_dpp v5, v4 row_shr:2 row_mask:0xf bank_mask:0xf
	v_add_f32_e32 v2, v2, v3
	v_add_f32_e32 v4, v4, v5
	s_nop 0
	v_mov_b32_dpp v3, v2 row_shr:4 row_mask:0xf bank_mask:0xe
	v_mov_b32_dpp v5, v4 row_shr:4 row_mask:0xf bank_mask:0xe
	v_add_f32_e32 v2, v2, v3
	v_add_f32_e32 v4, v4, v5
	s_nop 0
	v_mov_b32_dpp v3, v2 row_shr:8 row_mask:0xf bank_mask:0xc
	v_mov_b32_dpp v5, v4 row_shr:8 row_mask:0xf bank_mask:0xc
	s_and_b64 exec, exec, vcc
	s_cbranch_execz .LBB22_22
; %bb.19:
	s_load_dwordx2 s[0:1], s[4:5], 0x38
	v_add_f32_e32 v0, v2, v3
	v_add_f32_e32 v3, v4, v5
	v_cmp_eq_f32_e64 s[4:5], s2, 0
	s_and_b64 vcc, exec, s[4:5]
	v_mul_f32_e32 v2, s16, v0
	v_mul_f32_e32 v3, s16, v3
	v_lshlrev_b32_e32 v0, 1, v1
	s_cbranch_vccz .LBB22_23
; %bb.20:
	v_ashrrev_i32_e32 v1, 31, v0
	v_lshlrev_b64 v[4:5], 2, v[0:1]
	s_waitcnt lgkmcnt(0)
	v_mov_b32_e32 v1, s1
	v_add_co_u32_e32 v4, vcc, s0, v4
	v_addc_co_u32_e32 v5, vcc, v1, v5, vcc
	global_store_dwordx2 v[4:5], v[2:3], off
	s_cbranch_execnz .LBB22_22
.LBB22_21:
	v_ashrrev_i32_e32 v1, 31, v0
	v_lshlrev_b64 v[0:1], 2, v[0:1]
	s_waitcnt lgkmcnt(0)
	v_mov_b32_e32 v4, s1
	v_add_co_u32_e32 v0, vcc, s0, v0
	v_addc_co_u32_e32 v1, vcc, v4, v1, vcc
	global_load_dwordx2 v[4:5], v[0:1], off
	s_waitcnt vmcnt(0)
	v_fmac_f32_e32 v2, s2, v4
	v_fmac_f32_e32 v3, s2, v5
	global_store_dwordx2 v[0:1], v[2:3], off
.LBB22_22:
	s_endpgm
.LBB22_23:
	s_branch .LBB22_21
	.section	.rodata,"a",@progbits
	.p2align	6, 0x0
	.amdhsa_kernel _ZN9rocsparseL19gebsrmvn_2xn_kernelILj128ELj6ELj16EfEEvi20rocsparse_direction_NS_24const_host_device_scalarIT2_EEPKiS6_PKS3_S8_S4_PS3_21rocsparse_index_base_b
		.amdhsa_group_segment_fixed_size 0
		.amdhsa_private_segment_fixed_size 0
		.amdhsa_kernarg_size 72
		.amdhsa_user_sgpr_count 6
		.amdhsa_user_sgpr_private_segment_buffer 1
		.amdhsa_user_sgpr_dispatch_ptr 0
		.amdhsa_user_sgpr_queue_ptr 0
		.amdhsa_user_sgpr_kernarg_segment_ptr 1
		.amdhsa_user_sgpr_dispatch_id 0
		.amdhsa_user_sgpr_flat_scratch_init 0
		.amdhsa_user_sgpr_private_segment_size 0
		.amdhsa_uses_dynamic_stack 0
		.amdhsa_system_sgpr_private_segment_wavefront_offset 0
		.amdhsa_system_sgpr_workgroup_id_x 1
		.amdhsa_system_sgpr_workgroup_id_y 0
		.amdhsa_system_sgpr_workgroup_id_z 0
		.amdhsa_system_sgpr_workgroup_info 0
		.amdhsa_system_vgpr_workitem_id 0
		.amdhsa_next_free_vgpr 27
		.amdhsa_next_free_sgpr 20
		.amdhsa_reserve_vcc 1
		.amdhsa_reserve_flat_scratch 0
		.amdhsa_float_round_mode_32 0
		.amdhsa_float_round_mode_16_64 0
		.amdhsa_float_denorm_mode_32 3
		.amdhsa_float_denorm_mode_16_64 3
		.amdhsa_dx10_clamp 1
		.amdhsa_ieee_mode 1
		.amdhsa_fp16_overflow 0
		.amdhsa_exception_fp_ieee_invalid_op 0
		.amdhsa_exception_fp_denorm_src 0
		.amdhsa_exception_fp_ieee_div_zero 0
		.amdhsa_exception_fp_ieee_overflow 0
		.amdhsa_exception_fp_ieee_underflow 0
		.amdhsa_exception_fp_ieee_inexact 0
		.amdhsa_exception_int_div_zero 0
	.end_amdhsa_kernel
	.section	.text._ZN9rocsparseL19gebsrmvn_2xn_kernelILj128ELj6ELj16EfEEvi20rocsparse_direction_NS_24const_host_device_scalarIT2_EEPKiS6_PKS3_S8_S4_PS3_21rocsparse_index_base_b,"axG",@progbits,_ZN9rocsparseL19gebsrmvn_2xn_kernelILj128ELj6ELj16EfEEvi20rocsparse_direction_NS_24const_host_device_scalarIT2_EEPKiS6_PKS3_S8_S4_PS3_21rocsparse_index_base_b,comdat
.Lfunc_end22:
	.size	_ZN9rocsparseL19gebsrmvn_2xn_kernelILj128ELj6ELj16EfEEvi20rocsparse_direction_NS_24const_host_device_scalarIT2_EEPKiS6_PKS3_S8_S4_PS3_21rocsparse_index_base_b, .Lfunc_end22-_ZN9rocsparseL19gebsrmvn_2xn_kernelILj128ELj6ELj16EfEEvi20rocsparse_direction_NS_24const_host_device_scalarIT2_EEPKiS6_PKS3_S8_S4_PS3_21rocsparse_index_base_b
                                        ; -- End function
	.set _ZN9rocsparseL19gebsrmvn_2xn_kernelILj128ELj6ELj16EfEEvi20rocsparse_direction_NS_24const_host_device_scalarIT2_EEPKiS6_PKS3_S8_S4_PS3_21rocsparse_index_base_b.num_vgpr, 27
	.set _ZN9rocsparseL19gebsrmvn_2xn_kernelILj128ELj6ELj16EfEEvi20rocsparse_direction_NS_24const_host_device_scalarIT2_EEPKiS6_PKS3_S8_S4_PS3_21rocsparse_index_base_b.num_agpr, 0
	.set _ZN9rocsparseL19gebsrmvn_2xn_kernelILj128ELj6ELj16EfEEvi20rocsparse_direction_NS_24const_host_device_scalarIT2_EEPKiS6_PKS3_S8_S4_PS3_21rocsparse_index_base_b.numbered_sgpr, 20
	.set _ZN9rocsparseL19gebsrmvn_2xn_kernelILj128ELj6ELj16EfEEvi20rocsparse_direction_NS_24const_host_device_scalarIT2_EEPKiS6_PKS3_S8_S4_PS3_21rocsparse_index_base_b.num_named_barrier, 0
	.set _ZN9rocsparseL19gebsrmvn_2xn_kernelILj128ELj6ELj16EfEEvi20rocsparse_direction_NS_24const_host_device_scalarIT2_EEPKiS6_PKS3_S8_S4_PS3_21rocsparse_index_base_b.private_seg_size, 0
	.set _ZN9rocsparseL19gebsrmvn_2xn_kernelILj128ELj6ELj16EfEEvi20rocsparse_direction_NS_24const_host_device_scalarIT2_EEPKiS6_PKS3_S8_S4_PS3_21rocsparse_index_base_b.uses_vcc, 1
	.set _ZN9rocsparseL19gebsrmvn_2xn_kernelILj128ELj6ELj16EfEEvi20rocsparse_direction_NS_24const_host_device_scalarIT2_EEPKiS6_PKS3_S8_S4_PS3_21rocsparse_index_base_b.uses_flat_scratch, 0
	.set _ZN9rocsparseL19gebsrmvn_2xn_kernelILj128ELj6ELj16EfEEvi20rocsparse_direction_NS_24const_host_device_scalarIT2_EEPKiS6_PKS3_S8_S4_PS3_21rocsparse_index_base_b.has_dyn_sized_stack, 0
	.set _ZN9rocsparseL19gebsrmvn_2xn_kernelILj128ELj6ELj16EfEEvi20rocsparse_direction_NS_24const_host_device_scalarIT2_EEPKiS6_PKS3_S8_S4_PS3_21rocsparse_index_base_b.has_recursion, 0
	.set _ZN9rocsparseL19gebsrmvn_2xn_kernelILj128ELj6ELj16EfEEvi20rocsparse_direction_NS_24const_host_device_scalarIT2_EEPKiS6_PKS3_S8_S4_PS3_21rocsparse_index_base_b.has_indirect_call, 0
	.section	.AMDGPU.csdata,"",@progbits
; Kernel info:
; codeLenInByte = 1464
; TotalNumSgprs: 24
; NumVgprs: 27
; ScratchSize: 0
; MemoryBound: 0
; FloatMode: 240
; IeeeMode: 1
; LDSByteSize: 0 bytes/workgroup (compile time only)
; SGPRBlocks: 2
; VGPRBlocks: 6
; NumSGPRsForWavesPerEU: 24
; NumVGPRsForWavesPerEU: 27
; Occupancy: 9
; WaveLimiterHint : 1
; COMPUTE_PGM_RSRC2:SCRATCH_EN: 0
; COMPUTE_PGM_RSRC2:USER_SGPR: 6
; COMPUTE_PGM_RSRC2:TRAP_HANDLER: 0
; COMPUTE_PGM_RSRC2:TGID_X_EN: 1
; COMPUTE_PGM_RSRC2:TGID_Y_EN: 0
; COMPUTE_PGM_RSRC2:TGID_Z_EN: 0
; COMPUTE_PGM_RSRC2:TIDIG_COMP_CNT: 0
	.section	.text._ZN9rocsparseL19gebsrmvn_2xn_kernelILj128ELj6ELj32EfEEvi20rocsparse_direction_NS_24const_host_device_scalarIT2_EEPKiS6_PKS3_S8_S4_PS3_21rocsparse_index_base_b,"axG",@progbits,_ZN9rocsparseL19gebsrmvn_2xn_kernelILj128ELj6ELj32EfEEvi20rocsparse_direction_NS_24const_host_device_scalarIT2_EEPKiS6_PKS3_S8_S4_PS3_21rocsparse_index_base_b,comdat
	.globl	_ZN9rocsparseL19gebsrmvn_2xn_kernelILj128ELj6ELj32EfEEvi20rocsparse_direction_NS_24const_host_device_scalarIT2_EEPKiS6_PKS3_S8_S4_PS3_21rocsparse_index_base_b ; -- Begin function _ZN9rocsparseL19gebsrmvn_2xn_kernelILj128ELj6ELj32EfEEvi20rocsparse_direction_NS_24const_host_device_scalarIT2_EEPKiS6_PKS3_S8_S4_PS3_21rocsparse_index_base_b
	.p2align	8
	.type	_ZN9rocsparseL19gebsrmvn_2xn_kernelILj128ELj6ELj32EfEEvi20rocsparse_direction_NS_24const_host_device_scalarIT2_EEPKiS6_PKS3_S8_S4_PS3_21rocsparse_index_base_b,@function
_ZN9rocsparseL19gebsrmvn_2xn_kernelILj128ELj6ELj32EfEEvi20rocsparse_direction_NS_24const_host_device_scalarIT2_EEPKiS6_PKS3_S8_S4_PS3_21rocsparse_index_base_b: ; @_ZN9rocsparseL19gebsrmvn_2xn_kernelILj128ELj6ELj32EfEEvi20rocsparse_direction_NS_24const_host_device_scalarIT2_EEPKiS6_PKS3_S8_S4_PS3_21rocsparse_index_base_b
; %bb.0:
	s_load_dwordx2 s[18:19], s[4:5], 0x40
	s_load_dwordx2 s[16:17], s[4:5], 0x8
	;; [unrolled: 1-line block ×3, first 2 shown]
	s_waitcnt lgkmcnt(0)
	s_bitcmp1_b32 s19, 0
	s_cselect_b64 s[8:9], -1, 0
	s_xor_b64 s[0:1], s[8:9], -1
	s_and_b64 vcc, exec, s[8:9]
	s_cbranch_vccnz .LBB23_2
; %bb.1:
	s_load_dword s16, s[16:17], 0x0
.LBB23_2:
	s_andn2_b64 vcc, exec, s[0:1]
	s_cbranch_vccnz .LBB23_4
; %bb.3:
	s_load_dword s2, s[2:3], 0x0
.LBB23_4:
	s_waitcnt lgkmcnt(0)
	v_cmp_eq_f32_e64 s[0:1], s16, 0
	v_cmp_eq_f32_e64 s[8:9], s2, 1.0
	s_and_b64 s[0:1], s[0:1], s[8:9]
	s_and_b64 vcc, exec, s[0:1]
	s_cbranch_vccnz .LBB23_22
; %bb.5:
	s_load_dwordx2 s[0:1], s[4:5], 0x0
	v_lshrrev_b32_e32 v1, 5, v0
	v_lshl_or_b32 v1, s6, 2, v1
	s_waitcnt lgkmcnt(0)
	v_cmp_gt_i32_e32 vcc, s0, v1
	s_and_saveexec_b64 s[6:7], vcc
	s_cbranch_execz .LBB23_22
; %bb.6:
	s_load_dwordx8 s[8:15], s[4:5], 0x10
	v_ashrrev_i32_e32 v2, 31, v1
	v_lshlrev_b64 v[2:3], 2, v[1:2]
	v_and_b32_e32 v0, 31, v0
	s_cmp_lg_u32 s1, 0
	s_waitcnt lgkmcnt(0)
	v_mov_b32_e32 v4, s9
	v_add_co_u32_e32 v2, vcc, s8, v2
	v_addc_co_u32_e32 v3, vcc, v4, v3, vcc
	global_load_dwordx2 v[2:3], v[2:3], off
	s_waitcnt vmcnt(0)
	v_subrev_u32_e32 v2, s18, v2
	v_subrev_u32_e32 v8, s18, v3
	v_add_u32_e32 v2, v2, v0
	v_cmp_lt_i32_e64 s[0:1], v2, v8
	s_cbranch_scc0 .LBB23_12
; %bb.7:
	v_mov_b32_e32 v10, 0
	v_mov_b32_e32 v9, 0
	s_and_saveexec_b64 s[6:7], s[0:1]
	s_cbranch_execz .LBB23_11
; %bb.8:
	v_mad_u64_u32 v[3:4], s[8:9], v2, 12, 10
	v_mov_b32_e32 v5, 0
	s_mov_b64 s[8:9], 0
	v_mov_b32_e32 v11, s11
	v_mov_b32_e32 v12, s13
	;; [unrolled: 1-line block ×6, first 2 shown]
.LBB23_9:                               ; =>This Inner Loop Header: Depth=1
	v_ashrrev_i32_e32 v7, 31, v6
	v_lshlrev_b64 v[14:15], 2, v[6:7]
	v_add_u32_e32 v4, -10, v3
	v_add_co_u32_e32 v14, vcc, s10, v14
	v_addc_co_u32_e32 v15, vcc, v11, v15, vcc
	v_lshlrev_b64 v[16:17], 2, v[4:5]
	global_load_dword v4, v[14:15], off
	v_mov_b32_e32 v21, v5
	v_add_co_u32_e32 v18, vcc, s12, v16
	v_addc_co_u32_e32 v19, vcc, v12, v17, vcc
	v_add_u32_e32 v6, 32, v6
	s_waitcnt vmcnt(0)
	v_subrev_u32_e32 v4, s18, v4
	v_mul_lo_u32 v20, v4, 6
	v_add_u32_e32 v4, -6, v3
	v_lshlrev_b64 v[14:15], 2, v[20:21]
	v_add_co_u32_e32 v21, vcc, s14, v14
	v_addc_co_u32_e32 v22, vcc, v13, v15, vcc
	global_load_dwordx2 v[23:24], v[21:22], off
	global_load_dwordx4 v[14:17], v[18:19], off
	s_waitcnt vmcnt(0)
	v_fmac_f32_e32 v10, v14, v23
	v_fmac_f32_e32 v9, v15, v23
	v_lshlrev_b64 v[14:15], 2, v[4:5]
	v_add_u32_e32 v4, 2, v20
	v_fmac_f32_e32 v10, v16, v24
	v_fmac_f32_e32 v9, v17, v24
	v_add_co_u32_e32 v14, vcc, s12, v14
	v_lshlrev_b64 v[16:17], 2, v[4:5]
	v_addc_co_u32_e32 v15, vcc, v12, v15, vcc
	v_add_u32_e32 v4, -4, v3
	v_add_co_u32_e32 v16, vcc, s14, v16
	v_lshlrev_b64 v[18:19], 2, v[4:5]
	v_addc_co_u32_e32 v17, vcc, v13, v17, vcc
	v_add_co_u32_e32 v18, vcc, s12, v18
	v_addc_co_u32_e32 v19, vcc, v12, v19, vcc
	global_load_dwordx2 v[21:22], v[14:15], off
	global_load_dwordx2 v[23:24], v[16:17], off
	v_mov_b32_e32 v4, v5
	global_load_dwordx2 v[14:15], v[18:19], off
	s_waitcnt vmcnt(1)
	v_fmac_f32_e32 v10, v21, v23
	v_fmac_f32_e32 v9, v22, v23
	s_waitcnt vmcnt(0)
	v_fmac_f32_e32 v10, v14, v24
	v_fmac_f32_e32 v9, v15, v24
	v_lshlrev_b64 v[14:15], 2, v[3:4]
	v_add_u32_e32 v4, -2, v3
	v_add_co_u32_e32 v14, vcc, s12, v14
	v_lshlrev_b64 v[16:17], 2, v[4:5]
	v_addc_co_u32_e32 v15, vcc, v12, v15, vcc
	v_add_u32_e32 v4, 4, v20
	v_add_co_u32_e32 v16, vcc, s12, v16
	v_lshlrev_b64 v[18:19], 2, v[4:5]
	v_addc_co_u32_e32 v17, vcc, v12, v17, vcc
	v_add_co_u32_e32 v18, vcc, s14, v18
	v_addc_co_u32_e32 v19, vcc, v13, v19, vcc
	global_load_dwordx2 v[20:21], v[16:17], off
	global_load_dwordx2 v[22:23], v[18:19], off
	v_cmp_ge_i32_e32 vcc, v6, v8
	global_load_dwordx2 v[14:15], v[14:15], off
	s_or_b64 s[8:9], vcc, s[8:9]
	v_add_u32_e32 v3, 0x180, v3
	s_waitcnt vmcnt(1)
	v_fmac_f32_e32 v10, v20, v22
	v_fmac_f32_e32 v9, v21, v22
	s_waitcnt vmcnt(0)
	v_fmac_f32_e32 v10, v14, v23
	v_fmac_f32_e32 v9, v15, v23
	s_andn2_b64 exec, exec, s[8:9]
	s_cbranch_execnz .LBB23_9
; %bb.10:
	s_or_b64 exec, exec, s[8:9]
.LBB23_11:
	s_or_b64 exec, exec, s[6:7]
	s_cbranch_execz .LBB23_13
	s_branch .LBB23_18
.LBB23_12:
                                        ; implicit-def: $vgpr10
                                        ; implicit-def: $vgpr9
.LBB23_13:
	v_mov_b32_e32 v10, 0
	v_mov_b32_e32 v9, 0
	s_and_saveexec_b64 s[6:7], s[0:1]
	s_cbranch_execz .LBB23_17
; %bb.14:
	v_mad_u64_u32 v[4:5], s[0:1], v2, 12, 11
	v_mov_b32_e32 v6, 0
	s_mov_b64 s[0:1], 0
	v_mov_b32_e32 v7, s11
	v_mov_b32_e32 v11, s13
	;; [unrolled: 1-line block ×5, first 2 shown]
.LBB23_15:                              ; =>This Inner Loop Header: Depth=1
	v_ashrrev_i32_e32 v3, 31, v2
	v_lshlrev_b64 v[15:16], 2, v[2:3]
	v_add_u32_e32 v5, -11, v4
	v_add_co_u32_e32 v15, vcc, s10, v15
	v_addc_co_u32_e32 v16, vcc, v7, v16, vcc
	global_load_dword v3, v[15:16], off
	v_lshlrev_b64 v[17:18], 2, v[5:6]
	v_add_u32_e32 v13, -5, v4
	v_mov_b32_e32 v14, v6
	v_lshlrev_b64 v[13:14], 2, v[13:14]
	v_add_co_u32_e32 v17, vcc, s12, v17
	v_add_u32_e32 v5, -4, v4
	v_addc_co_u32_e32 v18, vcc, v11, v18, vcc
	v_add_co_u32_e32 v13, vcc, s12, v13
	v_lshlrev_b64 v[19:20], 2, v[5:6]
	v_addc_co_u32_e32 v14, vcc, v11, v14, vcc
	v_mov_b32_e32 v22, v6
	v_add_co_u32_e32 v19, vcc, s12, v19
	v_addc_co_u32_e32 v20, vcc, v11, v20, vcc
	v_add_u32_e32 v2, 32, v2
	s_waitcnt vmcnt(0)
	v_subrev_u32_e32 v3, s18, v3
	v_mul_lo_u32 v21, v3, 6
	v_lshlrev_b64 v[15:16], 2, v[21:22]
	v_add_u32_e32 v5, 2, v21
	v_add_co_u32_e32 v15, vcc, s14, v15
	v_addc_co_u32_e32 v16, vcc, v12, v16, vcc
	v_lshlrev_b64 v[22:23], 2, v[5:6]
	global_load_dword v3, v[13:14], off
	global_load_dword v5, v[19:20], off
	global_load_dwordx2 v[24:25], v[15:16], off
	v_add_co_u32_e32 v22, vcc, s14, v22
	global_load_dwordx4 v[13:16], v[17:18], off
	v_addc_co_u32_e32 v23, vcc, v12, v23, vcc
	s_waitcnt vmcnt(1)
	v_fmac_f32_e32 v9, v3, v24
	v_fmac_f32_e32 v9, v5, v25
	v_mov_b32_e32 v5, v6
	s_waitcnt vmcnt(0)
	v_fmac_f32_e32 v10, v13, v24
	v_fmac_f32_e32 v10, v14, v25
	global_load_dwordx2 v[13:14], v[22:23], off
	s_waitcnt vmcnt(0)
	v_fmac_f32_e32 v10, v15, v13
	v_fmac_f32_e32 v10, v16, v14
	v_lshlrev_b64 v[15:16], 2, v[4:5]
	v_add_u32_e32 v5, -3, v4
	v_add_co_u32_e32 v15, vcc, s12, v15
	v_lshlrev_b64 v[17:18], 2, v[5:6]
	v_addc_co_u32_e32 v16, vcc, v11, v16, vcc
	v_add_u32_e32 v5, -2, v4
	v_add_co_u32_e32 v17, vcc, s12, v17
	v_lshlrev_b64 v[19:20], 2, v[5:6]
	v_addc_co_u32_e32 v18, vcc, v11, v18, vcc
	v_add_u32_e32 v5, -7, v4
	v_lshlrev_b64 v[22:23], 2, v[5:6]
	v_add_co_u32_e32 v19, vcc, s12, v19
	v_addc_co_u32_e32 v20, vcc, v11, v20, vcc
	v_add_u32_e32 v5, 4, v21
	v_add_co_u32_e32 v21, vcc, s12, v22
	v_addc_co_u32_e32 v22, vcc, v11, v23, vcc
	global_load_dword v3, v[17:18], off
	global_load_dword v25, v[19:20], off
	;; [unrolled: 1-line block ×3, first 2 shown]
	v_lshlrev_b64 v[23:24], 2, v[5:6]
	v_add_u32_e32 v5, -1, v4
	v_add_co_u32_e32 v23, vcc, s14, v23
	v_addc_co_u32_e32 v24, vcc, v12, v24, vcc
	s_waitcnt vmcnt(2)
	v_fmac_f32_e32 v9, v3, v13
	s_waitcnt vmcnt(1)
	v_fmac_f32_e32 v9, v25, v14
	v_lshlrev_b64 v[13:14], 2, v[5:6]
	v_add_u32_e32 v5, -6, v4
	v_add_co_u32_e32 v13, vcc, s12, v13
	v_lshlrev_b64 v[17:18], 2, v[5:6]
	v_addc_co_u32_e32 v14, vcc, v11, v14, vcc
	v_add_co_u32_e32 v17, vcc, s12, v17
	v_addc_co_u32_e32 v18, vcc, v11, v18, vcc
	global_load_dword v3, v[13:14], off
	global_load_dwordx2 v[19:20], v[23:24], off
	global_load_dword v5, v[17:18], off
	global_load_dword v21, v[15:16], off
	v_cmp_ge_i32_e32 vcc, v2, v8
	s_or_b64 s[0:1], vcc, s[0:1]
	v_add_u32_e32 v4, 0x180, v4
	s_waitcnt vmcnt(2)
	v_fmac_f32_e32 v10, v26, v19
	v_fmac_f32_e32 v9, v3, v19
	s_waitcnt vmcnt(1)
	v_fmac_f32_e32 v10, v5, v20
	s_waitcnt vmcnt(0)
	v_fmac_f32_e32 v9, v21, v20
	s_andn2_b64 exec, exec, s[0:1]
	s_cbranch_execnz .LBB23_15
; %bb.16:
	s_or_b64 exec, exec, s[0:1]
.LBB23_17:
	s_or_b64 exec, exec, s[6:7]
.LBB23_18:
	v_mov_b32_dpp v2, v10 row_shr:1 row_mask:0xf bank_mask:0xf
	v_mov_b32_dpp v4, v9 row_shr:1 row_mask:0xf bank_mask:0xf
	v_add_f32_e32 v2, v10, v2
	v_add_f32_e32 v4, v9, v4
	v_cmp_eq_u32_e32 vcc, 31, v0
	v_mov_b32_dpp v3, v2 row_shr:2 row_mask:0xf bank_mask:0xf
	v_mov_b32_dpp v5, v4 row_shr:2 row_mask:0xf bank_mask:0xf
	v_add_f32_e32 v2, v2, v3
	v_add_f32_e32 v4, v4, v5
	s_nop 0
	v_mov_b32_dpp v3, v2 row_shr:4 row_mask:0xf bank_mask:0xe
	v_mov_b32_dpp v5, v4 row_shr:4 row_mask:0xf bank_mask:0xe
	v_add_f32_e32 v2, v2, v3
	v_add_f32_e32 v4, v4, v5
	s_nop 0
	;; [unrolled: 5-line block ×3, first 2 shown]
	v_mov_b32_dpp v3, v2 row_bcast:15 row_mask:0xa bank_mask:0xf
	v_mov_b32_dpp v5, v4 row_bcast:15 row_mask:0xa bank_mask:0xf
	s_and_b64 exec, exec, vcc
	s_cbranch_execz .LBB23_22
; %bb.19:
	s_load_dwordx2 s[0:1], s[4:5], 0x38
	v_add_f32_e32 v0, v2, v3
	v_add_f32_e32 v3, v4, v5
	v_cmp_eq_f32_e64 s[4:5], s2, 0
	s_and_b64 vcc, exec, s[4:5]
	v_mul_f32_e32 v2, s16, v0
	v_mul_f32_e32 v3, s16, v3
	v_lshlrev_b32_e32 v0, 1, v1
	s_cbranch_vccz .LBB23_23
; %bb.20:
	v_ashrrev_i32_e32 v1, 31, v0
	v_lshlrev_b64 v[4:5], 2, v[0:1]
	s_waitcnt lgkmcnt(0)
	v_mov_b32_e32 v1, s1
	v_add_co_u32_e32 v4, vcc, s0, v4
	v_addc_co_u32_e32 v5, vcc, v1, v5, vcc
	global_store_dwordx2 v[4:5], v[2:3], off
	s_cbranch_execnz .LBB23_22
.LBB23_21:
	v_ashrrev_i32_e32 v1, 31, v0
	v_lshlrev_b64 v[0:1], 2, v[0:1]
	s_waitcnt lgkmcnt(0)
	v_mov_b32_e32 v4, s1
	v_add_co_u32_e32 v0, vcc, s0, v0
	v_addc_co_u32_e32 v1, vcc, v4, v1, vcc
	global_load_dwordx2 v[4:5], v[0:1], off
	s_waitcnt vmcnt(0)
	v_fmac_f32_e32 v2, s2, v4
	v_fmac_f32_e32 v3, s2, v5
	global_store_dwordx2 v[0:1], v[2:3], off
.LBB23_22:
	s_endpgm
.LBB23_23:
	s_branch .LBB23_21
	.section	.rodata,"a",@progbits
	.p2align	6, 0x0
	.amdhsa_kernel _ZN9rocsparseL19gebsrmvn_2xn_kernelILj128ELj6ELj32EfEEvi20rocsparse_direction_NS_24const_host_device_scalarIT2_EEPKiS6_PKS3_S8_S4_PS3_21rocsparse_index_base_b
		.amdhsa_group_segment_fixed_size 0
		.amdhsa_private_segment_fixed_size 0
		.amdhsa_kernarg_size 72
		.amdhsa_user_sgpr_count 6
		.amdhsa_user_sgpr_private_segment_buffer 1
		.amdhsa_user_sgpr_dispatch_ptr 0
		.amdhsa_user_sgpr_queue_ptr 0
		.amdhsa_user_sgpr_kernarg_segment_ptr 1
		.amdhsa_user_sgpr_dispatch_id 0
		.amdhsa_user_sgpr_flat_scratch_init 0
		.amdhsa_user_sgpr_private_segment_size 0
		.amdhsa_uses_dynamic_stack 0
		.amdhsa_system_sgpr_private_segment_wavefront_offset 0
		.amdhsa_system_sgpr_workgroup_id_x 1
		.amdhsa_system_sgpr_workgroup_id_y 0
		.amdhsa_system_sgpr_workgroup_id_z 0
		.amdhsa_system_sgpr_workgroup_info 0
		.amdhsa_system_vgpr_workitem_id 0
		.amdhsa_next_free_vgpr 27
		.amdhsa_next_free_sgpr 20
		.amdhsa_reserve_vcc 1
		.amdhsa_reserve_flat_scratch 0
		.amdhsa_float_round_mode_32 0
		.amdhsa_float_round_mode_16_64 0
		.amdhsa_float_denorm_mode_32 3
		.amdhsa_float_denorm_mode_16_64 3
		.amdhsa_dx10_clamp 1
		.amdhsa_ieee_mode 1
		.amdhsa_fp16_overflow 0
		.amdhsa_exception_fp_ieee_invalid_op 0
		.amdhsa_exception_fp_denorm_src 0
		.amdhsa_exception_fp_ieee_div_zero 0
		.amdhsa_exception_fp_ieee_overflow 0
		.amdhsa_exception_fp_ieee_underflow 0
		.amdhsa_exception_fp_ieee_inexact 0
		.amdhsa_exception_int_div_zero 0
	.end_amdhsa_kernel
	.section	.text._ZN9rocsparseL19gebsrmvn_2xn_kernelILj128ELj6ELj32EfEEvi20rocsparse_direction_NS_24const_host_device_scalarIT2_EEPKiS6_PKS3_S8_S4_PS3_21rocsparse_index_base_b,"axG",@progbits,_ZN9rocsparseL19gebsrmvn_2xn_kernelILj128ELj6ELj32EfEEvi20rocsparse_direction_NS_24const_host_device_scalarIT2_EEPKiS6_PKS3_S8_S4_PS3_21rocsparse_index_base_b,comdat
.Lfunc_end23:
	.size	_ZN9rocsparseL19gebsrmvn_2xn_kernelILj128ELj6ELj32EfEEvi20rocsparse_direction_NS_24const_host_device_scalarIT2_EEPKiS6_PKS3_S8_S4_PS3_21rocsparse_index_base_b, .Lfunc_end23-_ZN9rocsparseL19gebsrmvn_2xn_kernelILj128ELj6ELj32EfEEvi20rocsparse_direction_NS_24const_host_device_scalarIT2_EEPKiS6_PKS3_S8_S4_PS3_21rocsparse_index_base_b
                                        ; -- End function
	.set _ZN9rocsparseL19gebsrmvn_2xn_kernelILj128ELj6ELj32EfEEvi20rocsparse_direction_NS_24const_host_device_scalarIT2_EEPKiS6_PKS3_S8_S4_PS3_21rocsparse_index_base_b.num_vgpr, 27
	.set _ZN9rocsparseL19gebsrmvn_2xn_kernelILj128ELj6ELj32EfEEvi20rocsparse_direction_NS_24const_host_device_scalarIT2_EEPKiS6_PKS3_S8_S4_PS3_21rocsparse_index_base_b.num_agpr, 0
	.set _ZN9rocsparseL19gebsrmvn_2xn_kernelILj128ELj6ELj32EfEEvi20rocsparse_direction_NS_24const_host_device_scalarIT2_EEPKiS6_PKS3_S8_S4_PS3_21rocsparse_index_base_b.numbered_sgpr, 20
	.set _ZN9rocsparseL19gebsrmvn_2xn_kernelILj128ELj6ELj32EfEEvi20rocsparse_direction_NS_24const_host_device_scalarIT2_EEPKiS6_PKS3_S8_S4_PS3_21rocsparse_index_base_b.num_named_barrier, 0
	.set _ZN9rocsparseL19gebsrmvn_2xn_kernelILj128ELj6ELj32EfEEvi20rocsparse_direction_NS_24const_host_device_scalarIT2_EEPKiS6_PKS3_S8_S4_PS3_21rocsparse_index_base_b.private_seg_size, 0
	.set _ZN9rocsparseL19gebsrmvn_2xn_kernelILj128ELj6ELj32EfEEvi20rocsparse_direction_NS_24const_host_device_scalarIT2_EEPKiS6_PKS3_S8_S4_PS3_21rocsparse_index_base_b.uses_vcc, 1
	.set _ZN9rocsparseL19gebsrmvn_2xn_kernelILj128ELj6ELj32EfEEvi20rocsparse_direction_NS_24const_host_device_scalarIT2_EEPKiS6_PKS3_S8_S4_PS3_21rocsparse_index_base_b.uses_flat_scratch, 0
	.set _ZN9rocsparseL19gebsrmvn_2xn_kernelILj128ELj6ELj32EfEEvi20rocsparse_direction_NS_24const_host_device_scalarIT2_EEPKiS6_PKS3_S8_S4_PS3_21rocsparse_index_base_b.has_dyn_sized_stack, 0
	.set _ZN9rocsparseL19gebsrmvn_2xn_kernelILj128ELj6ELj32EfEEvi20rocsparse_direction_NS_24const_host_device_scalarIT2_EEPKiS6_PKS3_S8_S4_PS3_21rocsparse_index_base_b.has_recursion, 0
	.set _ZN9rocsparseL19gebsrmvn_2xn_kernelILj128ELj6ELj32EfEEvi20rocsparse_direction_NS_24const_host_device_scalarIT2_EEPKiS6_PKS3_S8_S4_PS3_21rocsparse_index_base_b.has_indirect_call, 0
	.section	.AMDGPU.csdata,"",@progbits
; Kernel info:
; codeLenInByte = 1492
; TotalNumSgprs: 24
; NumVgprs: 27
; ScratchSize: 0
; MemoryBound: 0
; FloatMode: 240
; IeeeMode: 1
; LDSByteSize: 0 bytes/workgroup (compile time only)
; SGPRBlocks: 2
; VGPRBlocks: 6
; NumSGPRsForWavesPerEU: 24
; NumVGPRsForWavesPerEU: 27
; Occupancy: 9
; WaveLimiterHint : 1
; COMPUTE_PGM_RSRC2:SCRATCH_EN: 0
; COMPUTE_PGM_RSRC2:USER_SGPR: 6
; COMPUTE_PGM_RSRC2:TRAP_HANDLER: 0
; COMPUTE_PGM_RSRC2:TGID_X_EN: 1
; COMPUTE_PGM_RSRC2:TGID_Y_EN: 0
; COMPUTE_PGM_RSRC2:TGID_Z_EN: 0
; COMPUTE_PGM_RSRC2:TIDIG_COMP_CNT: 0
	.section	.text._ZN9rocsparseL19gebsrmvn_2xn_kernelILj128ELj6ELj64EfEEvi20rocsparse_direction_NS_24const_host_device_scalarIT2_EEPKiS6_PKS3_S8_S4_PS3_21rocsparse_index_base_b,"axG",@progbits,_ZN9rocsparseL19gebsrmvn_2xn_kernelILj128ELj6ELj64EfEEvi20rocsparse_direction_NS_24const_host_device_scalarIT2_EEPKiS6_PKS3_S8_S4_PS3_21rocsparse_index_base_b,comdat
	.globl	_ZN9rocsparseL19gebsrmvn_2xn_kernelILj128ELj6ELj64EfEEvi20rocsparse_direction_NS_24const_host_device_scalarIT2_EEPKiS6_PKS3_S8_S4_PS3_21rocsparse_index_base_b ; -- Begin function _ZN9rocsparseL19gebsrmvn_2xn_kernelILj128ELj6ELj64EfEEvi20rocsparse_direction_NS_24const_host_device_scalarIT2_EEPKiS6_PKS3_S8_S4_PS3_21rocsparse_index_base_b
	.p2align	8
	.type	_ZN9rocsparseL19gebsrmvn_2xn_kernelILj128ELj6ELj64EfEEvi20rocsparse_direction_NS_24const_host_device_scalarIT2_EEPKiS6_PKS3_S8_S4_PS3_21rocsparse_index_base_b,@function
_ZN9rocsparseL19gebsrmvn_2xn_kernelILj128ELj6ELj64EfEEvi20rocsparse_direction_NS_24const_host_device_scalarIT2_EEPKiS6_PKS3_S8_S4_PS3_21rocsparse_index_base_b: ; @_ZN9rocsparseL19gebsrmvn_2xn_kernelILj128ELj6ELj64EfEEvi20rocsparse_direction_NS_24const_host_device_scalarIT2_EEPKiS6_PKS3_S8_S4_PS3_21rocsparse_index_base_b
; %bb.0:
	s_load_dwordx2 s[18:19], s[4:5], 0x40
	s_load_dwordx2 s[16:17], s[4:5], 0x8
	;; [unrolled: 1-line block ×3, first 2 shown]
	s_waitcnt lgkmcnt(0)
	s_bitcmp1_b32 s19, 0
	s_cselect_b64 s[8:9], -1, 0
	s_xor_b64 s[0:1], s[8:9], -1
	s_and_b64 vcc, exec, s[8:9]
	s_cbranch_vccnz .LBB24_2
; %bb.1:
	s_load_dword s16, s[16:17], 0x0
.LBB24_2:
	s_andn2_b64 vcc, exec, s[0:1]
	s_cbranch_vccnz .LBB24_4
; %bb.3:
	s_load_dword s2, s[2:3], 0x0
.LBB24_4:
	s_waitcnt lgkmcnt(0)
	v_cmp_eq_f32_e64 s[0:1], s16, 0
	v_cmp_eq_f32_e64 s[8:9], s2, 1.0
	s_and_b64 s[0:1], s[0:1], s[8:9]
	s_and_b64 vcc, exec, s[0:1]
	s_cbranch_vccnz .LBB24_22
; %bb.5:
	s_load_dwordx2 s[0:1], s[4:5], 0x0
	v_lshrrev_b32_e32 v1, 6, v0
	v_lshl_or_b32 v1, s6, 1, v1
	s_waitcnt lgkmcnt(0)
	v_cmp_gt_i32_e32 vcc, s0, v1
	s_and_saveexec_b64 s[6:7], vcc
	s_cbranch_execz .LBB24_22
; %bb.6:
	s_load_dwordx8 s[8:15], s[4:5], 0x10
	v_ashrrev_i32_e32 v2, 31, v1
	v_lshlrev_b64 v[2:3], 2, v[1:2]
	v_and_b32_e32 v0, 63, v0
	s_cmp_lg_u32 s1, 0
	s_waitcnt lgkmcnt(0)
	v_mov_b32_e32 v4, s9
	v_add_co_u32_e32 v2, vcc, s8, v2
	v_addc_co_u32_e32 v3, vcc, v4, v3, vcc
	global_load_dwordx2 v[2:3], v[2:3], off
	s_waitcnt vmcnt(0)
	v_subrev_u32_e32 v2, s18, v2
	v_subrev_u32_e32 v8, s18, v3
	v_add_u32_e32 v2, v2, v0
	v_cmp_lt_i32_e64 s[0:1], v2, v8
	s_cbranch_scc0 .LBB24_12
; %bb.7:
	v_mov_b32_e32 v10, 0
	v_mov_b32_e32 v9, 0
	s_and_saveexec_b64 s[6:7], s[0:1]
	s_cbranch_execz .LBB24_11
; %bb.8:
	v_mad_u64_u32 v[3:4], s[8:9], v2, 12, 10
	v_mov_b32_e32 v5, 0
	s_mov_b64 s[8:9], 0
	v_mov_b32_e32 v11, s11
	v_mov_b32_e32 v12, s13
	;; [unrolled: 1-line block ×6, first 2 shown]
.LBB24_9:                               ; =>This Inner Loop Header: Depth=1
	v_ashrrev_i32_e32 v7, 31, v6
	v_lshlrev_b64 v[14:15], 2, v[6:7]
	v_add_u32_e32 v4, -10, v3
	v_add_co_u32_e32 v14, vcc, s10, v14
	v_addc_co_u32_e32 v15, vcc, v11, v15, vcc
	v_lshlrev_b64 v[16:17], 2, v[4:5]
	global_load_dword v4, v[14:15], off
	v_mov_b32_e32 v21, v5
	v_add_co_u32_e32 v18, vcc, s12, v16
	v_addc_co_u32_e32 v19, vcc, v12, v17, vcc
	v_add_u32_e32 v6, 64, v6
	s_waitcnt vmcnt(0)
	v_subrev_u32_e32 v4, s18, v4
	v_mul_lo_u32 v20, v4, 6
	v_add_u32_e32 v4, -6, v3
	v_lshlrev_b64 v[14:15], 2, v[20:21]
	v_add_co_u32_e32 v21, vcc, s14, v14
	v_addc_co_u32_e32 v22, vcc, v13, v15, vcc
	global_load_dwordx2 v[23:24], v[21:22], off
	global_load_dwordx4 v[14:17], v[18:19], off
	s_waitcnt vmcnt(0)
	v_fmac_f32_e32 v10, v14, v23
	v_fmac_f32_e32 v9, v15, v23
	v_lshlrev_b64 v[14:15], 2, v[4:5]
	v_add_u32_e32 v4, 2, v20
	v_fmac_f32_e32 v10, v16, v24
	v_fmac_f32_e32 v9, v17, v24
	v_add_co_u32_e32 v14, vcc, s12, v14
	v_lshlrev_b64 v[16:17], 2, v[4:5]
	v_addc_co_u32_e32 v15, vcc, v12, v15, vcc
	v_add_u32_e32 v4, -4, v3
	v_add_co_u32_e32 v16, vcc, s14, v16
	v_lshlrev_b64 v[18:19], 2, v[4:5]
	v_addc_co_u32_e32 v17, vcc, v13, v17, vcc
	v_add_co_u32_e32 v18, vcc, s12, v18
	v_addc_co_u32_e32 v19, vcc, v12, v19, vcc
	global_load_dwordx2 v[21:22], v[14:15], off
	global_load_dwordx2 v[23:24], v[16:17], off
	v_mov_b32_e32 v4, v5
	global_load_dwordx2 v[14:15], v[18:19], off
	s_waitcnt vmcnt(1)
	v_fmac_f32_e32 v10, v21, v23
	v_fmac_f32_e32 v9, v22, v23
	s_waitcnt vmcnt(0)
	v_fmac_f32_e32 v10, v14, v24
	v_fmac_f32_e32 v9, v15, v24
	v_lshlrev_b64 v[14:15], 2, v[3:4]
	v_add_u32_e32 v4, -2, v3
	v_add_co_u32_e32 v14, vcc, s12, v14
	v_lshlrev_b64 v[16:17], 2, v[4:5]
	v_addc_co_u32_e32 v15, vcc, v12, v15, vcc
	v_add_u32_e32 v4, 4, v20
	v_add_co_u32_e32 v16, vcc, s12, v16
	v_lshlrev_b64 v[18:19], 2, v[4:5]
	v_addc_co_u32_e32 v17, vcc, v12, v17, vcc
	v_add_co_u32_e32 v18, vcc, s14, v18
	v_addc_co_u32_e32 v19, vcc, v13, v19, vcc
	global_load_dwordx2 v[20:21], v[16:17], off
	global_load_dwordx2 v[22:23], v[18:19], off
	v_cmp_ge_i32_e32 vcc, v6, v8
	global_load_dwordx2 v[14:15], v[14:15], off
	s_or_b64 s[8:9], vcc, s[8:9]
	v_add_u32_e32 v3, 0x300, v3
	s_waitcnt vmcnt(1)
	v_fmac_f32_e32 v10, v20, v22
	v_fmac_f32_e32 v9, v21, v22
	s_waitcnt vmcnt(0)
	v_fmac_f32_e32 v10, v14, v23
	v_fmac_f32_e32 v9, v15, v23
	s_andn2_b64 exec, exec, s[8:9]
	s_cbranch_execnz .LBB24_9
; %bb.10:
	s_or_b64 exec, exec, s[8:9]
.LBB24_11:
	s_or_b64 exec, exec, s[6:7]
	s_cbranch_execz .LBB24_13
	s_branch .LBB24_18
.LBB24_12:
                                        ; implicit-def: $vgpr10
                                        ; implicit-def: $vgpr9
.LBB24_13:
	v_mov_b32_e32 v10, 0
	v_mov_b32_e32 v9, 0
	s_and_saveexec_b64 s[6:7], s[0:1]
	s_cbranch_execz .LBB24_17
; %bb.14:
	v_mad_u64_u32 v[4:5], s[0:1], v2, 12, 11
	v_mov_b32_e32 v6, 0
	s_mov_b64 s[0:1], 0
	v_mov_b32_e32 v7, s11
	v_mov_b32_e32 v11, s13
	;; [unrolled: 1-line block ×5, first 2 shown]
.LBB24_15:                              ; =>This Inner Loop Header: Depth=1
	v_ashrrev_i32_e32 v3, 31, v2
	v_lshlrev_b64 v[15:16], 2, v[2:3]
	v_add_u32_e32 v5, -11, v4
	v_add_co_u32_e32 v15, vcc, s10, v15
	v_addc_co_u32_e32 v16, vcc, v7, v16, vcc
	global_load_dword v3, v[15:16], off
	v_lshlrev_b64 v[17:18], 2, v[5:6]
	v_add_u32_e32 v13, -5, v4
	v_mov_b32_e32 v14, v6
	v_lshlrev_b64 v[13:14], 2, v[13:14]
	v_add_co_u32_e32 v17, vcc, s12, v17
	v_add_u32_e32 v5, -4, v4
	v_addc_co_u32_e32 v18, vcc, v11, v18, vcc
	v_add_co_u32_e32 v13, vcc, s12, v13
	v_lshlrev_b64 v[19:20], 2, v[5:6]
	v_addc_co_u32_e32 v14, vcc, v11, v14, vcc
	v_mov_b32_e32 v22, v6
	v_add_co_u32_e32 v19, vcc, s12, v19
	v_addc_co_u32_e32 v20, vcc, v11, v20, vcc
	v_add_u32_e32 v2, 64, v2
	s_waitcnt vmcnt(0)
	v_subrev_u32_e32 v3, s18, v3
	v_mul_lo_u32 v21, v3, 6
	v_lshlrev_b64 v[15:16], 2, v[21:22]
	v_add_u32_e32 v5, 2, v21
	v_add_co_u32_e32 v15, vcc, s14, v15
	v_addc_co_u32_e32 v16, vcc, v12, v16, vcc
	v_lshlrev_b64 v[22:23], 2, v[5:6]
	global_load_dword v3, v[13:14], off
	global_load_dword v5, v[19:20], off
	global_load_dwordx2 v[24:25], v[15:16], off
	v_add_co_u32_e32 v22, vcc, s14, v22
	global_load_dwordx4 v[13:16], v[17:18], off
	v_addc_co_u32_e32 v23, vcc, v12, v23, vcc
	s_waitcnt vmcnt(1)
	v_fmac_f32_e32 v9, v3, v24
	v_fmac_f32_e32 v9, v5, v25
	v_mov_b32_e32 v5, v6
	s_waitcnt vmcnt(0)
	v_fmac_f32_e32 v10, v13, v24
	v_fmac_f32_e32 v10, v14, v25
	global_load_dwordx2 v[13:14], v[22:23], off
	s_waitcnt vmcnt(0)
	v_fmac_f32_e32 v10, v15, v13
	v_fmac_f32_e32 v10, v16, v14
	v_lshlrev_b64 v[15:16], 2, v[4:5]
	v_add_u32_e32 v5, -3, v4
	v_add_co_u32_e32 v15, vcc, s12, v15
	v_lshlrev_b64 v[17:18], 2, v[5:6]
	v_addc_co_u32_e32 v16, vcc, v11, v16, vcc
	v_add_u32_e32 v5, -2, v4
	v_add_co_u32_e32 v17, vcc, s12, v17
	v_lshlrev_b64 v[19:20], 2, v[5:6]
	v_addc_co_u32_e32 v18, vcc, v11, v18, vcc
	v_add_u32_e32 v5, -7, v4
	v_lshlrev_b64 v[22:23], 2, v[5:6]
	v_add_co_u32_e32 v19, vcc, s12, v19
	v_addc_co_u32_e32 v20, vcc, v11, v20, vcc
	v_add_u32_e32 v5, 4, v21
	v_add_co_u32_e32 v21, vcc, s12, v22
	v_addc_co_u32_e32 v22, vcc, v11, v23, vcc
	global_load_dword v3, v[17:18], off
	global_load_dword v25, v[19:20], off
	;; [unrolled: 1-line block ×3, first 2 shown]
	v_lshlrev_b64 v[23:24], 2, v[5:6]
	v_add_u32_e32 v5, -1, v4
	v_add_co_u32_e32 v23, vcc, s14, v23
	v_addc_co_u32_e32 v24, vcc, v12, v24, vcc
	s_waitcnt vmcnt(2)
	v_fmac_f32_e32 v9, v3, v13
	s_waitcnt vmcnt(1)
	v_fmac_f32_e32 v9, v25, v14
	v_lshlrev_b64 v[13:14], 2, v[5:6]
	v_add_u32_e32 v5, -6, v4
	v_add_co_u32_e32 v13, vcc, s12, v13
	v_lshlrev_b64 v[17:18], 2, v[5:6]
	v_addc_co_u32_e32 v14, vcc, v11, v14, vcc
	v_add_co_u32_e32 v17, vcc, s12, v17
	v_addc_co_u32_e32 v18, vcc, v11, v18, vcc
	global_load_dword v3, v[13:14], off
	global_load_dwordx2 v[19:20], v[23:24], off
	global_load_dword v5, v[17:18], off
	global_load_dword v21, v[15:16], off
	v_cmp_ge_i32_e32 vcc, v2, v8
	s_or_b64 s[0:1], vcc, s[0:1]
	v_add_u32_e32 v4, 0x300, v4
	s_waitcnt vmcnt(2)
	v_fmac_f32_e32 v10, v26, v19
	v_fmac_f32_e32 v9, v3, v19
	s_waitcnt vmcnt(1)
	v_fmac_f32_e32 v10, v5, v20
	s_waitcnt vmcnt(0)
	v_fmac_f32_e32 v9, v21, v20
	s_andn2_b64 exec, exec, s[0:1]
	s_cbranch_execnz .LBB24_15
; %bb.16:
	s_or_b64 exec, exec, s[0:1]
.LBB24_17:
	s_or_b64 exec, exec, s[6:7]
.LBB24_18:
	v_mov_b32_dpp v2, v10 row_shr:1 row_mask:0xf bank_mask:0xf
	v_mov_b32_dpp v4, v9 row_shr:1 row_mask:0xf bank_mask:0xf
	v_add_f32_e32 v2, v10, v2
	v_add_f32_e32 v4, v9, v4
	v_cmp_eq_u32_e32 vcc, 63, v0
	v_mov_b32_dpp v3, v2 row_shr:2 row_mask:0xf bank_mask:0xf
	v_mov_b32_dpp v5, v4 row_shr:2 row_mask:0xf bank_mask:0xf
	v_add_f32_e32 v2, v2, v3
	v_add_f32_e32 v4, v4, v5
	s_nop 0
	v_mov_b32_dpp v3, v2 row_shr:4 row_mask:0xf bank_mask:0xe
	v_mov_b32_dpp v5, v4 row_shr:4 row_mask:0xf bank_mask:0xe
	v_add_f32_e32 v2, v2, v3
	v_add_f32_e32 v4, v4, v5
	s_nop 0
	;; [unrolled: 5-line block ×3, first 2 shown]
	v_mov_b32_dpp v3, v2 row_bcast:15 row_mask:0xa bank_mask:0xf
	v_mov_b32_dpp v5, v4 row_bcast:15 row_mask:0xa bank_mask:0xf
	v_add_f32_e32 v2, v2, v3
	v_add_f32_e32 v4, v4, v5
	s_nop 0
	v_mov_b32_dpp v3, v2 row_bcast:31 row_mask:0xc bank_mask:0xf
	v_mov_b32_dpp v5, v4 row_bcast:31 row_mask:0xc bank_mask:0xf
	s_and_b64 exec, exec, vcc
	s_cbranch_execz .LBB24_22
; %bb.19:
	s_load_dwordx2 s[0:1], s[4:5], 0x38
	v_add_f32_e32 v0, v2, v3
	v_add_f32_e32 v3, v4, v5
	v_cmp_eq_f32_e64 s[4:5], s2, 0
	s_and_b64 vcc, exec, s[4:5]
	v_mul_f32_e32 v2, s16, v0
	v_mul_f32_e32 v3, s16, v3
	v_lshlrev_b32_e32 v0, 1, v1
	s_cbranch_vccz .LBB24_23
; %bb.20:
	v_ashrrev_i32_e32 v1, 31, v0
	v_lshlrev_b64 v[4:5], 2, v[0:1]
	s_waitcnt lgkmcnt(0)
	v_mov_b32_e32 v1, s1
	v_add_co_u32_e32 v4, vcc, s0, v4
	v_addc_co_u32_e32 v5, vcc, v1, v5, vcc
	global_store_dwordx2 v[4:5], v[2:3], off
	s_cbranch_execnz .LBB24_22
.LBB24_21:
	v_ashrrev_i32_e32 v1, 31, v0
	v_lshlrev_b64 v[0:1], 2, v[0:1]
	s_waitcnt lgkmcnt(0)
	v_mov_b32_e32 v4, s1
	v_add_co_u32_e32 v0, vcc, s0, v0
	v_addc_co_u32_e32 v1, vcc, v4, v1, vcc
	global_load_dwordx2 v[4:5], v[0:1], off
	s_waitcnt vmcnt(0)
	v_fmac_f32_e32 v2, s2, v4
	v_fmac_f32_e32 v3, s2, v5
	global_store_dwordx2 v[0:1], v[2:3], off
.LBB24_22:
	s_endpgm
.LBB24_23:
	s_branch .LBB24_21
	.section	.rodata,"a",@progbits
	.p2align	6, 0x0
	.amdhsa_kernel _ZN9rocsparseL19gebsrmvn_2xn_kernelILj128ELj6ELj64EfEEvi20rocsparse_direction_NS_24const_host_device_scalarIT2_EEPKiS6_PKS3_S8_S4_PS3_21rocsparse_index_base_b
		.amdhsa_group_segment_fixed_size 0
		.amdhsa_private_segment_fixed_size 0
		.amdhsa_kernarg_size 72
		.amdhsa_user_sgpr_count 6
		.amdhsa_user_sgpr_private_segment_buffer 1
		.amdhsa_user_sgpr_dispatch_ptr 0
		.amdhsa_user_sgpr_queue_ptr 0
		.amdhsa_user_sgpr_kernarg_segment_ptr 1
		.amdhsa_user_sgpr_dispatch_id 0
		.amdhsa_user_sgpr_flat_scratch_init 0
		.amdhsa_user_sgpr_private_segment_size 0
		.amdhsa_uses_dynamic_stack 0
		.amdhsa_system_sgpr_private_segment_wavefront_offset 0
		.amdhsa_system_sgpr_workgroup_id_x 1
		.amdhsa_system_sgpr_workgroup_id_y 0
		.amdhsa_system_sgpr_workgroup_id_z 0
		.amdhsa_system_sgpr_workgroup_info 0
		.amdhsa_system_vgpr_workitem_id 0
		.amdhsa_next_free_vgpr 27
		.amdhsa_next_free_sgpr 20
		.amdhsa_reserve_vcc 1
		.amdhsa_reserve_flat_scratch 0
		.amdhsa_float_round_mode_32 0
		.amdhsa_float_round_mode_16_64 0
		.amdhsa_float_denorm_mode_32 3
		.amdhsa_float_denorm_mode_16_64 3
		.amdhsa_dx10_clamp 1
		.amdhsa_ieee_mode 1
		.amdhsa_fp16_overflow 0
		.amdhsa_exception_fp_ieee_invalid_op 0
		.amdhsa_exception_fp_denorm_src 0
		.amdhsa_exception_fp_ieee_div_zero 0
		.amdhsa_exception_fp_ieee_overflow 0
		.amdhsa_exception_fp_ieee_underflow 0
		.amdhsa_exception_fp_ieee_inexact 0
		.amdhsa_exception_int_div_zero 0
	.end_amdhsa_kernel
	.section	.text._ZN9rocsparseL19gebsrmvn_2xn_kernelILj128ELj6ELj64EfEEvi20rocsparse_direction_NS_24const_host_device_scalarIT2_EEPKiS6_PKS3_S8_S4_PS3_21rocsparse_index_base_b,"axG",@progbits,_ZN9rocsparseL19gebsrmvn_2xn_kernelILj128ELj6ELj64EfEEvi20rocsparse_direction_NS_24const_host_device_scalarIT2_EEPKiS6_PKS3_S8_S4_PS3_21rocsparse_index_base_b,comdat
.Lfunc_end24:
	.size	_ZN9rocsparseL19gebsrmvn_2xn_kernelILj128ELj6ELj64EfEEvi20rocsparse_direction_NS_24const_host_device_scalarIT2_EEPKiS6_PKS3_S8_S4_PS3_21rocsparse_index_base_b, .Lfunc_end24-_ZN9rocsparseL19gebsrmvn_2xn_kernelILj128ELj6ELj64EfEEvi20rocsparse_direction_NS_24const_host_device_scalarIT2_EEPKiS6_PKS3_S8_S4_PS3_21rocsparse_index_base_b
                                        ; -- End function
	.set _ZN9rocsparseL19gebsrmvn_2xn_kernelILj128ELj6ELj64EfEEvi20rocsparse_direction_NS_24const_host_device_scalarIT2_EEPKiS6_PKS3_S8_S4_PS3_21rocsparse_index_base_b.num_vgpr, 27
	.set _ZN9rocsparseL19gebsrmvn_2xn_kernelILj128ELj6ELj64EfEEvi20rocsparse_direction_NS_24const_host_device_scalarIT2_EEPKiS6_PKS3_S8_S4_PS3_21rocsparse_index_base_b.num_agpr, 0
	.set _ZN9rocsparseL19gebsrmvn_2xn_kernelILj128ELj6ELj64EfEEvi20rocsparse_direction_NS_24const_host_device_scalarIT2_EEPKiS6_PKS3_S8_S4_PS3_21rocsparse_index_base_b.numbered_sgpr, 20
	.set _ZN9rocsparseL19gebsrmvn_2xn_kernelILj128ELj6ELj64EfEEvi20rocsparse_direction_NS_24const_host_device_scalarIT2_EEPKiS6_PKS3_S8_S4_PS3_21rocsparse_index_base_b.num_named_barrier, 0
	.set _ZN9rocsparseL19gebsrmvn_2xn_kernelILj128ELj6ELj64EfEEvi20rocsparse_direction_NS_24const_host_device_scalarIT2_EEPKiS6_PKS3_S8_S4_PS3_21rocsparse_index_base_b.private_seg_size, 0
	.set _ZN9rocsparseL19gebsrmvn_2xn_kernelILj128ELj6ELj64EfEEvi20rocsparse_direction_NS_24const_host_device_scalarIT2_EEPKiS6_PKS3_S8_S4_PS3_21rocsparse_index_base_b.uses_vcc, 1
	.set _ZN9rocsparseL19gebsrmvn_2xn_kernelILj128ELj6ELj64EfEEvi20rocsparse_direction_NS_24const_host_device_scalarIT2_EEPKiS6_PKS3_S8_S4_PS3_21rocsparse_index_base_b.uses_flat_scratch, 0
	.set _ZN9rocsparseL19gebsrmvn_2xn_kernelILj128ELj6ELj64EfEEvi20rocsparse_direction_NS_24const_host_device_scalarIT2_EEPKiS6_PKS3_S8_S4_PS3_21rocsparse_index_base_b.has_dyn_sized_stack, 0
	.set _ZN9rocsparseL19gebsrmvn_2xn_kernelILj128ELj6ELj64EfEEvi20rocsparse_direction_NS_24const_host_device_scalarIT2_EEPKiS6_PKS3_S8_S4_PS3_21rocsparse_index_base_b.has_recursion, 0
	.set _ZN9rocsparseL19gebsrmvn_2xn_kernelILj128ELj6ELj64EfEEvi20rocsparse_direction_NS_24const_host_device_scalarIT2_EEPKiS6_PKS3_S8_S4_PS3_21rocsparse_index_base_b.has_indirect_call, 0
	.section	.AMDGPU.csdata,"",@progbits
; Kernel info:
; codeLenInByte = 1520
; TotalNumSgprs: 24
; NumVgprs: 27
; ScratchSize: 0
; MemoryBound: 0
; FloatMode: 240
; IeeeMode: 1
; LDSByteSize: 0 bytes/workgroup (compile time only)
; SGPRBlocks: 2
; VGPRBlocks: 6
; NumSGPRsForWavesPerEU: 24
; NumVGPRsForWavesPerEU: 27
; Occupancy: 9
; WaveLimiterHint : 1
; COMPUTE_PGM_RSRC2:SCRATCH_EN: 0
; COMPUTE_PGM_RSRC2:USER_SGPR: 6
; COMPUTE_PGM_RSRC2:TRAP_HANDLER: 0
; COMPUTE_PGM_RSRC2:TGID_X_EN: 1
; COMPUTE_PGM_RSRC2:TGID_Y_EN: 0
; COMPUTE_PGM_RSRC2:TGID_Z_EN: 0
; COMPUTE_PGM_RSRC2:TIDIG_COMP_CNT: 0
	.section	.text._ZN9rocsparseL19gebsrmvn_2xn_kernelILj128ELj7ELj4EfEEvi20rocsparse_direction_NS_24const_host_device_scalarIT2_EEPKiS6_PKS3_S8_S4_PS3_21rocsparse_index_base_b,"axG",@progbits,_ZN9rocsparseL19gebsrmvn_2xn_kernelILj128ELj7ELj4EfEEvi20rocsparse_direction_NS_24const_host_device_scalarIT2_EEPKiS6_PKS3_S8_S4_PS3_21rocsparse_index_base_b,comdat
	.globl	_ZN9rocsparseL19gebsrmvn_2xn_kernelILj128ELj7ELj4EfEEvi20rocsparse_direction_NS_24const_host_device_scalarIT2_EEPKiS6_PKS3_S8_S4_PS3_21rocsparse_index_base_b ; -- Begin function _ZN9rocsparseL19gebsrmvn_2xn_kernelILj128ELj7ELj4EfEEvi20rocsparse_direction_NS_24const_host_device_scalarIT2_EEPKiS6_PKS3_S8_S4_PS3_21rocsparse_index_base_b
	.p2align	8
	.type	_ZN9rocsparseL19gebsrmvn_2xn_kernelILj128ELj7ELj4EfEEvi20rocsparse_direction_NS_24const_host_device_scalarIT2_EEPKiS6_PKS3_S8_S4_PS3_21rocsparse_index_base_b,@function
_ZN9rocsparseL19gebsrmvn_2xn_kernelILj128ELj7ELj4EfEEvi20rocsparse_direction_NS_24const_host_device_scalarIT2_EEPKiS6_PKS3_S8_S4_PS3_21rocsparse_index_base_b: ; @_ZN9rocsparseL19gebsrmvn_2xn_kernelILj128ELj7ELj4EfEEvi20rocsparse_direction_NS_24const_host_device_scalarIT2_EEPKiS6_PKS3_S8_S4_PS3_21rocsparse_index_base_b
; %bb.0:
	s_load_dwordx2 s[18:19], s[4:5], 0x40
	s_load_dwordx2 s[16:17], s[4:5], 0x8
	;; [unrolled: 1-line block ×3, first 2 shown]
	s_waitcnt lgkmcnt(0)
	s_bitcmp1_b32 s19, 0
	s_cselect_b64 s[8:9], -1, 0
	s_xor_b64 s[0:1], s[8:9], -1
	s_and_b64 vcc, exec, s[8:9]
	s_cbranch_vccnz .LBB25_2
; %bb.1:
	s_load_dword s16, s[16:17], 0x0
.LBB25_2:
	s_andn2_b64 vcc, exec, s[0:1]
	s_cbranch_vccnz .LBB25_4
; %bb.3:
	s_load_dword s2, s[2:3], 0x0
.LBB25_4:
	s_waitcnt lgkmcnt(0)
	v_cmp_eq_f32_e64 s[0:1], s16, 0
	v_cmp_eq_f32_e64 s[8:9], s2, 1.0
	s_and_b64 s[0:1], s[0:1], s[8:9]
	s_and_b64 vcc, exec, s[0:1]
	s_cbranch_vccnz .LBB25_22
; %bb.5:
	s_load_dwordx2 s[0:1], s[4:5], 0x0
	v_lshrrev_b32_e32 v1, 2, v0
	v_lshl_or_b32 v1, s6, 5, v1
	s_waitcnt lgkmcnt(0)
	v_cmp_gt_i32_e32 vcc, s0, v1
	s_and_saveexec_b64 s[6:7], vcc
	s_cbranch_execz .LBB25_22
; %bb.6:
	s_load_dwordx8 s[8:15], s[4:5], 0x10
	v_ashrrev_i32_e32 v2, 31, v1
	v_lshlrev_b64 v[2:3], 2, v[1:2]
	v_and_b32_e32 v0, 3, v0
	s_cmp_lg_u32 s1, 0
	s_waitcnt lgkmcnt(0)
	v_mov_b32_e32 v4, s9
	v_add_co_u32_e32 v2, vcc, s8, v2
	v_addc_co_u32_e32 v3, vcc, v4, v3, vcc
	global_load_dwordx2 v[2:3], v[2:3], off
	s_waitcnt vmcnt(0)
	v_subrev_u32_e32 v2, s18, v2
	v_subrev_u32_e32 v9, s18, v3
	v_add_u32_e32 v2, v2, v0
	v_cmp_lt_i32_e64 s[0:1], v2, v9
	s_cbranch_scc0 .LBB25_12
; %bb.7:
	v_mov_b32_e32 v10, 0
	v_mov_b32_e32 v11, 0
	s_and_saveexec_b64 s[6:7], s[0:1]
	s_cbranch_execz .LBB25_11
; %bb.8:
	v_mad_u64_u32 v[3:4], s[8:9], v2, 14, 12
	v_mov_b32_e32 v6, 0
	s_mov_b64 s[8:9], 0
	v_mov_b32_e32 v12, s11
	v_mov_b32_e32 v13, s13
	;; [unrolled: 1-line block ×6, first 2 shown]
.LBB25_9:                               ; =>This Inner Loop Header: Depth=1
	v_ashrrev_i32_e32 v8, 31, v7
	v_lshlrev_b64 v[17:18], 2, v[7:8]
	v_add_u32_e32 v5, -12, v3
	v_add_co_u32_e32 v17, vcc, s10, v17
	v_addc_co_u32_e32 v18, vcc, v12, v18, vcc
	global_load_dword v8, v[17:18], off
	v_lshlrev_b64 v[19:20], 2, v[5:6]
	v_mov_b32_e32 v4, v6
	v_lshlrev_b64 v[21:22], 2, v[3:4]
	v_add_co_u32_e32 v17, vcc, s12, v19
	v_add_u32_e32 v5, -10, v3
	v_addc_co_u32_e32 v18, vcc, v13, v20, vcc
	v_lshlrev_b64 v[4:5], 2, v[5:6]
	v_add_co_u32_e32 v19, vcc, s12, v21
	v_addc_co_u32_e32 v20, vcc, v13, v22, vcc
	v_add_co_u32_e32 v4, vcc, s12, v4
	global_load_dwordx2 v[17:18], v[17:18], off
	v_addc_co_u32_e32 v5, vcc, v13, v5, vcc
	global_load_dwordx2 v[21:22], v[19:20], off
	global_load_dwordx2 v[23:24], v[4:5], off
	v_mov_b32_e32 v16, v6
	v_add_u32_e32 v7, 4, v7
	s_waitcnt vmcnt(3)
	v_subrev_u32_e32 v4, s18, v8
	v_mul_lo_u32 v15, v4, 7
	v_lshlrev_b64 v[19:20], 2, v[15:16]
	v_add_u32_e32 v5, 1, v15
	v_lshlrev_b64 v[25:26], 2, v[5:6]
	v_add_co_u32_e32 v19, vcc, s14, v19
	v_add_u32_e32 v5, -8, v3
	v_addc_co_u32_e32 v20, vcc, v14, v20, vcc
	v_lshlrev_b64 v[27:28], 2, v[5:6]
	global_load_dword v8, v[19:20], off
	v_add_co_u32_e32 v19, vcc, s14, v25
	v_add_u32_e32 v5, 2, v15
	v_addc_co_u32_e32 v20, vcc, v14, v26, vcc
	v_lshlrev_b64 v[25:26], 2, v[5:6]
	global_load_dword v35, v[19:20], off
	v_add_co_u32_e32 v19, vcc, s12, v27
	v_add_u32_e32 v5, -6, v3
	v_addc_co_u32_e32 v20, vcc, v13, v28, vcc
	v_lshlrev_b64 v[27:28], 2, v[5:6]
	v_add_co_u32_e32 v25, vcc, s14, v25
	v_add_u32_e32 v5, 3, v15
	v_addc_co_u32_e32 v26, vcc, v14, v26, vcc
	v_lshlrev_b64 v[29:30], 2, v[5:6]
	global_load_dword v36, v[25:26], off
	v_add_co_u32_e32 v25, vcc, s12, v27
	v_add_u32_e32 v5, -4, v3
	v_addc_co_u32_e32 v26, vcc, v13, v28, vcc
	v_lshlrev_b64 v[27:28], 2, v[5:6]
	v_add_co_u32_e32 v29, vcc, s14, v29
	v_add_u32_e32 v5, 4, v15
	v_addc_co_u32_e32 v30, vcc, v14, v30, vcc
	v_lshlrev_b64 v[31:32], 2, v[5:6]
	v_add_co_u32_e32 v27, vcc, s12, v27
	v_addc_co_u32_e32 v28, vcc, v13, v28, vcc
	v_add_co_u32_e32 v31, vcc, s14, v31
	v_add_u32_e32 v5, -2, v3
	v_addc_co_u32_e32 v32, vcc, v14, v32, vcc
	global_load_dword v37, v[29:30], off
	v_add_u32_e32 v3, 56, v3
	global_load_dword v31, v[31:32], off
	v_lshlrev_b64 v[29:30], 2, v[5:6]
	v_add_u32_e32 v5, 5, v15
	v_lshlrev_b64 v[33:34], 2, v[5:6]
	v_add_u32_e32 v5, 6, v15
	v_add_co_u32_e32 v15, vcc, s12, v29
	v_addc_co_u32_e32 v16, vcc, v13, v30, vcc
	global_load_dwordx2 v[19:20], v[19:20], off
	v_lshlrev_b64 v[4:5], 2, v[5:6]
	v_add_co_u32_e32 v29, vcc, s14, v33
	global_load_dwordx2 v[25:26], v[25:26], off
	v_addc_co_u32_e32 v30, vcc, v14, v34, vcc
	global_load_dwordx2 v[27:28], v[27:28], off
	v_add_co_u32_e32 v4, vcc, s14, v4
	global_load_dwordx2 v[15:16], v[15:16], off
	v_addc_co_u32_e32 v5, vcc, v14, v5, vcc
	global_load_dword v29, v[29:30], off
	v_cmp_ge_i32_e32 vcc, v7, v9
	global_load_dword v4, v[4:5], off
	s_or_b64 s[8:9], vcc, s[8:9]
	s_waitcnt vmcnt(10)
	v_fmac_f32_e32 v10, v17, v8
	v_fmac_f32_e32 v11, v18, v8
	s_waitcnt vmcnt(9)
	v_fmac_f32_e32 v10, v23, v35
	v_fmac_f32_e32 v11, v24, v35
	;; [unrolled: 3-line block ×7, first 2 shown]
	s_andn2_b64 exec, exec, s[8:9]
	s_cbranch_execnz .LBB25_9
; %bb.10:
	s_or_b64 exec, exec, s[8:9]
.LBB25_11:
	s_or_b64 exec, exec, s[6:7]
	s_cbranch_execz .LBB25_13
	s_branch .LBB25_18
.LBB25_12:
                                        ; implicit-def: $vgpr10
                                        ; implicit-def: $vgpr11
.LBB25_13:
	v_mov_b32_e32 v10, 0
	v_mov_b32_e32 v11, 0
	s_and_saveexec_b64 s[6:7], s[0:1]
	s_cbranch_execz .LBB25_17
; %bb.14:
	v_mad_u64_u32 v[4:5], s[0:1], v2, 14, 13
	v_mov_b32_e32 v7, 0
	s_mov_b64 s[0:1], 0
	v_mov_b32_e32 v8, s11
	v_mov_b32_e32 v12, s13
	;; [unrolled: 1-line block ×5, first 2 shown]
.LBB25_15:                              ; =>This Inner Loop Header: Depth=1
	v_ashrrev_i32_e32 v3, 31, v2
	v_lshlrev_b64 v[17:18], 2, v[2:3]
	v_add_u32_e32 v6, -13, v4
	v_lshlrev_b64 v[19:20], 2, v[6:7]
	v_add_co_u32_e32 v17, vcc, s10, v17
	v_add_u32_e32 v14, -6, v4
	v_mov_b32_e32 v15, v7
	v_addc_co_u32_e32 v18, vcc, v8, v18, vcc
	v_lshlrev_b64 v[14:15], 2, v[14:15]
	v_add_co_u32_e32 v19, vcc, s12, v19
	v_mov_b32_e32 v5, v7
	v_addc_co_u32_e32 v20, vcc, v12, v20, vcc
	v_lshlrev_b64 v[5:6], 2, v[4:5]
	v_add_co_u32_e32 v14, vcc, s12, v14
	v_addc_co_u32_e32 v15, vcc, v12, v15, vcc
	v_add_co_u32_e32 v5, vcc, s12, v5
	v_addc_co_u32_e32 v6, vcc, v12, v6, vcc
	global_load_dword v3, v[17:18], off
	global_load_dword v27, v[14:15], off
	;; [unrolled: 1-line block ×3, first 2 shown]
	global_load_dwordx2 v[21:22], v[19:20], off
	v_mov_b32_e32 v16, v7
	v_add_u32_e32 v2, 4, v2
	s_waitcnt vmcnt(3)
	v_subrev_u32_e32 v3, s18, v3
	v_mul_lo_u32 v15, v3, 7
	v_lshlrev_b64 v[16:17], 2, v[15:16]
	v_add_u32_e32 v6, 1, v15
	v_lshlrev_b64 v[18:19], 2, v[6:7]
	v_add_co_u32_e32 v16, vcc, s14, v16
	v_add_u32_e32 v6, -5, v4
	v_addc_co_u32_e32 v17, vcc, v13, v17, vcc
	v_lshlrev_b64 v[23:24], 2, v[6:7]
	v_add_co_u32_e32 v18, vcc, s14, v18
	v_add_u32_e32 v6, -11, v4
	v_addc_co_u32_e32 v19, vcc, v13, v19, vcc
	v_lshlrev_b64 v[25:26], 2, v[6:7]
	v_add_co_u32_e32 v23, vcc, s12, v23
	v_add_u32_e32 v6, 2, v15
	v_addc_co_u32_e32 v24, vcc, v12, v24, vcc
	global_load_dword v3, v[16:17], off
	global_load_dword v20, v[18:19], off
	v_lshlrev_b64 v[16:17], 2, v[6:7]
	v_add_co_u32_e32 v25, vcc, s12, v25
	v_add_u32_e32 v6, -4, v4
	v_addc_co_u32_e32 v26, vcc, v12, v26, vcc
	v_lshlrev_b64 v[18:19], 2, v[6:7]
	v_add_co_u32_e32 v16, vcc, s14, v16
	v_addc_co_u32_e32 v17, vcc, v13, v17, vcc
	v_add_co_u32_e32 v18, vcc, s12, v18
	v_add_u32_e32 v6, -10, v4
	v_addc_co_u32_e32 v19, vcc, v12, v19, vcc
	global_load_dword v29, v[23:24], off
	global_load_dword v30, v[25:26], off
	;; [unrolled: 1-line block ×3, first 2 shown]
	v_lshlrev_b64 v[23:24], 2, v[6:7]
	v_add_u32_e32 v6, 3, v15
	v_lshlrev_b64 v[25:26], 2, v[6:7]
	global_load_dword v31, v[16:17], off
	v_add_co_u32_e32 v16, vcc, s12, v23
	v_add_u32_e32 v6, -3, v4
	v_addc_co_u32_e32 v17, vcc, v12, v24, vcc
	v_lshlrev_b64 v[23:24], 2, v[6:7]
	global_load_dword v33, v[16:17], off
	v_add_co_u32_e32 v18, vcc, s14, v25
	v_add_u32_e32 v6, -9, v4
	v_addc_co_u32_e32 v19, vcc, v13, v26, vcc
	v_lshlrev_b64 v[25:26], 2, v[6:7]
	v_add_co_u32_e32 v16, vcc, s12, v23
	v_add_u32_e32 v6, 4, v15
	v_addc_co_u32_e32 v17, vcc, v12, v24, vcc
	v_lshlrev_b64 v[23:24], 2, v[6:7]
	global_load_dword v34, v[18:19], off
	v_add_co_u32_e32 v18, vcc, s12, v25
	v_add_u32_e32 v6, -2, v4
	v_addc_co_u32_e32 v19, vcc, v12, v26, vcc
	v_lshlrev_b64 v[25:26], 2, v[6:7]
	global_load_dword v35, v[16:17], off
	v_add_co_u32_e32 v16, vcc, s14, v23
	v_add_u32_e32 v6, -8, v4
	v_addc_co_u32_e32 v17, vcc, v13, v24, vcc
	v_lshlrev_b64 v[23:24], 2, v[6:7]
	global_load_dword v36, v[18:19], off
	v_add_co_u32_e32 v18, vcc, s12, v25
	v_add_u32_e32 v6, 5, v15
	v_addc_co_u32_e32 v19, vcc, v12, v26, vcc
	v_lshlrev_b64 v[25:26], 2, v[6:7]
	global_load_dword v37, v[16:17], off
	v_add_co_u32_e32 v16, vcc, s12, v23
	v_add_u32_e32 v6, -1, v4
	v_addc_co_u32_e32 v17, vcc, v12, v24, vcc
	v_lshlrev_b64 v[23:24], 2, v[6:7]
	v_add_u32_e32 v6, -7, v4
	v_add_co_u32_e32 v14, vcc, s14, v25
	global_load_dword v38, v[18:19], off
	global_load_dword v25, v[16:17], off
	v_lshlrev_b64 v[18:19], 2, v[6:7]
	v_add_u32_e32 v6, 6, v15
	v_addc_co_u32_e32 v15, vcc, v13, v26, vcc
	v_add_co_u32_e32 v16, vcc, s12, v23
	v_addc_co_u32_e32 v17, vcc, v12, v24, vcc
	v_lshlrev_b64 v[5:6], 2, v[6:7]
	global_load_dword v23, v[14:15], off
	v_add_co_u32_e32 v14, vcc, s12, v18
	v_addc_co_u32_e32 v15, vcc, v12, v19, vcc
	global_load_dword v16, v[16:17], off
	v_add_co_u32_e32 v5, vcc, s14, v5
	v_addc_co_u32_e32 v6, vcc, v13, v6, vcc
	global_load_dword v17, v[14:15], off
	global_load_dword v18, v[5:6], off
	s_waitcnt vmcnt(16)
	v_fmac_f32_e32 v11, v27, v3
	v_fmac_f32_e32 v10, v21, v3
	s_waitcnt vmcnt(15)
	v_fmac_f32_e32 v10, v22, v20
	s_waitcnt vmcnt(14)
	v_fmac_f32_e32 v11, v29, v20
	v_cmp_ge_i32_e32 vcc, v2, v9
	s_or_b64 s[0:1], vcc, s[0:1]
	v_add_u32_e32 v4, 56, v4
	s_waitcnt vmcnt(11)
	v_fmac_f32_e32 v10, v30, v31
	v_fmac_f32_e32 v11, v32, v31
	s_waitcnt vmcnt(9)
	v_fmac_f32_e32 v10, v33, v34
	s_waitcnt vmcnt(8)
	;; [unrolled: 2-line block ×7, first 2 shown]
	v_fmac_f32_e32 v10, v17, v18
	v_fmac_f32_e32 v11, v28, v18
	s_andn2_b64 exec, exec, s[0:1]
	s_cbranch_execnz .LBB25_15
; %bb.16:
	s_or_b64 exec, exec, s[0:1]
.LBB25_17:
	s_or_b64 exec, exec, s[6:7]
.LBB25_18:
	v_mov_b32_dpp v2, v10 row_shr:1 row_mask:0xf bank_mask:0xf
	v_mov_b32_dpp v4, v11 row_shr:1 row_mask:0xf bank_mask:0xf
	v_add_f32_e32 v2, v10, v2
	v_add_f32_e32 v4, v11, v4
	v_cmp_eq_u32_e32 vcc, 3, v0
	v_mov_b32_dpp v3, v2 row_shr:2 row_mask:0xf bank_mask:0xf
	v_mov_b32_dpp v5, v4 row_shr:2 row_mask:0xf bank_mask:0xf
	s_and_b64 exec, exec, vcc
	s_cbranch_execz .LBB25_22
; %bb.19:
	s_load_dwordx2 s[0:1], s[4:5], 0x38
	v_add_f32_e32 v0, v2, v3
	v_add_f32_e32 v3, v4, v5
	v_cmp_eq_f32_e64 s[4:5], s2, 0
	s_and_b64 vcc, exec, s[4:5]
	v_mul_f32_e32 v2, s16, v0
	v_mul_f32_e32 v3, s16, v3
	v_lshlrev_b32_e32 v0, 1, v1
	s_cbranch_vccz .LBB25_23
; %bb.20:
	v_ashrrev_i32_e32 v1, 31, v0
	v_lshlrev_b64 v[4:5], 2, v[0:1]
	s_waitcnt lgkmcnt(0)
	v_mov_b32_e32 v1, s1
	v_add_co_u32_e32 v4, vcc, s0, v4
	v_addc_co_u32_e32 v5, vcc, v1, v5, vcc
	global_store_dwordx2 v[4:5], v[2:3], off
	s_cbranch_execnz .LBB25_22
.LBB25_21:
	v_ashrrev_i32_e32 v1, 31, v0
	v_lshlrev_b64 v[0:1], 2, v[0:1]
	s_waitcnt lgkmcnt(0)
	v_mov_b32_e32 v4, s1
	v_add_co_u32_e32 v0, vcc, s0, v0
	v_addc_co_u32_e32 v1, vcc, v4, v1, vcc
	global_load_dwordx2 v[4:5], v[0:1], off
	s_waitcnt vmcnt(0)
	v_fmac_f32_e32 v2, s2, v4
	v_fmac_f32_e32 v3, s2, v5
	global_store_dwordx2 v[0:1], v[2:3], off
.LBB25_22:
	s_endpgm
.LBB25_23:
	s_branch .LBB25_21
	.section	.rodata,"a",@progbits
	.p2align	6, 0x0
	.amdhsa_kernel _ZN9rocsparseL19gebsrmvn_2xn_kernelILj128ELj7ELj4EfEEvi20rocsparse_direction_NS_24const_host_device_scalarIT2_EEPKiS6_PKS3_S8_S4_PS3_21rocsparse_index_base_b
		.amdhsa_group_segment_fixed_size 0
		.amdhsa_private_segment_fixed_size 0
		.amdhsa_kernarg_size 72
		.amdhsa_user_sgpr_count 6
		.amdhsa_user_sgpr_private_segment_buffer 1
		.amdhsa_user_sgpr_dispatch_ptr 0
		.amdhsa_user_sgpr_queue_ptr 0
		.amdhsa_user_sgpr_kernarg_segment_ptr 1
		.amdhsa_user_sgpr_dispatch_id 0
		.amdhsa_user_sgpr_flat_scratch_init 0
		.amdhsa_user_sgpr_private_segment_size 0
		.amdhsa_uses_dynamic_stack 0
		.amdhsa_system_sgpr_private_segment_wavefront_offset 0
		.amdhsa_system_sgpr_workgroup_id_x 1
		.amdhsa_system_sgpr_workgroup_id_y 0
		.amdhsa_system_sgpr_workgroup_id_z 0
		.amdhsa_system_sgpr_workgroup_info 0
		.amdhsa_system_vgpr_workitem_id 0
		.amdhsa_next_free_vgpr 39
		.amdhsa_next_free_sgpr 20
		.amdhsa_reserve_vcc 1
		.amdhsa_reserve_flat_scratch 0
		.amdhsa_float_round_mode_32 0
		.amdhsa_float_round_mode_16_64 0
		.amdhsa_float_denorm_mode_32 3
		.amdhsa_float_denorm_mode_16_64 3
		.amdhsa_dx10_clamp 1
		.amdhsa_ieee_mode 1
		.amdhsa_fp16_overflow 0
		.amdhsa_exception_fp_ieee_invalid_op 0
		.amdhsa_exception_fp_denorm_src 0
		.amdhsa_exception_fp_ieee_div_zero 0
		.amdhsa_exception_fp_ieee_overflow 0
		.amdhsa_exception_fp_ieee_underflow 0
		.amdhsa_exception_fp_ieee_inexact 0
		.amdhsa_exception_int_div_zero 0
	.end_amdhsa_kernel
	.section	.text._ZN9rocsparseL19gebsrmvn_2xn_kernelILj128ELj7ELj4EfEEvi20rocsparse_direction_NS_24const_host_device_scalarIT2_EEPKiS6_PKS3_S8_S4_PS3_21rocsparse_index_base_b,"axG",@progbits,_ZN9rocsparseL19gebsrmvn_2xn_kernelILj128ELj7ELj4EfEEvi20rocsparse_direction_NS_24const_host_device_scalarIT2_EEPKiS6_PKS3_S8_S4_PS3_21rocsparse_index_base_b,comdat
.Lfunc_end25:
	.size	_ZN9rocsparseL19gebsrmvn_2xn_kernelILj128ELj7ELj4EfEEvi20rocsparse_direction_NS_24const_host_device_scalarIT2_EEPKiS6_PKS3_S8_S4_PS3_21rocsparse_index_base_b, .Lfunc_end25-_ZN9rocsparseL19gebsrmvn_2xn_kernelILj128ELj7ELj4EfEEvi20rocsparse_direction_NS_24const_host_device_scalarIT2_EEPKiS6_PKS3_S8_S4_PS3_21rocsparse_index_base_b
                                        ; -- End function
	.set _ZN9rocsparseL19gebsrmvn_2xn_kernelILj128ELj7ELj4EfEEvi20rocsparse_direction_NS_24const_host_device_scalarIT2_EEPKiS6_PKS3_S8_S4_PS3_21rocsparse_index_base_b.num_vgpr, 39
	.set _ZN9rocsparseL19gebsrmvn_2xn_kernelILj128ELj7ELj4EfEEvi20rocsparse_direction_NS_24const_host_device_scalarIT2_EEPKiS6_PKS3_S8_S4_PS3_21rocsparse_index_base_b.num_agpr, 0
	.set _ZN9rocsparseL19gebsrmvn_2xn_kernelILj128ELj7ELj4EfEEvi20rocsparse_direction_NS_24const_host_device_scalarIT2_EEPKiS6_PKS3_S8_S4_PS3_21rocsparse_index_base_b.numbered_sgpr, 20
	.set _ZN9rocsparseL19gebsrmvn_2xn_kernelILj128ELj7ELj4EfEEvi20rocsparse_direction_NS_24const_host_device_scalarIT2_EEPKiS6_PKS3_S8_S4_PS3_21rocsparse_index_base_b.num_named_barrier, 0
	.set _ZN9rocsparseL19gebsrmvn_2xn_kernelILj128ELj7ELj4EfEEvi20rocsparse_direction_NS_24const_host_device_scalarIT2_EEPKiS6_PKS3_S8_S4_PS3_21rocsparse_index_base_b.private_seg_size, 0
	.set _ZN9rocsparseL19gebsrmvn_2xn_kernelILj128ELj7ELj4EfEEvi20rocsparse_direction_NS_24const_host_device_scalarIT2_EEPKiS6_PKS3_S8_S4_PS3_21rocsparse_index_base_b.uses_vcc, 1
	.set _ZN9rocsparseL19gebsrmvn_2xn_kernelILj128ELj7ELj4EfEEvi20rocsparse_direction_NS_24const_host_device_scalarIT2_EEPKiS6_PKS3_S8_S4_PS3_21rocsparse_index_base_b.uses_flat_scratch, 0
	.set _ZN9rocsparseL19gebsrmvn_2xn_kernelILj128ELj7ELj4EfEEvi20rocsparse_direction_NS_24const_host_device_scalarIT2_EEPKiS6_PKS3_S8_S4_PS3_21rocsparse_index_base_b.has_dyn_sized_stack, 0
	.set _ZN9rocsparseL19gebsrmvn_2xn_kernelILj128ELj7ELj4EfEEvi20rocsparse_direction_NS_24const_host_device_scalarIT2_EEPKiS6_PKS3_S8_S4_PS3_21rocsparse_index_base_b.has_recursion, 0
	.set _ZN9rocsparseL19gebsrmvn_2xn_kernelILj128ELj7ELj4EfEEvi20rocsparse_direction_NS_24const_host_device_scalarIT2_EEPKiS6_PKS3_S8_S4_PS3_21rocsparse_index_base_b.has_indirect_call, 0
	.section	.AMDGPU.csdata,"",@progbits
; Kernel info:
; codeLenInByte = 1828
; TotalNumSgprs: 24
; NumVgprs: 39
; ScratchSize: 0
; MemoryBound: 0
; FloatMode: 240
; IeeeMode: 1
; LDSByteSize: 0 bytes/workgroup (compile time only)
; SGPRBlocks: 2
; VGPRBlocks: 9
; NumSGPRsForWavesPerEU: 24
; NumVGPRsForWavesPerEU: 39
; Occupancy: 6
; WaveLimiterHint : 1
; COMPUTE_PGM_RSRC2:SCRATCH_EN: 0
; COMPUTE_PGM_RSRC2:USER_SGPR: 6
; COMPUTE_PGM_RSRC2:TRAP_HANDLER: 0
; COMPUTE_PGM_RSRC2:TGID_X_EN: 1
; COMPUTE_PGM_RSRC2:TGID_Y_EN: 0
; COMPUTE_PGM_RSRC2:TGID_Z_EN: 0
; COMPUTE_PGM_RSRC2:TIDIG_COMP_CNT: 0
	.section	.text._ZN9rocsparseL19gebsrmvn_2xn_kernelILj128ELj7ELj8EfEEvi20rocsparse_direction_NS_24const_host_device_scalarIT2_EEPKiS6_PKS3_S8_S4_PS3_21rocsparse_index_base_b,"axG",@progbits,_ZN9rocsparseL19gebsrmvn_2xn_kernelILj128ELj7ELj8EfEEvi20rocsparse_direction_NS_24const_host_device_scalarIT2_EEPKiS6_PKS3_S8_S4_PS3_21rocsparse_index_base_b,comdat
	.globl	_ZN9rocsparseL19gebsrmvn_2xn_kernelILj128ELj7ELj8EfEEvi20rocsparse_direction_NS_24const_host_device_scalarIT2_EEPKiS6_PKS3_S8_S4_PS3_21rocsparse_index_base_b ; -- Begin function _ZN9rocsparseL19gebsrmvn_2xn_kernelILj128ELj7ELj8EfEEvi20rocsparse_direction_NS_24const_host_device_scalarIT2_EEPKiS6_PKS3_S8_S4_PS3_21rocsparse_index_base_b
	.p2align	8
	.type	_ZN9rocsparseL19gebsrmvn_2xn_kernelILj128ELj7ELj8EfEEvi20rocsparse_direction_NS_24const_host_device_scalarIT2_EEPKiS6_PKS3_S8_S4_PS3_21rocsparse_index_base_b,@function
_ZN9rocsparseL19gebsrmvn_2xn_kernelILj128ELj7ELj8EfEEvi20rocsparse_direction_NS_24const_host_device_scalarIT2_EEPKiS6_PKS3_S8_S4_PS3_21rocsparse_index_base_b: ; @_ZN9rocsparseL19gebsrmvn_2xn_kernelILj128ELj7ELj8EfEEvi20rocsparse_direction_NS_24const_host_device_scalarIT2_EEPKiS6_PKS3_S8_S4_PS3_21rocsparse_index_base_b
; %bb.0:
	s_load_dwordx2 s[18:19], s[4:5], 0x40
	s_load_dwordx2 s[16:17], s[4:5], 0x8
	;; [unrolled: 1-line block ×3, first 2 shown]
	s_waitcnt lgkmcnt(0)
	s_bitcmp1_b32 s19, 0
	s_cselect_b64 s[8:9], -1, 0
	s_xor_b64 s[0:1], s[8:9], -1
	s_and_b64 vcc, exec, s[8:9]
	s_cbranch_vccnz .LBB26_2
; %bb.1:
	s_load_dword s16, s[16:17], 0x0
.LBB26_2:
	s_andn2_b64 vcc, exec, s[0:1]
	s_cbranch_vccnz .LBB26_4
; %bb.3:
	s_load_dword s2, s[2:3], 0x0
.LBB26_4:
	s_waitcnt lgkmcnt(0)
	v_cmp_eq_f32_e64 s[0:1], s16, 0
	v_cmp_eq_f32_e64 s[8:9], s2, 1.0
	s_and_b64 s[0:1], s[0:1], s[8:9]
	s_and_b64 vcc, exec, s[0:1]
	s_cbranch_vccnz .LBB26_22
; %bb.5:
	s_load_dwordx2 s[0:1], s[4:5], 0x0
	v_lshrrev_b32_e32 v1, 3, v0
	v_lshl_or_b32 v1, s6, 4, v1
	s_waitcnt lgkmcnt(0)
	v_cmp_gt_i32_e32 vcc, s0, v1
	s_and_saveexec_b64 s[6:7], vcc
	s_cbranch_execz .LBB26_22
; %bb.6:
	s_load_dwordx8 s[8:15], s[4:5], 0x10
	v_ashrrev_i32_e32 v2, 31, v1
	v_lshlrev_b64 v[2:3], 2, v[1:2]
	v_and_b32_e32 v0, 7, v0
	s_cmp_lg_u32 s1, 0
	s_waitcnt lgkmcnt(0)
	v_mov_b32_e32 v4, s9
	v_add_co_u32_e32 v2, vcc, s8, v2
	v_addc_co_u32_e32 v3, vcc, v4, v3, vcc
	global_load_dwordx2 v[2:3], v[2:3], off
	s_waitcnt vmcnt(0)
	v_subrev_u32_e32 v2, s18, v2
	v_subrev_u32_e32 v9, s18, v3
	v_add_u32_e32 v2, v2, v0
	v_cmp_lt_i32_e64 s[0:1], v2, v9
	s_cbranch_scc0 .LBB26_12
; %bb.7:
	v_mov_b32_e32 v10, 0
	v_mov_b32_e32 v11, 0
	s_and_saveexec_b64 s[6:7], s[0:1]
	s_cbranch_execz .LBB26_11
; %bb.8:
	v_mad_u64_u32 v[3:4], s[8:9], v2, 14, 12
	v_mov_b32_e32 v6, 0
	s_mov_b64 s[8:9], 0
	v_mov_b32_e32 v12, s11
	v_mov_b32_e32 v13, s13
	v_mov_b32_e32 v14, s15
	v_mov_b32_e32 v7, v2
	v_mov_b32_e32 v10, 0
	v_mov_b32_e32 v11, 0
.LBB26_9:                               ; =>This Inner Loop Header: Depth=1
	v_ashrrev_i32_e32 v8, 31, v7
	v_lshlrev_b64 v[17:18], 2, v[7:8]
	v_add_u32_e32 v5, -12, v3
	v_add_co_u32_e32 v17, vcc, s10, v17
	v_addc_co_u32_e32 v18, vcc, v12, v18, vcc
	global_load_dword v8, v[17:18], off
	v_lshlrev_b64 v[19:20], 2, v[5:6]
	v_mov_b32_e32 v4, v6
	v_lshlrev_b64 v[21:22], 2, v[3:4]
	v_add_co_u32_e32 v17, vcc, s12, v19
	v_add_u32_e32 v5, -10, v3
	v_addc_co_u32_e32 v18, vcc, v13, v20, vcc
	v_lshlrev_b64 v[4:5], 2, v[5:6]
	v_add_co_u32_e32 v19, vcc, s12, v21
	v_addc_co_u32_e32 v20, vcc, v13, v22, vcc
	v_add_co_u32_e32 v4, vcc, s12, v4
	global_load_dwordx2 v[17:18], v[17:18], off
	v_addc_co_u32_e32 v5, vcc, v13, v5, vcc
	global_load_dwordx2 v[21:22], v[19:20], off
	global_load_dwordx2 v[23:24], v[4:5], off
	v_mov_b32_e32 v16, v6
	v_add_u32_e32 v7, 8, v7
	s_waitcnt vmcnt(3)
	v_subrev_u32_e32 v4, s18, v8
	v_mul_lo_u32 v15, v4, 7
	v_lshlrev_b64 v[19:20], 2, v[15:16]
	v_add_u32_e32 v5, 1, v15
	v_lshlrev_b64 v[25:26], 2, v[5:6]
	v_add_co_u32_e32 v19, vcc, s14, v19
	v_add_u32_e32 v5, -8, v3
	v_addc_co_u32_e32 v20, vcc, v14, v20, vcc
	v_lshlrev_b64 v[27:28], 2, v[5:6]
	global_load_dword v8, v[19:20], off
	v_add_co_u32_e32 v19, vcc, s14, v25
	v_add_u32_e32 v5, 2, v15
	v_addc_co_u32_e32 v20, vcc, v14, v26, vcc
	v_lshlrev_b64 v[25:26], 2, v[5:6]
	global_load_dword v35, v[19:20], off
	v_add_co_u32_e32 v19, vcc, s12, v27
	v_add_u32_e32 v5, -6, v3
	v_addc_co_u32_e32 v20, vcc, v13, v28, vcc
	v_lshlrev_b64 v[27:28], 2, v[5:6]
	v_add_co_u32_e32 v25, vcc, s14, v25
	v_add_u32_e32 v5, 3, v15
	v_addc_co_u32_e32 v26, vcc, v14, v26, vcc
	v_lshlrev_b64 v[29:30], 2, v[5:6]
	global_load_dword v36, v[25:26], off
	v_add_co_u32_e32 v25, vcc, s12, v27
	v_add_u32_e32 v5, -4, v3
	v_addc_co_u32_e32 v26, vcc, v13, v28, vcc
	v_lshlrev_b64 v[27:28], 2, v[5:6]
	v_add_co_u32_e32 v29, vcc, s14, v29
	v_add_u32_e32 v5, 4, v15
	v_addc_co_u32_e32 v30, vcc, v14, v30, vcc
	v_lshlrev_b64 v[31:32], 2, v[5:6]
	v_add_co_u32_e32 v27, vcc, s12, v27
	v_addc_co_u32_e32 v28, vcc, v13, v28, vcc
	v_add_co_u32_e32 v31, vcc, s14, v31
	v_add_u32_e32 v5, -2, v3
	v_addc_co_u32_e32 v32, vcc, v14, v32, vcc
	global_load_dword v37, v[29:30], off
	v_add_u32_e32 v3, 0x70, v3
	global_load_dword v31, v[31:32], off
	v_lshlrev_b64 v[29:30], 2, v[5:6]
	v_add_u32_e32 v5, 5, v15
	v_lshlrev_b64 v[33:34], 2, v[5:6]
	v_add_u32_e32 v5, 6, v15
	v_add_co_u32_e32 v15, vcc, s12, v29
	v_addc_co_u32_e32 v16, vcc, v13, v30, vcc
	global_load_dwordx2 v[19:20], v[19:20], off
	v_lshlrev_b64 v[4:5], 2, v[5:6]
	v_add_co_u32_e32 v29, vcc, s14, v33
	global_load_dwordx2 v[25:26], v[25:26], off
	v_addc_co_u32_e32 v30, vcc, v14, v34, vcc
	global_load_dwordx2 v[27:28], v[27:28], off
	v_add_co_u32_e32 v4, vcc, s14, v4
	global_load_dwordx2 v[15:16], v[15:16], off
	v_addc_co_u32_e32 v5, vcc, v14, v5, vcc
	global_load_dword v29, v[29:30], off
	v_cmp_ge_i32_e32 vcc, v7, v9
	global_load_dword v4, v[4:5], off
	s_or_b64 s[8:9], vcc, s[8:9]
	s_waitcnt vmcnt(10)
	v_fmac_f32_e32 v10, v17, v8
	v_fmac_f32_e32 v11, v18, v8
	s_waitcnt vmcnt(9)
	v_fmac_f32_e32 v10, v23, v35
	v_fmac_f32_e32 v11, v24, v35
	;; [unrolled: 3-line block ×7, first 2 shown]
	s_andn2_b64 exec, exec, s[8:9]
	s_cbranch_execnz .LBB26_9
; %bb.10:
	s_or_b64 exec, exec, s[8:9]
.LBB26_11:
	s_or_b64 exec, exec, s[6:7]
	s_cbranch_execz .LBB26_13
	s_branch .LBB26_18
.LBB26_12:
                                        ; implicit-def: $vgpr10
                                        ; implicit-def: $vgpr11
.LBB26_13:
	v_mov_b32_e32 v10, 0
	v_mov_b32_e32 v11, 0
	s_and_saveexec_b64 s[6:7], s[0:1]
	s_cbranch_execz .LBB26_17
; %bb.14:
	v_mad_u64_u32 v[4:5], s[0:1], v2, 14, 13
	v_mov_b32_e32 v7, 0
	s_mov_b64 s[0:1], 0
	v_mov_b32_e32 v8, s11
	v_mov_b32_e32 v12, s13
	;; [unrolled: 1-line block ×5, first 2 shown]
.LBB26_15:                              ; =>This Inner Loop Header: Depth=1
	v_ashrrev_i32_e32 v3, 31, v2
	v_lshlrev_b64 v[17:18], 2, v[2:3]
	v_add_u32_e32 v6, -13, v4
	v_lshlrev_b64 v[19:20], 2, v[6:7]
	v_add_co_u32_e32 v17, vcc, s10, v17
	v_add_u32_e32 v14, -6, v4
	v_mov_b32_e32 v15, v7
	v_addc_co_u32_e32 v18, vcc, v8, v18, vcc
	v_lshlrev_b64 v[14:15], 2, v[14:15]
	v_add_co_u32_e32 v19, vcc, s12, v19
	v_mov_b32_e32 v5, v7
	v_addc_co_u32_e32 v20, vcc, v12, v20, vcc
	v_lshlrev_b64 v[5:6], 2, v[4:5]
	v_add_co_u32_e32 v14, vcc, s12, v14
	v_addc_co_u32_e32 v15, vcc, v12, v15, vcc
	v_add_co_u32_e32 v5, vcc, s12, v5
	v_addc_co_u32_e32 v6, vcc, v12, v6, vcc
	global_load_dword v3, v[17:18], off
	global_load_dword v27, v[14:15], off
	;; [unrolled: 1-line block ×3, first 2 shown]
	global_load_dwordx2 v[21:22], v[19:20], off
	v_mov_b32_e32 v16, v7
	v_add_u32_e32 v2, 8, v2
	s_waitcnt vmcnt(3)
	v_subrev_u32_e32 v3, s18, v3
	v_mul_lo_u32 v15, v3, 7
	v_lshlrev_b64 v[16:17], 2, v[15:16]
	v_add_u32_e32 v6, 1, v15
	v_lshlrev_b64 v[18:19], 2, v[6:7]
	v_add_co_u32_e32 v16, vcc, s14, v16
	v_add_u32_e32 v6, -5, v4
	v_addc_co_u32_e32 v17, vcc, v13, v17, vcc
	v_lshlrev_b64 v[23:24], 2, v[6:7]
	v_add_co_u32_e32 v18, vcc, s14, v18
	v_add_u32_e32 v6, -11, v4
	v_addc_co_u32_e32 v19, vcc, v13, v19, vcc
	v_lshlrev_b64 v[25:26], 2, v[6:7]
	v_add_co_u32_e32 v23, vcc, s12, v23
	v_add_u32_e32 v6, 2, v15
	v_addc_co_u32_e32 v24, vcc, v12, v24, vcc
	global_load_dword v3, v[16:17], off
	global_load_dword v20, v[18:19], off
	v_lshlrev_b64 v[16:17], 2, v[6:7]
	v_add_co_u32_e32 v25, vcc, s12, v25
	v_add_u32_e32 v6, -4, v4
	v_addc_co_u32_e32 v26, vcc, v12, v26, vcc
	v_lshlrev_b64 v[18:19], 2, v[6:7]
	v_add_co_u32_e32 v16, vcc, s14, v16
	v_addc_co_u32_e32 v17, vcc, v13, v17, vcc
	v_add_co_u32_e32 v18, vcc, s12, v18
	v_add_u32_e32 v6, -10, v4
	v_addc_co_u32_e32 v19, vcc, v12, v19, vcc
	global_load_dword v29, v[23:24], off
	global_load_dword v30, v[25:26], off
	;; [unrolled: 1-line block ×3, first 2 shown]
	v_lshlrev_b64 v[23:24], 2, v[6:7]
	v_add_u32_e32 v6, 3, v15
	v_lshlrev_b64 v[25:26], 2, v[6:7]
	global_load_dword v31, v[16:17], off
	v_add_co_u32_e32 v16, vcc, s12, v23
	v_add_u32_e32 v6, -3, v4
	v_addc_co_u32_e32 v17, vcc, v12, v24, vcc
	v_lshlrev_b64 v[23:24], 2, v[6:7]
	global_load_dword v33, v[16:17], off
	v_add_co_u32_e32 v18, vcc, s14, v25
	v_add_u32_e32 v6, -9, v4
	v_addc_co_u32_e32 v19, vcc, v13, v26, vcc
	v_lshlrev_b64 v[25:26], 2, v[6:7]
	v_add_co_u32_e32 v16, vcc, s12, v23
	v_add_u32_e32 v6, 4, v15
	v_addc_co_u32_e32 v17, vcc, v12, v24, vcc
	v_lshlrev_b64 v[23:24], 2, v[6:7]
	global_load_dword v34, v[18:19], off
	v_add_co_u32_e32 v18, vcc, s12, v25
	v_add_u32_e32 v6, -2, v4
	v_addc_co_u32_e32 v19, vcc, v12, v26, vcc
	v_lshlrev_b64 v[25:26], 2, v[6:7]
	global_load_dword v35, v[16:17], off
	v_add_co_u32_e32 v16, vcc, s14, v23
	v_add_u32_e32 v6, -8, v4
	v_addc_co_u32_e32 v17, vcc, v13, v24, vcc
	v_lshlrev_b64 v[23:24], 2, v[6:7]
	global_load_dword v36, v[18:19], off
	v_add_co_u32_e32 v18, vcc, s12, v25
	v_add_u32_e32 v6, 5, v15
	v_addc_co_u32_e32 v19, vcc, v12, v26, vcc
	v_lshlrev_b64 v[25:26], 2, v[6:7]
	global_load_dword v37, v[16:17], off
	v_add_co_u32_e32 v16, vcc, s12, v23
	v_add_u32_e32 v6, -1, v4
	v_addc_co_u32_e32 v17, vcc, v12, v24, vcc
	v_lshlrev_b64 v[23:24], 2, v[6:7]
	v_add_u32_e32 v6, -7, v4
	v_add_co_u32_e32 v14, vcc, s14, v25
	global_load_dword v38, v[18:19], off
	global_load_dword v25, v[16:17], off
	v_lshlrev_b64 v[18:19], 2, v[6:7]
	v_add_u32_e32 v6, 6, v15
	v_addc_co_u32_e32 v15, vcc, v13, v26, vcc
	v_add_co_u32_e32 v16, vcc, s12, v23
	v_addc_co_u32_e32 v17, vcc, v12, v24, vcc
	v_lshlrev_b64 v[5:6], 2, v[6:7]
	global_load_dword v23, v[14:15], off
	v_add_co_u32_e32 v14, vcc, s12, v18
	v_addc_co_u32_e32 v15, vcc, v12, v19, vcc
	global_load_dword v16, v[16:17], off
	v_add_co_u32_e32 v5, vcc, s14, v5
	v_addc_co_u32_e32 v6, vcc, v13, v6, vcc
	global_load_dword v17, v[14:15], off
	global_load_dword v18, v[5:6], off
	s_waitcnt vmcnt(16)
	v_fmac_f32_e32 v11, v27, v3
	v_fmac_f32_e32 v10, v21, v3
	s_waitcnt vmcnt(15)
	v_fmac_f32_e32 v10, v22, v20
	s_waitcnt vmcnt(14)
	v_fmac_f32_e32 v11, v29, v20
	v_cmp_ge_i32_e32 vcc, v2, v9
	s_or_b64 s[0:1], vcc, s[0:1]
	v_add_u32_e32 v4, 0x70, v4
	s_waitcnt vmcnt(11)
	v_fmac_f32_e32 v10, v30, v31
	v_fmac_f32_e32 v11, v32, v31
	s_waitcnt vmcnt(9)
	v_fmac_f32_e32 v10, v33, v34
	s_waitcnt vmcnt(8)
	;; [unrolled: 2-line block ×7, first 2 shown]
	v_fmac_f32_e32 v10, v17, v18
	v_fmac_f32_e32 v11, v28, v18
	s_andn2_b64 exec, exec, s[0:1]
	s_cbranch_execnz .LBB26_15
; %bb.16:
	s_or_b64 exec, exec, s[0:1]
.LBB26_17:
	s_or_b64 exec, exec, s[6:7]
.LBB26_18:
	v_mov_b32_dpp v2, v10 row_shr:1 row_mask:0xf bank_mask:0xf
	v_mov_b32_dpp v4, v11 row_shr:1 row_mask:0xf bank_mask:0xf
	v_add_f32_e32 v2, v10, v2
	v_add_f32_e32 v4, v11, v4
	v_cmp_eq_u32_e32 vcc, 7, v0
	v_mov_b32_dpp v3, v2 row_shr:2 row_mask:0xf bank_mask:0xf
	v_mov_b32_dpp v5, v4 row_shr:2 row_mask:0xf bank_mask:0xf
	v_add_f32_e32 v2, v2, v3
	v_add_f32_e32 v4, v4, v5
	s_nop 0
	v_mov_b32_dpp v3, v2 row_shr:4 row_mask:0xf bank_mask:0xe
	v_mov_b32_dpp v5, v4 row_shr:4 row_mask:0xf bank_mask:0xe
	s_and_b64 exec, exec, vcc
	s_cbranch_execz .LBB26_22
; %bb.19:
	s_load_dwordx2 s[0:1], s[4:5], 0x38
	v_add_f32_e32 v0, v2, v3
	v_add_f32_e32 v3, v4, v5
	v_cmp_eq_f32_e64 s[4:5], s2, 0
	s_and_b64 vcc, exec, s[4:5]
	v_mul_f32_e32 v2, s16, v0
	v_mul_f32_e32 v3, s16, v3
	v_lshlrev_b32_e32 v0, 1, v1
	s_cbranch_vccz .LBB26_23
; %bb.20:
	v_ashrrev_i32_e32 v1, 31, v0
	v_lshlrev_b64 v[4:5], 2, v[0:1]
	s_waitcnt lgkmcnt(0)
	v_mov_b32_e32 v1, s1
	v_add_co_u32_e32 v4, vcc, s0, v4
	v_addc_co_u32_e32 v5, vcc, v1, v5, vcc
	global_store_dwordx2 v[4:5], v[2:3], off
	s_cbranch_execnz .LBB26_22
.LBB26_21:
	v_ashrrev_i32_e32 v1, 31, v0
	v_lshlrev_b64 v[0:1], 2, v[0:1]
	s_waitcnt lgkmcnt(0)
	v_mov_b32_e32 v4, s1
	v_add_co_u32_e32 v0, vcc, s0, v0
	v_addc_co_u32_e32 v1, vcc, v4, v1, vcc
	global_load_dwordx2 v[4:5], v[0:1], off
	s_waitcnt vmcnt(0)
	v_fmac_f32_e32 v2, s2, v4
	v_fmac_f32_e32 v3, s2, v5
	global_store_dwordx2 v[0:1], v[2:3], off
.LBB26_22:
	s_endpgm
.LBB26_23:
	s_branch .LBB26_21
	.section	.rodata,"a",@progbits
	.p2align	6, 0x0
	.amdhsa_kernel _ZN9rocsparseL19gebsrmvn_2xn_kernelILj128ELj7ELj8EfEEvi20rocsparse_direction_NS_24const_host_device_scalarIT2_EEPKiS6_PKS3_S8_S4_PS3_21rocsparse_index_base_b
		.amdhsa_group_segment_fixed_size 0
		.amdhsa_private_segment_fixed_size 0
		.amdhsa_kernarg_size 72
		.amdhsa_user_sgpr_count 6
		.amdhsa_user_sgpr_private_segment_buffer 1
		.amdhsa_user_sgpr_dispatch_ptr 0
		.amdhsa_user_sgpr_queue_ptr 0
		.amdhsa_user_sgpr_kernarg_segment_ptr 1
		.amdhsa_user_sgpr_dispatch_id 0
		.amdhsa_user_sgpr_flat_scratch_init 0
		.amdhsa_user_sgpr_private_segment_size 0
		.amdhsa_uses_dynamic_stack 0
		.amdhsa_system_sgpr_private_segment_wavefront_offset 0
		.amdhsa_system_sgpr_workgroup_id_x 1
		.amdhsa_system_sgpr_workgroup_id_y 0
		.amdhsa_system_sgpr_workgroup_id_z 0
		.amdhsa_system_sgpr_workgroup_info 0
		.amdhsa_system_vgpr_workitem_id 0
		.amdhsa_next_free_vgpr 39
		.amdhsa_next_free_sgpr 20
		.amdhsa_reserve_vcc 1
		.amdhsa_reserve_flat_scratch 0
		.amdhsa_float_round_mode_32 0
		.amdhsa_float_round_mode_16_64 0
		.amdhsa_float_denorm_mode_32 3
		.amdhsa_float_denorm_mode_16_64 3
		.amdhsa_dx10_clamp 1
		.amdhsa_ieee_mode 1
		.amdhsa_fp16_overflow 0
		.amdhsa_exception_fp_ieee_invalid_op 0
		.amdhsa_exception_fp_denorm_src 0
		.amdhsa_exception_fp_ieee_div_zero 0
		.amdhsa_exception_fp_ieee_overflow 0
		.amdhsa_exception_fp_ieee_underflow 0
		.amdhsa_exception_fp_ieee_inexact 0
		.amdhsa_exception_int_div_zero 0
	.end_amdhsa_kernel
	.section	.text._ZN9rocsparseL19gebsrmvn_2xn_kernelILj128ELj7ELj8EfEEvi20rocsparse_direction_NS_24const_host_device_scalarIT2_EEPKiS6_PKS3_S8_S4_PS3_21rocsparse_index_base_b,"axG",@progbits,_ZN9rocsparseL19gebsrmvn_2xn_kernelILj128ELj7ELj8EfEEvi20rocsparse_direction_NS_24const_host_device_scalarIT2_EEPKiS6_PKS3_S8_S4_PS3_21rocsparse_index_base_b,comdat
.Lfunc_end26:
	.size	_ZN9rocsparseL19gebsrmvn_2xn_kernelILj128ELj7ELj8EfEEvi20rocsparse_direction_NS_24const_host_device_scalarIT2_EEPKiS6_PKS3_S8_S4_PS3_21rocsparse_index_base_b, .Lfunc_end26-_ZN9rocsparseL19gebsrmvn_2xn_kernelILj128ELj7ELj8EfEEvi20rocsparse_direction_NS_24const_host_device_scalarIT2_EEPKiS6_PKS3_S8_S4_PS3_21rocsparse_index_base_b
                                        ; -- End function
	.set _ZN9rocsparseL19gebsrmvn_2xn_kernelILj128ELj7ELj8EfEEvi20rocsparse_direction_NS_24const_host_device_scalarIT2_EEPKiS6_PKS3_S8_S4_PS3_21rocsparse_index_base_b.num_vgpr, 39
	.set _ZN9rocsparseL19gebsrmvn_2xn_kernelILj128ELj7ELj8EfEEvi20rocsparse_direction_NS_24const_host_device_scalarIT2_EEPKiS6_PKS3_S8_S4_PS3_21rocsparse_index_base_b.num_agpr, 0
	.set _ZN9rocsparseL19gebsrmvn_2xn_kernelILj128ELj7ELj8EfEEvi20rocsparse_direction_NS_24const_host_device_scalarIT2_EEPKiS6_PKS3_S8_S4_PS3_21rocsparse_index_base_b.numbered_sgpr, 20
	.set _ZN9rocsparseL19gebsrmvn_2xn_kernelILj128ELj7ELj8EfEEvi20rocsparse_direction_NS_24const_host_device_scalarIT2_EEPKiS6_PKS3_S8_S4_PS3_21rocsparse_index_base_b.num_named_barrier, 0
	.set _ZN9rocsparseL19gebsrmvn_2xn_kernelILj128ELj7ELj8EfEEvi20rocsparse_direction_NS_24const_host_device_scalarIT2_EEPKiS6_PKS3_S8_S4_PS3_21rocsparse_index_base_b.private_seg_size, 0
	.set _ZN9rocsparseL19gebsrmvn_2xn_kernelILj128ELj7ELj8EfEEvi20rocsparse_direction_NS_24const_host_device_scalarIT2_EEPKiS6_PKS3_S8_S4_PS3_21rocsparse_index_base_b.uses_vcc, 1
	.set _ZN9rocsparseL19gebsrmvn_2xn_kernelILj128ELj7ELj8EfEEvi20rocsparse_direction_NS_24const_host_device_scalarIT2_EEPKiS6_PKS3_S8_S4_PS3_21rocsparse_index_base_b.uses_flat_scratch, 0
	.set _ZN9rocsparseL19gebsrmvn_2xn_kernelILj128ELj7ELj8EfEEvi20rocsparse_direction_NS_24const_host_device_scalarIT2_EEPKiS6_PKS3_S8_S4_PS3_21rocsparse_index_base_b.has_dyn_sized_stack, 0
	.set _ZN9rocsparseL19gebsrmvn_2xn_kernelILj128ELj7ELj8EfEEvi20rocsparse_direction_NS_24const_host_device_scalarIT2_EEPKiS6_PKS3_S8_S4_PS3_21rocsparse_index_base_b.has_recursion, 0
	.set _ZN9rocsparseL19gebsrmvn_2xn_kernelILj128ELj7ELj8EfEEvi20rocsparse_direction_NS_24const_host_device_scalarIT2_EEPKiS6_PKS3_S8_S4_PS3_21rocsparse_index_base_b.has_indirect_call, 0
	.section	.AMDGPU.csdata,"",@progbits
; Kernel info:
; codeLenInByte = 1864
; TotalNumSgprs: 24
; NumVgprs: 39
; ScratchSize: 0
; MemoryBound: 0
; FloatMode: 240
; IeeeMode: 1
; LDSByteSize: 0 bytes/workgroup (compile time only)
; SGPRBlocks: 2
; VGPRBlocks: 9
; NumSGPRsForWavesPerEU: 24
; NumVGPRsForWavesPerEU: 39
; Occupancy: 6
; WaveLimiterHint : 1
; COMPUTE_PGM_RSRC2:SCRATCH_EN: 0
; COMPUTE_PGM_RSRC2:USER_SGPR: 6
; COMPUTE_PGM_RSRC2:TRAP_HANDLER: 0
; COMPUTE_PGM_RSRC2:TGID_X_EN: 1
; COMPUTE_PGM_RSRC2:TGID_Y_EN: 0
; COMPUTE_PGM_RSRC2:TGID_Z_EN: 0
; COMPUTE_PGM_RSRC2:TIDIG_COMP_CNT: 0
	.section	.text._ZN9rocsparseL19gebsrmvn_2xn_kernelILj128ELj7ELj16EfEEvi20rocsparse_direction_NS_24const_host_device_scalarIT2_EEPKiS6_PKS3_S8_S4_PS3_21rocsparse_index_base_b,"axG",@progbits,_ZN9rocsparseL19gebsrmvn_2xn_kernelILj128ELj7ELj16EfEEvi20rocsparse_direction_NS_24const_host_device_scalarIT2_EEPKiS6_PKS3_S8_S4_PS3_21rocsparse_index_base_b,comdat
	.globl	_ZN9rocsparseL19gebsrmvn_2xn_kernelILj128ELj7ELj16EfEEvi20rocsparse_direction_NS_24const_host_device_scalarIT2_EEPKiS6_PKS3_S8_S4_PS3_21rocsparse_index_base_b ; -- Begin function _ZN9rocsparseL19gebsrmvn_2xn_kernelILj128ELj7ELj16EfEEvi20rocsparse_direction_NS_24const_host_device_scalarIT2_EEPKiS6_PKS3_S8_S4_PS3_21rocsparse_index_base_b
	.p2align	8
	.type	_ZN9rocsparseL19gebsrmvn_2xn_kernelILj128ELj7ELj16EfEEvi20rocsparse_direction_NS_24const_host_device_scalarIT2_EEPKiS6_PKS3_S8_S4_PS3_21rocsparse_index_base_b,@function
_ZN9rocsparseL19gebsrmvn_2xn_kernelILj128ELj7ELj16EfEEvi20rocsparse_direction_NS_24const_host_device_scalarIT2_EEPKiS6_PKS3_S8_S4_PS3_21rocsparse_index_base_b: ; @_ZN9rocsparseL19gebsrmvn_2xn_kernelILj128ELj7ELj16EfEEvi20rocsparse_direction_NS_24const_host_device_scalarIT2_EEPKiS6_PKS3_S8_S4_PS3_21rocsparse_index_base_b
; %bb.0:
	s_load_dwordx2 s[18:19], s[4:5], 0x40
	s_load_dwordx2 s[16:17], s[4:5], 0x8
	;; [unrolled: 1-line block ×3, first 2 shown]
	s_waitcnt lgkmcnt(0)
	s_bitcmp1_b32 s19, 0
	s_cselect_b64 s[8:9], -1, 0
	s_xor_b64 s[0:1], s[8:9], -1
	s_and_b64 vcc, exec, s[8:9]
	s_cbranch_vccnz .LBB27_2
; %bb.1:
	s_load_dword s16, s[16:17], 0x0
.LBB27_2:
	s_andn2_b64 vcc, exec, s[0:1]
	s_cbranch_vccnz .LBB27_4
; %bb.3:
	s_load_dword s2, s[2:3], 0x0
.LBB27_4:
	s_waitcnt lgkmcnt(0)
	v_cmp_eq_f32_e64 s[0:1], s16, 0
	v_cmp_eq_f32_e64 s[8:9], s2, 1.0
	s_and_b64 s[0:1], s[0:1], s[8:9]
	s_and_b64 vcc, exec, s[0:1]
	s_cbranch_vccnz .LBB27_22
; %bb.5:
	s_load_dwordx2 s[0:1], s[4:5], 0x0
	v_lshrrev_b32_e32 v1, 4, v0
	v_lshl_or_b32 v1, s6, 3, v1
	s_waitcnt lgkmcnt(0)
	v_cmp_gt_i32_e32 vcc, s0, v1
	s_and_saveexec_b64 s[6:7], vcc
	s_cbranch_execz .LBB27_22
; %bb.6:
	s_load_dwordx8 s[8:15], s[4:5], 0x10
	v_ashrrev_i32_e32 v2, 31, v1
	v_lshlrev_b64 v[2:3], 2, v[1:2]
	v_and_b32_e32 v0, 15, v0
	s_cmp_lg_u32 s1, 0
	s_waitcnt lgkmcnt(0)
	v_mov_b32_e32 v4, s9
	v_add_co_u32_e32 v2, vcc, s8, v2
	v_addc_co_u32_e32 v3, vcc, v4, v3, vcc
	global_load_dwordx2 v[2:3], v[2:3], off
	s_waitcnt vmcnt(0)
	v_subrev_u32_e32 v2, s18, v2
	v_subrev_u32_e32 v9, s18, v3
	v_add_u32_e32 v2, v2, v0
	v_cmp_lt_i32_e64 s[0:1], v2, v9
	s_cbranch_scc0 .LBB27_12
; %bb.7:
	v_mov_b32_e32 v10, 0
	v_mov_b32_e32 v11, 0
	s_and_saveexec_b64 s[6:7], s[0:1]
	s_cbranch_execz .LBB27_11
; %bb.8:
	v_mad_u64_u32 v[3:4], s[8:9], v2, 14, 12
	v_mov_b32_e32 v6, 0
	s_mov_b64 s[8:9], 0
	v_mov_b32_e32 v12, s11
	v_mov_b32_e32 v13, s13
	;; [unrolled: 1-line block ×6, first 2 shown]
.LBB27_9:                               ; =>This Inner Loop Header: Depth=1
	v_ashrrev_i32_e32 v8, 31, v7
	v_lshlrev_b64 v[17:18], 2, v[7:8]
	v_add_u32_e32 v5, -12, v3
	v_add_co_u32_e32 v17, vcc, s10, v17
	v_addc_co_u32_e32 v18, vcc, v12, v18, vcc
	global_load_dword v8, v[17:18], off
	v_lshlrev_b64 v[19:20], 2, v[5:6]
	v_mov_b32_e32 v4, v6
	v_lshlrev_b64 v[21:22], 2, v[3:4]
	v_add_co_u32_e32 v17, vcc, s12, v19
	v_add_u32_e32 v5, -10, v3
	v_addc_co_u32_e32 v18, vcc, v13, v20, vcc
	v_lshlrev_b64 v[4:5], 2, v[5:6]
	v_add_co_u32_e32 v19, vcc, s12, v21
	v_addc_co_u32_e32 v20, vcc, v13, v22, vcc
	v_add_co_u32_e32 v4, vcc, s12, v4
	global_load_dwordx2 v[17:18], v[17:18], off
	v_addc_co_u32_e32 v5, vcc, v13, v5, vcc
	global_load_dwordx2 v[21:22], v[19:20], off
	global_load_dwordx2 v[23:24], v[4:5], off
	v_mov_b32_e32 v16, v6
	v_add_u32_e32 v7, 16, v7
	s_waitcnt vmcnt(3)
	v_subrev_u32_e32 v4, s18, v8
	v_mul_lo_u32 v15, v4, 7
	v_lshlrev_b64 v[19:20], 2, v[15:16]
	v_add_u32_e32 v5, 1, v15
	v_lshlrev_b64 v[25:26], 2, v[5:6]
	v_add_co_u32_e32 v19, vcc, s14, v19
	v_add_u32_e32 v5, -8, v3
	v_addc_co_u32_e32 v20, vcc, v14, v20, vcc
	v_lshlrev_b64 v[27:28], 2, v[5:6]
	global_load_dword v8, v[19:20], off
	v_add_co_u32_e32 v19, vcc, s14, v25
	v_add_u32_e32 v5, 2, v15
	v_addc_co_u32_e32 v20, vcc, v14, v26, vcc
	v_lshlrev_b64 v[25:26], 2, v[5:6]
	global_load_dword v35, v[19:20], off
	v_add_co_u32_e32 v19, vcc, s12, v27
	v_add_u32_e32 v5, -6, v3
	v_addc_co_u32_e32 v20, vcc, v13, v28, vcc
	v_lshlrev_b64 v[27:28], 2, v[5:6]
	v_add_co_u32_e32 v25, vcc, s14, v25
	v_add_u32_e32 v5, 3, v15
	v_addc_co_u32_e32 v26, vcc, v14, v26, vcc
	v_lshlrev_b64 v[29:30], 2, v[5:6]
	global_load_dword v36, v[25:26], off
	v_add_co_u32_e32 v25, vcc, s12, v27
	v_add_u32_e32 v5, -4, v3
	v_addc_co_u32_e32 v26, vcc, v13, v28, vcc
	v_lshlrev_b64 v[27:28], 2, v[5:6]
	v_add_co_u32_e32 v29, vcc, s14, v29
	v_add_u32_e32 v5, 4, v15
	v_addc_co_u32_e32 v30, vcc, v14, v30, vcc
	v_lshlrev_b64 v[31:32], 2, v[5:6]
	v_add_co_u32_e32 v27, vcc, s12, v27
	v_addc_co_u32_e32 v28, vcc, v13, v28, vcc
	v_add_co_u32_e32 v31, vcc, s14, v31
	v_add_u32_e32 v5, -2, v3
	v_addc_co_u32_e32 v32, vcc, v14, v32, vcc
	global_load_dword v37, v[29:30], off
	v_add_u32_e32 v3, 0xe0, v3
	global_load_dword v31, v[31:32], off
	v_lshlrev_b64 v[29:30], 2, v[5:6]
	v_add_u32_e32 v5, 5, v15
	v_lshlrev_b64 v[33:34], 2, v[5:6]
	v_add_u32_e32 v5, 6, v15
	v_add_co_u32_e32 v15, vcc, s12, v29
	v_addc_co_u32_e32 v16, vcc, v13, v30, vcc
	global_load_dwordx2 v[19:20], v[19:20], off
	v_lshlrev_b64 v[4:5], 2, v[5:6]
	v_add_co_u32_e32 v29, vcc, s14, v33
	global_load_dwordx2 v[25:26], v[25:26], off
	v_addc_co_u32_e32 v30, vcc, v14, v34, vcc
	global_load_dwordx2 v[27:28], v[27:28], off
	v_add_co_u32_e32 v4, vcc, s14, v4
	global_load_dwordx2 v[15:16], v[15:16], off
	v_addc_co_u32_e32 v5, vcc, v14, v5, vcc
	global_load_dword v29, v[29:30], off
	v_cmp_ge_i32_e32 vcc, v7, v9
	global_load_dword v4, v[4:5], off
	s_or_b64 s[8:9], vcc, s[8:9]
	s_waitcnt vmcnt(10)
	v_fmac_f32_e32 v10, v17, v8
	v_fmac_f32_e32 v11, v18, v8
	s_waitcnt vmcnt(9)
	v_fmac_f32_e32 v10, v23, v35
	v_fmac_f32_e32 v11, v24, v35
	;; [unrolled: 3-line block ×7, first 2 shown]
	s_andn2_b64 exec, exec, s[8:9]
	s_cbranch_execnz .LBB27_9
; %bb.10:
	s_or_b64 exec, exec, s[8:9]
.LBB27_11:
	s_or_b64 exec, exec, s[6:7]
	s_cbranch_execz .LBB27_13
	s_branch .LBB27_18
.LBB27_12:
                                        ; implicit-def: $vgpr10
                                        ; implicit-def: $vgpr11
.LBB27_13:
	v_mov_b32_e32 v10, 0
	v_mov_b32_e32 v11, 0
	s_and_saveexec_b64 s[6:7], s[0:1]
	s_cbranch_execz .LBB27_17
; %bb.14:
	v_mad_u64_u32 v[4:5], s[0:1], v2, 14, 13
	v_mov_b32_e32 v7, 0
	s_mov_b64 s[0:1], 0
	v_mov_b32_e32 v8, s11
	v_mov_b32_e32 v12, s13
	;; [unrolled: 1-line block ×5, first 2 shown]
.LBB27_15:                              ; =>This Inner Loop Header: Depth=1
	v_ashrrev_i32_e32 v3, 31, v2
	v_lshlrev_b64 v[17:18], 2, v[2:3]
	v_add_u32_e32 v6, -13, v4
	v_lshlrev_b64 v[19:20], 2, v[6:7]
	v_add_co_u32_e32 v17, vcc, s10, v17
	v_add_u32_e32 v14, -6, v4
	v_mov_b32_e32 v15, v7
	v_addc_co_u32_e32 v18, vcc, v8, v18, vcc
	v_lshlrev_b64 v[14:15], 2, v[14:15]
	v_add_co_u32_e32 v19, vcc, s12, v19
	v_mov_b32_e32 v5, v7
	v_addc_co_u32_e32 v20, vcc, v12, v20, vcc
	v_lshlrev_b64 v[5:6], 2, v[4:5]
	v_add_co_u32_e32 v14, vcc, s12, v14
	v_addc_co_u32_e32 v15, vcc, v12, v15, vcc
	v_add_co_u32_e32 v5, vcc, s12, v5
	v_addc_co_u32_e32 v6, vcc, v12, v6, vcc
	global_load_dword v3, v[17:18], off
	global_load_dword v27, v[14:15], off
	;; [unrolled: 1-line block ×3, first 2 shown]
	global_load_dwordx2 v[21:22], v[19:20], off
	v_mov_b32_e32 v16, v7
	v_add_u32_e32 v2, 16, v2
	s_waitcnt vmcnt(3)
	v_subrev_u32_e32 v3, s18, v3
	v_mul_lo_u32 v15, v3, 7
	v_lshlrev_b64 v[16:17], 2, v[15:16]
	v_add_u32_e32 v6, 1, v15
	v_lshlrev_b64 v[18:19], 2, v[6:7]
	v_add_co_u32_e32 v16, vcc, s14, v16
	v_add_u32_e32 v6, -5, v4
	v_addc_co_u32_e32 v17, vcc, v13, v17, vcc
	v_lshlrev_b64 v[23:24], 2, v[6:7]
	v_add_co_u32_e32 v18, vcc, s14, v18
	v_add_u32_e32 v6, -11, v4
	v_addc_co_u32_e32 v19, vcc, v13, v19, vcc
	v_lshlrev_b64 v[25:26], 2, v[6:7]
	v_add_co_u32_e32 v23, vcc, s12, v23
	v_add_u32_e32 v6, 2, v15
	v_addc_co_u32_e32 v24, vcc, v12, v24, vcc
	global_load_dword v3, v[16:17], off
	global_load_dword v20, v[18:19], off
	v_lshlrev_b64 v[16:17], 2, v[6:7]
	v_add_co_u32_e32 v25, vcc, s12, v25
	v_add_u32_e32 v6, -4, v4
	v_addc_co_u32_e32 v26, vcc, v12, v26, vcc
	v_lshlrev_b64 v[18:19], 2, v[6:7]
	v_add_co_u32_e32 v16, vcc, s14, v16
	v_addc_co_u32_e32 v17, vcc, v13, v17, vcc
	v_add_co_u32_e32 v18, vcc, s12, v18
	v_add_u32_e32 v6, -10, v4
	v_addc_co_u32_e32 v19, vcc, v12, v19, vcc
	global_load_dword v29, v[23:24], off
	global_load_dword v30, v[25:26], off
	;; [unrolled: 1-line block ×3, first 2 shown]
	v_lshlrev_b64 v[23:24], 2, v[6:7]
	v_add_u32_e32 v6, 3, v15
	v_lshlrev_b64 v[25:26], 2, v[6:7]
	global_load_dword v31, v[16:17], off
	v_add_co_u32_e32 v16, vcc, s12, v23
	v_add_u32_e32 v6, -3, v4
	v_addc_co_u32_e32 v17, vcc, v12, v24, vcc
	v_lshlrev_b64 v[23:24], 2, v[6:7]
	global_load_dword v33, v[16:17], off
	v_add_co_u32_e32 v18, vcc, s14, v25
	v_add_u32_e32 v6, -9, v4
	v_addc_co_u32_e32 v19, vcc, v13, v26, vcc
	v_lshlrev_b64 v[25:26], 2, v[6:7]
	v_add_co_u32_e32 v16, vcc, s12, v23
	v_add_u32_e32 v6, 4, v15
	v_addc_co_u32_e32 v17, vcc, v12, v24, vcc
	v_lshlrev_b64 v[23:24], 2, v[6:7]
	global_load_dword v34, v[18:19], off
	v_add_co_u32_e32 v18, vcc, s12, v25
	v_add_u32_e32 v6, -2, v4
	v_addc_co_u32_e32 v19, vcc, v12, v26, vcc
	v_lshlrev_b64 v[25:26], 2, v[6:7]
	global_load_dword v35, v[16:17], off
	v_add_co_u32_e32 v16, vcc, s14, v23
	v_add_u32_e32 v6, -8, v4
	v_addc_co_u32_e32 v17, vcc, v13, v24, vcc
	v_lshlrev_b64 v[23:24], 2, v[6:7]
	global_load_dword v36, v[18:19], off
	v_add_co_u32_e32 v18, vcc, s12, v25
	v_add_u32_e32 v6, 5, v15
	v_addc_co_u32_e32 v19, vcc, v12, v26, vcc
	v_lshlrev_b64 v[25:26], 2, v[6:7]
	global_load_dword v37, v[16:17], off
	v_add_co_u32_e32 v16, vcc, s12, v23
	v_add_u32_e32 v6, -1, v4
	v_addc_co_u32_e32 v17, vcc, v12, v24, vcc
	v_lshlrev_b64 v[23:24], 2, v[6:7]
	v_add_u32_e32 v6, -7, v4
	v_add_co_u32_e32 v14, vcc, s14, v25
	global_load_dword v38, v[18:19], off
	global_load_dword v25, v[16:17], off
	v_lshlrev_b64 v[18:19], 2, v[6:7]
	v_add_u32_e32 v6, 6, v15
	v_addc_co_u32_e32 v15, vcc, v13, v26, vcc
	v_add_co_u32_e32 v16, vcc, s12, v23
	v_addc_co_u32_e32 v17, vcc, v12, v24, vcc
	v_lshlrev_b64 v[5:6], 2, v[6:7]
	global_load_dword v23, v[14:15], off
	v_add_co_u32_e32 v14, vcc, s12, v18
	v_addc_co_u32_e32 v15, vcc, v12, v19, vcc
	global_load_dword v16, v[16:17], off
	v_add_co_u32_e32 v5, vcc, s14, v5
	v_addc_co_u32_e32 v6, vcc, v13, v6, vcc
	global_load_dword v17, v[14:15], off
	global_load_dword v18, v[5:6], off
	s_waitcnt vmcnt(16)
	v_fmac_f32_e32 v11, v27, v3
	v_fmac_f32_e32 v10, v21, v3
	s_waitcnt vmcnt(15)
	v_fmac_f32_e32 v10, v22, v20
	s_waitcnt vmcnt(14)
	v_fmac_f32_e32 v11, v29, v20
	v_cmp_ge_i32_e32 vcc, v2, v9
	s_or_b64 s[0:1], vcc, s[0:1]
	v_add_u32_e32 v4, 0xe0, v4
	s_waitcnt vmcnt(11)
	v_fmac_f32_e32 v10, v30, v31
	v_fmac_f32_e32 v11, v32, v31
	s_waitcnt vmcnt(9)
	v_fmac_f32_e32 v10, v33, v34
	s_waitcnt vmcnt(8)
	;; [unrolled: 2-line block ×7, first 2 shown]
	v_fmac_f32_e32 v10, v17, v18
	v_fmac_f32_e32 v11, v28, v18
	s_andn2_b64 exec, exec, s[0:1]
	s_cbranch_execnz .LBB27_15
; %bb.16:
	s_or_b64 exec, exec, s[0:1]
.LBB27_17:
	s_or_b64 exec, exec, s[6:7]
.LBB27_18:
	v_mov_b32_dpp v2, v10 row_shr:1 row_mask:0xf bank_mask:0xf
	v_mov_b32_dpp v4, v11 row_shr:1 row_mask:0xf bank_mask:0xf
	v_add_f32_e32 v2, v10, v2
	v_add_f32_e32 v4, v11, v4
	v_cmp_eq_u32_e32 vcc, 15, v0
	v_mov_b32_dpp v3, v2 row_shr:2 row_mask:0xf bank_mask:0xf
	v_mov_b32_dpp v5, v4 row_shr:2 row_mask:0xf bank_mask:0xf
	v_add_f32_e32 v2, v2, v3
	v_add_f32_e32 v4, v4, v5
	s_nop 0
	v_mov_b32_dpp v3, v2 row_shr:4 row_mask:0xf bank_mask:0xe
	v_mov_b32_dpp v5, v4 row_shr:4 row_mask:0xf bank_mask:0xe
	v_add_f32_e32 v2, v2, v3
	v_add_f32_e32 v4, v4, v5
	s_nop 0
	v_mov_b32_dpp v3, v2 row_shr:8 row_mask:0xf bank_mask:0xc
	v_mov_b32_dpp v5, v4 row_shr:8 row_mask:0xf bank_mask:0xc
	s_and_b64 exec, exec, vcc
	s_cbranch_execz .LBB27_22
; %bb.19:
	s_load_dwordx2 s[0:1], s[4:5], 0x38
	v_add_f32_e32 v0, v2, v3
	v_add_f32_e32 v3, v4, v5
	v_cmp_eq_f32_e64 s[4:5], s2, 0
	s_and_b64 vcc, exec, s[4:5]
	v_mul_f32_e32 v2, s16, v0
	v_mul_f32_e32 v3, s16, v3
	v_lshlrev_b32_e32 v0, 1, v1
	s_cbranch_vccz .LBB27_23
; %bb.20:
	v_ashrrev_i32_e32 v1, 31, v0
	v_lshlrev_b64 v[4:5], 2, v[0:1]
	s_waitcnt lgkmcnt(0)
	v_mov_b32_e32 v1, s1
	v_add_co_u32_e32 v4, vcc, s0, v4
	v_addc_co_u32_e32 v5, vcc, v1, v5, vcc
	global_store_dwordx2 v[4:5], v[2:3], off
	s_cbranch_execnz .LBB27_22
.LBB27_21:
	v_ashrrev_i32_e32 v1, 31, v0
	v_lshlrev_b64 v[0:1], 2, v[0:1]
	s_waitcnt lgkmcnt(0)
	v_mov_b32_e32 v4, s1
	v_add_co_u32_e32 v0, vcc, s0, v0
	v_addc_co_u32_e32 v1, vcc, v4, v1, vcc
	global_load_dwordx2 v[4:5], v[0:1], off
	s_waitcnt vmcnt(0)
	v_fmac_f32_e32 v2, s2, v4
	v_fmac_f32_e32 v3, s2, v5
	global_store_dwordx2 v[0:1], v[2:3], off
.LBB27_22:
	s_endpgm
.LBB27_23:
	s_branch .LBB27_21
	.section	.rodata,"a",@progbits
	.p2align	6, 0x0
	.amdhsa_kernel _ZN9rocsparseL19gebsrmvn_2xn_kernelILj128ELj7ELj16EfEEvi20rocsparse_direction_NS_24const_host_device_scalarIT2_EEPKiS6_PKS3_S8_S4_PS3_21rocsparse_index_base_b
		.amdhsa_group_segment_fixed_size 0
		.amdhsa_private_segment_fixed_size 0
		.amdhsa_kernarg_size 72
		.amdhsa_user_sgpr_count 6
		.amdhsa_user_sgpr_private_segment_buffer 1
		.amdhsa_user_sgpr_dispatch_ptr 0
		.amdhsa_user_sgpr_queue_ptr 0
		.amdhsa_user_sgpr_kernarg_segment_ptr 1
		.amdhsa_user_sgpr_dispatch_id 0
		.amdhsa_user_sgpr_flat_scratch_init 0
		.amdhsa_user_sgpr_private_segment_size 0
		.amdhsa_uses_dynamic_stack 0
		.amdhsa_system_sgpr_private_segment_wavefront_offset 0
		.amdhsa_system_sgpr_workgroup_id_x 1
		.amdhsa_system_sgpr_workgroup_id_y 0
		.amdhsa_system_sgpr_workgroup_id_z 0
		.amdhsa_system_sgpr_workgroup_info 0
		.amdhsa_system_vgpr_workitem_id 0
		.amdhsa_next_free_vgpr 39
		.amdhsa_next_free_sgpr 20
		.amdhsa_reserve_vcc 1
		.amdhsa_reserve_flat_scratch 0
		.amdhsa_float_round_mode_32 0
		.amdhsa_float_round_mode_16_64 0
		.amdhsa_float_denorm_mode_32 3
		.amdhsa_float_denorm_mode_16_64 3
		.amdhsa_dx10_clamp 1
		.amdhsa_ieee_mode 1
		.amdhsa_fp16_overflow 0
		.amdhsa_exception_fp_ieee_invalid_op 0
		.amdhsa_exception_fp_denorm_src 0
		.amdhsa_exception_fp_ieee_div_zero 0
		.amdhsa_exception_fp_ieee_overflow 0
		.amdhsa_exception_fp_ieee_underflow 0
		.amdhsa_exception_fp_ieee_inexact 0
		.amdhsa_exception_int_div_zero 0
	.end_amdhsa_kernel
	.section	.text._ZN9rocsparseL19gebsrmvn_2xn_kernelILj128ELj7ELj16EfEEvi20rocsparse_direction_NS_24const_host_device_scalarIT2_EEPKiS6_PKS3_S8_S4_PS3_21rocsparse_index_base_b,"axG",@progbits,_ZN9rocsparseL19gebsrmvn_2xn_kernelILj128ELj7ELj16EfEEvi20rocsparse_direction_NS_24const_host_device_scalarIT2_EEPKiS6_PKS3_S8_S4_PS3_21rocsparse_index_base_b,comdat
.Lfunc_end27:
	.size	_ZN9rocsparseL19gebsrmvn_2xn_kernelILj128ELj7ELj16EfEEvi20rocsparse_direction_NS_24const_host_device_scalarIT2_EEPKiS6_PKS3_S8_S4_PS3_21rocsparse_index_base_b, .Lfunc_end27-_ZN9rocsparseL19gebsrmvn_2xn_kernelILj128ELj7ELj16EfEEvi20rocsparse_direction_NS_24const_host_device_scalarIT2_EEPKiS6_PKS3_S8_S4_PS3_21rocsparse_index_base_b
                                        ; -- End function
	.set _ZN9rocsparseL19gebsrmvn_2xn_kernelILj128ELj7ELj16EfEEvi20rocsparse_direction_NS_24const_host_device_scalarIT2_EEPKiS6_PKS3_S8_S4_PS3_21rocsparse_index_base_b.num_vgpr, 39
	.set _ZN9rocsparseL19gebsrmvn_2xn_kernelILj128ELj7ELj16EfEEvi20rocsparse_direction_NS_24const_host_device_scalarIT2_EEPKiS6_PKS3_S8_S4_PS3_21rocsparse_index_base_b.num_agpr, 0
	.set _ZN9rocsparseL19gebsrmvn_2xn_kernelILj128ELj7ELj16EfEEvi20rocsparse_direction_NS_24const_host_device_scalarIT2_EEPKiS6_PKS3_S8_S4_PS3_21rocsparse_index_base_b.numbered_sgpr, 20
	.set _ZN9rocsparseL19gebsrmvn_2xn_kernelILj128ELj7ELj16EfEEvi20rocsparse_direction_NS_24const_host_device_scalarIT2_EEPKiS6_PKS3_S8_S4_PS3_21rocsparse_index_base_b.num_named_barrier, 0
	.set _ZN9rocsparseL19gebsrmvn_2xn_kernelILj128ELj7ELj16EfEEvi20rocsparse_direction_NS_24const_host_device_scalarIT2_EEPKiS6_PKS3_S8_S4_PS3_21rocsparse_index_base_b.private_seg_size, 0
	.set _ZN9rocsparseL19gebsrmvn_2xn_kernelILj128ELj7ELj16EfEEvi20rocsparse_direction_NS_24const_host_device_scalarIT2_EEPKiS6_PKS3_S8_S4_PS3_21rocsparse_index_base_b.uses_vcc, 1
	.set _ZN9rocsparseL19gebsrmvn_2xn_kernelILj128ELj7ELj16EfEEvi20rocsparse_direction_NS_24const_host_device_scalarIT2_EEPKiS6_PKS3_S8_S4_PS3_21rocsparse_index_base_b.uses_flat_scratch, 0
	.set _ZN9rocsparseL19gebsrmvn_2xn_kernelILj128ELj7ELj16EfEEvi20rocsparse_direction_NS_24const_host_device_scalarIT2_EEPKiS6_PKS3_S8_S4_PS3_21rocsparse_index_base_b.has_dyn_sized_stack, 0
	.set _ZN9rocsparseL19gebsrmvn_2xn_kernelILj128ELj7ELj16EfEEvi20rocsparse_direction_NS_24const_host_device_scalarIT2_EEPKiS6_PKS3_S8_S4_PS3_21rocsparse_index_base_b.has_recursion, 0
	.set _ZN9rocsparseL19gebsrmvn_2xn_kernelILj128ELj7ELj16EfEEvi20rocsparse_direction_NS_24const_host_device_scalarIT2_EEPKiS6_PKS3_S8_S4_PS3_21rocsparse_index_base_b.has_indirect_call, 0
	.section	.AMDGPU.csdata,"",@progbits
; Kernel info:
; codeLenInByte = 1892
; TotalNumSgprs: 24
; NumVgprs: 39
; ScratchSize: 0
; MemoryBound: 0
; FloatMode: 240
; IeeeMode: 1
; LDSByteSize: 0 bytes/workgroup (compile time only)
; SGPRBlocks: 2
; VGPRBlocks: 9
; NumSGPRsForWavesPerEU: 24
; NumVGPRsForWavesPerEU: 39
; Occupancy: 6
; WaveLimiterHint : 1
; COMPUTE_PGM_RSRC2:SCRATCH_EN: 0
; COMPUTE_PGM_RSRC2:USER_SGPR: 6
; COMPUTE_PGM_RSRC2:TRAP_HANDLER: 0
; COMPUTE_PGM_RSRC2:TGID_X_EN: 1
; COMPUTE_PGM_RSRC2:TGID_Y_EN: 0
; COMPUTE_PGM_RSRC2:TGID_Z_EN: 0
; COMPUTE_PGM_RSRC2:TIDIG_COMP_CNT: 0
	.section	.text._ZN9rocsparseL19gebsrmvn_2xn_kernelILj128ELj7ELj32EfEEvi20rocsparse_direction_NS_24const_host_device_scalarIT2_EEPKiS6_PKS3_S8_S4_PS3_21rocsparse_index_base_b,"axG",@progbits,_ZN9rocsparseL19gebsrmvn_2xn_kernelILj128ELj7ELj32EfEEvi20rocsparse_direction_NS_24const_host_device_scalarIT2_EEPKiS6_PKS3_S8_S4_PS3_21rocsparse_index_base_b,comdat
	.globl	_ZN9rocsparseL19gebsrmvn_2xn_kernelILj128ELj7ELj32EfEEvi20rocsparse_direction_NS_24const_host_device_scalarIT2_EEPKiS6_PKS3_S8_S4_PS3_21rocsparse_index_base_b ; -- Begin function _ZN9rocsparseL19gebsrmvn_2xn_kernelILj128ELj7ELj32EfEEvi20rocsparse_direction_NS_24const_host_device_scalarIT2_EEPKiS6_PKS3_S8_S4_PS3_21rocsparse_index_base_b
	.p2align	8
	.type	_ZN9rocsparseL19gebsrmvn_2xn_kernelILj128ELj7ELj32EfEEvi20rocsparse_direction_NS_24const_host_device_scalarIT2_EEPKiS6_PKS3_S8_S4_PS3_21rocsparse_index_base_b,@function
_ZN9rocsparseL19gebsrmvn_2xn_kernelILj128ELj7ELj32EfEEvi20rocsparse_direction_NS_24const_host_device_scalarIT2_EEPKiS6_PKS3_S8_S4_PS3_21rocsparse_index_base_b: ; @_ZN9rocsparseL19gebsrmvn_2xn_kernelILj128ELj7ELj32EfEEvi20rocsparse_direction_NS_24const_host_device_scalarIT2_EEPKiS6_PKS3_S8_S4_PS3_21rocsparse_index_base_b
; %bb.0:
	s_load_dwordx2 s[18:19], s[4:5], 0x40
	s_load_dwordx2 s[16:17], s[4:5], 0x8
	;; [unrolled: 1-line block ×3, first 2 shown]
	s_waitcnt lgkmcnt(0)
	s_bitcmp1_b32 s19, 0
	s_cselect_b64 s[8:9], -1, 0
	s_xor_b64 s[0:1], s[8:9], -1
	s_and_b64 vcc, exec, s[8:9]
	s_cbranch_vccnz .LBB28_2
; %bb.1:
	s_load_dword s16, s[16:17], 0x0
.LBB28_2:
	s_andn2_b64 vcc, exec, s[0:1]
	s_cbranch_vccnz .LBB28_4
; %bb.3:
	s_load_dword s2, s[2:3], 0x0
.LBB28_4:
	s_waitcnt lgkmcnt(0)
	v_cmp_eq_f32_e64 s[0:1], s16, 0
	v_cmp_eq_f32_e64 s[8:9], s2, 1.0
	s_and_b64 s[0:1], s[0:1], s[8:9]
	s_and_b64 vcc, exec, s[0:1]
	s_cbranch_vccnz .LBB28_22
; %bb.5:
	s_load_dwordx2 s[0:1], s[4:5], 0x0
	v_lshrrev_b32_e32 v1, 5, v0
	v_lshl_or_b32 v1, s6, 2, v1
	s_waitcnt lgkmcnt(0)
	v_cmp_gt_i32_e32 vcc, s0, v1
	s_and_saveexec_b64 s[6:7], vcc
	s_cbranch_execz .LBB28_22
; %bb.6:
	s_load_dwordx8 s[8:15], s[4:5], 0x10
	v_ashrrev_i32_e32 v2, 31, v1
	v_lshlrev_b64 v[2:3], 2, v[1:2]
	v_and_b32_e32 v0, 31, v0
	s_cmp_lg_u32 s1, 0
	s_waitcnt lgkmcnt(0)
	v_mov_b32_e32 v4, s9
	v_add_co_u32_e32 v2, vcc, s8, v2
	v_addc_co_u32_e32 v3, vcc, v4, v3, vcc
	global_load_dwordx2 v[2:3], v[2:3], off
	s_waitcnt vmcnt(0)
	v_subrev_u32_e32 v2, s18, v2
	v_subrev_u32_e32 v9, s18, v3
	v_add_u32_e32 v2, v2, v0
	v_cmp_lt_i32_e64 s[0:1], v2, v9
	s_cbranch_scc0 .LBB28_12
; %bb.7:
	v_mov_b32_e32 v11, 0
	v_mov_b32_e32 v10, 0
	s_and_saveexec_b64 s[6:7], s[0:1]
	s_cbranch_execz .LBB28_11
; %bb.8:
	v_mad_u64_u32 v[3:4], s[8:9], v2, 14, 12
	v_mov_b32_e32 v6, 0
	s_mov_b64 s[8:9], 0
	v_mov_b32_e32 v12, s11
	v_mov_b32_e32 v13, s13
	;; [unrolled: 1-line block ×6, first 2 shown]
.LBB28_9:                               ; =>This Inner Loop Header: Depth=1
	v_ashrrev_i32_e32 v8, 31, v7
	v_lshlrev_b64 v[17:18], 2, v[7:8]
	v_add_u32_e32 v5, -12, v3
	v_add_co_u32_e32 v17, vcc, s10, v17
	v_addc_co_u32_e32 v18, vcc, v12, v18, vcc
	global_load_dword v8, v[17:18], off
	v_lshlrev_b64 v[19:20], 2, v[5:6]
	v_mov_b32_e32 v4, v6
	v_lshlrev_b64 v[21:22], 2, v[3:4]
	v_add_co_u32_e32 v17, vcc, s12, v19
	v_add_u32_e32 v5, -10, v3
	v_addc_co_u32_e32 v18, vcc, v13, v20, vcc
	v_lshlrev_b64 v[4:5], 2, v[5:6]
	v_add_co_u32_e32 v19, vcc, s12, v21
	v_addc_co_u32_e32 v20, vcc, v13, v22, vcc
	v_add_co_u32_e32 v4, vcc, s12, v4
	global_load_dwordx2 v[17:18], v[17:18], off
	v_addc_co_u32_e32 v5, vcc, v13, v5, vcc
	global_load_dwordx2 v[21:22], v[19:20], off
	global_load_dwordx2 v[23:24], v[4:5], off
	v_mov_b32_e32 v16, v6
	v_add_u32_e32 v7, 32, v7
	s_waitcnt vmcnt(3)
	v_subrev_u32_e32 v4, s18, v8
	v_mul_lo_u32 v15, v4, 7
	v_lshlrev_b64 v[19:20], 2, v[15:16]
	v_add_u32_e32 v5, 1, v15
	v_lshlrev_b64 v[25:26], 2, v[5:6]
	v_add_co_u32_e32 v19, vcc, s14, v19
	v_add_u32_e32 v5, -8, v3
	v_addc_co_u32_e32 v20, vcc, v14, v20, vcc
	v_lshlrev_b64 v[27:28], 2, v[5:6]
	global_load_dword v8, v[19:20], off
	v_add_co_u32_e32 v19, vcc, s14, v25
	v_add_u32_e32 v5, 2, v15
	v_addc_co_u32_e32 v20, vcc, v14, v26, vcc
	v_lshlrev_b64 v[25:26], 2, v[5:6]
	global_load_dword v35, v[19:20], off
	v_add_co_u32_e32 v19, vcc, s12, v27
	v_add_u32_e32 v5, -6, v3
	v_addc_co_u32_e32 v20, vcc, v13, v28, vcc
	v_lshlrev_b64 v[27:28], 2, v[5:6]
	v_add_co_u32_e32 v25, vcc, s14, v25
	v_add_u32_e32 v5, 3, v15
	v_addc_co_u32_e32 v26, vcc, v14, v26, vcc
	v_lshlrev_b64 v[29:30], 2, v[5:6]
	global_load_dword v36, v[25:26], off
	v_add_co_u32_e32 v25, vcc, s12, v27
	v_add_u32_e32 v5, -4, v3
	v_addc_co_u32_e32 v26, vcc, v13, v28, vcc
	v_lshlrev_b64 v[27:28], 2, v[5:6]
	v_add_co_u32_e32 v29, vcc, s14, v29
	v_add_u32_e32 v5, 4, v15
	v_addc_co_u32_e32 v30, vcc, v14, v30, vcc
	v_lshlrev_b64 v[31:32], 2, v[5:6]
	v_add_co_u32_e32 v27, vcc, s12, v27
	v_addc_co_u32_e32 v28, vcc, v13, v28, vcc
	v_add_co_u32_e32 v31, vcc, s14, v31
	v_add_u32_e32 v5, -2, v3
	v_addc_co_u32_e32 v32, vcc, v14, v32, vcc
	global_load_dword v37, v[29:30], off
	v_add_u32_e32 v3, 0x1c0, v3
	global_load_dword v31, v[31:32], off
	v_lshlrev_b64 v[29:30], 2, v[5:6]
	v_add_u32_e32 v5, 5, v15
	v_lshlrev_b64 v[33:34], 2, v[5:6]
	v_add_u32_e32 v5, 6, v15
	v_add_co_u32_e32 v15, vcc, s12, v29
	v_addc_co_u32_e32 v16, vcc, v13, v30, vcc
	global_load_dwordx2 v[19:20], v[19:20], off
	v_lshlrev_b64 v[4:5], 2, v[5:6]
	v_add_co_u32_e32 v29, vcc, s14, v33
	global_load_dwordx2 v[25:26], v[25:26], off
	v_addc_co_u32_e32 v30, vcc, v14, v34, vcc
	global_load_dwordx2 v[27:28], v[27:28], off
	v_add_co_u32_e32 v4, vcc, s14, v4
	global_load_dwordx2 v[15:16], v[15:16], off
	v_addc_co_u32_e32 v5, vcc, v14, v5, vcc
	global_load_dword v29, v[29:30], off
	v_cmp_ge_i32_e32 vcc, v7, v9
	global_load_dword v4, v[4:5], off
	s_or_b64 s[8:9], vcc, s[8:9]
	s_waitcnt vmcnt(10)
	v_fmac_f32_e32 v11, v17, v8
	v_fmac_f32_e32 v10, v18, v8
	s_waitcnt vmcnt(9)
	v_fmac_f32_e32 v11, v23, v35
	v_fmac_f32_e32 v10, v24, v35
	;; [unrolled: 3-line block ×7, first 2 shown]
	s_andn2_b64 exec, exec, s[8:9]
	s_cbranch_execnz .LBB28_9
; %bb.10:
	s_or_b64 exec, exec, s[8:9]
.LBB28_11:
	s_or_b64 exec, exec, s[6:7]
	s_cbranch_execz .LBB28_13
	s_branch .LBB28_18
.LBB28_12:
                                        ; implicit-def: $vgpr11
                                        ; implicit-def: $vgpr10
.LBB28_13:
	v_mov_b32_e32 v11, 0
	v_mov_b32_e32 v10, 0
	s_and_saveexec_b64 s[6:7], s[0:1]
	s_cbranch_execz .LBB28_17
; %bb.14:
	v_mad_u64_u32 v[4:5], s[0:1], v2, 14, 13
	v_mov_b32_e32 v7, 0
	s_mov_b64 s[0:1], 0
	v_mov_b32_e32 v8, s11
	v_mov_b32_e32 v12, s13
	;; [unrolled: 1-line block ×5, first 2 shown]
.LBB28_15:                              ; =>This Inner Loop Header: Depth=1
	v_ashrrev_i32_e32 v3, 31, v2
	v_lshlrev_b64 v[17:18], 2, v[2:3]
	v_add_u32_e32 v6, -13, v4
	v_lshlrev_b64 v[19:20], 2, v[6:7]
	v_add_co_u32_e32 v17, vcc, s10, v17
	v_add_u32_e32 v14, -6, v4
	v_mov_b32_e32 v15, v7
	v_addc_co_u32_e32 v18, vcc, v8, v18, vcc
	v_lshlrev_b64 v[14:15], 2, v[14:15]
	v_add_co_u32_e32 v19, vcc, s12, v19
	v_mov_b32_e32 v5, v7
	v_addc_co_u32_e32 v20, vcc, v12, v20, vcc
	v_lshlrev_b64 v[5:6], 2, v[4:5]
	v_add_co_u32_e32 v14, vcc, s12, v14
	v_addc_co_u32_e32 v15, vcc, v12, v15, vcc
	v_add_co_u32_e32 v5, vcc, s12, v5
	v_addc_co_u32_e32 v6, vcc, v12, v6, vcc
	global_load_dword v3, v[17:18], off
	global_load_dword v27, v[14:15], off
	;; [unrolled: 1-line block ×3, first 2 shown]
	global_load_dwordx2 v[21:22], v[19:20], off
	v_mov_b32_e32 v16, v7
	v_add_u32_e32 v2, 32, v2
	s_waitcnt vmcnt(3)
	v_subrev_u32_e32 v3, s18, v3
	v_mul_lo_u32 v15, v3, 7
	v_lshlrev_b64 v[16:17], 2, v[15:16]
	v_add_u32_e32 v6, 1, v15
	v_lshlrev_b64 v[18:19], 2, v[6:7]
	v_add_co_u32_e32 v16, vcc, s14, v16
	v_add_u32_e32 v6, -5, v4
	v_addc_co_u32_e32 v17, vcc, v13, v17, vcc
	v_lshlrev_b64 v[23:24], 2, v[6:7]
	v_add_co_u32_e32 v18, vcc, s14, v18
	v_add_u32_e32 v6, -11, v4
	v_addc_co_u32_e32 v19, vcc, v13, v19, vcc
	v_lshlrev_b64 v[25:26], 2, v[6:7]
	v_add_co_u32_e32 v23, vcc, s12, v23
	v_add_u32_e32 v6, 2, v15
	v_addc_co_u32_e32 v24, vcc, v12, v24, vcc
	global_load_dword v3, v[16:17], off
	global_load_dword v20, v[18:19], off
	v_lshlrev_b64 v[16:17], 2, v[6:7]
	v_add_co_u32_e32 v25, vcc, s12, v25
	v_add_u32_e32 v6, -4, v4
	v_addc_co_u32_e32 v26, vcc, v12, v26, vcc
	v_lshlrev_b64 v[18:19], 2, v[6:7]
	v_add_co_u32_e32 v16, vcc, s14, v16
	v_addc_co_u32_e32 v17, vcc, v13, v17, vcc
	v_add_co_u32_e32 v18, vcc, s12, v18
	v_add_u32_e32 v6, -10, v4
	v_addc_co_u32_e32 v19, vcc, v12, v19, vcc
	global_load_dword v29, v[23:24], off
	global_load_dword v30, v[25:26], off
	;; [unrolled: 1-line block ×3, first 2 shown]
	v_lshlrev_b64 v[23:24], 2, v[6:7]
	v_add_u32_e32 v6, 3, v15
	v_lshlrev_b64 v[25:26], 2, v[6:7]
	global_load_dword v31, v[16:17], off
	v_add_co_u32_e32 v16, vcc, s12, v23
	v_add_u32_e32 v6, -3, v4
	v_addc_co_u32_e32 v17, vcc, v12, v24, vcc
	v_lshlrev_b64 v[23:24], 2, v[6:7]
	global_load_dword v33, v[16:17], off
	v_add_co_u32_e32 v18, vcc, s14, v25
	v_add_u32_e32 v6, -9, v4
	v_addc_co_u32_e32 v19, vcc, v13, v26, vcc
	v_lshlrev_b64 v[25:26], 2, v[6:7]
	v_add_co_u32_e32 v16, vcc, s12, v23
	v_add_u32_e32 v6, 4, v15
	v_addc_co_u32_e32 v17, vcc, v12, v24, vcc
	v_lshlrev_b64 v[23:24], 2, v[6:7]
	global_load_dword v34, v[18:19], off
	v_add_co_u32_e32 v18, vcc, s12, v25
	v_add_u32_e32 v6, -2, v4
	v_addc_co_u32_e32 v19, vcc, v12, v26, vcc
	v_lshlrev_b64 v[25:26], 2, v[6:7]
	global_load_dword v35, v[16:17], off
	v_add_co_u32_e32 v16, vcc, s14, v23
	v_add_u32_e32 v6, -8, v4
	v_addc_co_u32_e32 v17, vcc, v13, v24, vcc
	v_lshlrev_b64 v[23:24], 2, v[6:7]
	global_load_dword v36, v[18:19], off
	v_add_co_u32_e32 v18, vcc, s12, v25
	v_add_u32_e32 v6, 5, v15
	v_addc_co_u32_e32 v19, vcc, v12, v26, vcc
	v_lshlrev_b64 v[25:26], 2, v[6:7]
	global_load_dword v37, v[16:17], off
	v_add_co_u32_e32 v16, vcc, s12, v23
	v_add_u32_e32 v6, -1, v4
	v_addc_co_u32_e32 v17, vcc, v12, v24, vcc
	v_lshlrev_b64 v[23:24], 2, v[6:7]
	v_add_u32_e32 v6, -7, v4
	v_add_co_u32_e32 v14, vcc, s14, v25
	global_load_dword v38, v[18:19], off
	global_load_dword v25, v[16:17], off
	v_lshlrev_b64 v[18:19], 2, v[6:7]
	v_add_u32_e32 v6, 6, v15
	v_addc_co_u32_e32 v15, vcc, v13, v26, vcc
	v_add_co_u32_e32 v16, vcc, s12, v23
	v_addc_co_u32_e32 v17, vcc, v12, v24, vcc
	v_lshlrev_b64 v[5:6], 2, v[6:7]
	global_load_dword v23, v[14:15], off
	v_add_co_u32_e32 v14, vcc, s12, v18
	v_addc_co_u32_e32 v15, vcc, v12, v19, vcc
	global_load_dword v16, v[16:17], off
	v_add_co_u32_e32 v5, vcc, s14, v5
	v_addc_co_u32_e32 v6, vcc, v13, v6, vcc
	global_load_dword v17, v[14:15], off
	global_load_dword v18, v[5:6], off
	s_waitcnt vmcnt(16)
	v_fmac_f32_e32 v10, v27, v3
	v_fmac_f32_e32 v11, v21, v3
	s_waitcnt vmcnt(15)
	v_fmac_f32_e32 v11, v22, v20
	s_waitcnt vmcnt(14)
	v_fmac_f32_e32 v10, v29, v20
	v_cmp_ge_i32_e32 vcc, v2, v9
	s_or_b64 s[0:1], vcc, s[0:1]
	v_add_u32_e32 v4, 0x1c0, v4
	s_waitcnt vmcnt(11)
	v_fmac_f32_e32 v11, v30, v31
	v_fmac_f32_e32 v10, v32, v31
	s_waitcnt vmcnt(9)
	v_fmac_f32_e32 v11, v33, v34
	s_waitcnt vmcnt(8)
	;; [unrolled: 2-line block ×7, first 2 shown]
	v_fmac_f32_e32 v11, v17, v18
	v_fmac_f32_e32 v10, v28, v18
	s_andn2_b64 exec, exec, s[0:1]
	s_cbranch_execnz .LBB28_15
; %bb.16:
	s_or_b64 exec, exec, s[0:1]
.LBB28_17:
	s_or_b64 exec, exec, s[6:7]
.LBB28_18:
	v_mov_b32_dpp v2, v11 row_shr:1 row_mask:0xf bank_mask:0xf
	v_mov_b32_dpp v4, v10 row_shr:1 row_mask:0xf bank_mask:0xf
	v_add_f32_e32 v2, v11, v2
	v_add_f32_e32 v4, v10, v4
	v_cmp_eq_u32_e32 vcc, 31, v0
	v_mov_b32_dpp v3, v2 row_shr:2 row_mask:0xf bank_mask:0xf
	v_mov_b32_dpp v5, v4 row_shr:2 row_mask:0xf bank_mask:0xf
	v_add_f32_e32 v2, v2, v3
	v_add_f32_e32 v4, v4, v5
	s_nop 0
	v_mov_b32_dpp v3, v2 row_shr:4 row_mask:0xf bank_mask:0xe
	v_mov_b32_dpp v5, v4 row_shr:4 row_mask:0xf bank_mask:0xe
	v_add_f32_e32 v2, v2, v3
	v_add_f32_e32 v4, v4, v5
	s_nop 0
	;; [unrolled: 5-line block ×3, first 2 shown]
	v_mov_b32_dpp v3, v2 row_bcast:15 row_mask:0xa bank_mask:0xf
	v_mov_b32_dpp v5, v4 row_bcast:15 row_mask:0xa bank_mask:0xf
	s_and_b64 exec, exec, vcc
	s_cbranch_execz .LBB28_22
; %bb.19:
	s_load_dwordx2 s[0:1], s[4:5], 0x38
	v_add_f32_e32 v0, v2, v3
	v_add_f32_e32 v3, v4, v5
	v_cmp_eq_f32_e64 s[4:5], s2, 0
	s_and_b64 vcc, exec, s[4:5]
	v_mul_f32_e32 v2, s16, v0
	v_mul_f32_e32 v3, s16, v3
	v_lshlrev_b32_e32 v0, 1, v1
	s_cbranch_vccz .LBB28_23
; %bb.20:
	v_ashrrev_i32_e32 v1, 31, v0
	v_lshlrev_b64 v[4:5], 2, v[0:1]
	s_waitcnt lgkmcnt(0)
	v_mov_b32_e32 v1, s1
	v_add_co_u32_e32 v4, vcc, s0, v4
	v_addc_co_u32_e32 v5, vcc, v1, v5, vcc
	global_store_dwordx2 v[4:5], v[2:3], off
	s_cbranch_execnz .LBB28_22
.LBB28_21:
	v_ashrrev_i32_e32 v1, 31, v0
	v_lshlrev_b64 v[0:1], 2, v[0:1]
	s_waitcnt lgkmcnt(0)
	v_mov_b32_e32 v4, s1
	v_add_co_u32_e32 v0, vcc, s0, v0
	v_addc_co_u32_e32 v1, vcc, v4, v1, vcc
	global_load_dwordx2 v[4:5], v[0:1], off
	s_waitcnt vmcnt(0)
	v_fmac_f32_e32 v2, s2, v4
	v_fmac_f32_e32 v3, s2, v5
	global_store_dwordx2 v[0:1], v[2:3], off
.LBB28_22:
	s_endpgm
.LBB28_23:
	s_branch .LBB28_21
	.section	.rodata,"a",@progbits
	.p2align	6, 0x0
	.amdhsa_kernel _ZN9rocsparseL19gebsrmvn_2xn_kernelILj128ELj7ELj32EfEEvi20rocsparse_direction_NS_24const_host_device_scalarIT2_EEPKiS6_PKS3_S8_S4_PS3_21rocsparse_index_base_b
		.amdhsa_group_segment_fixed_size 0
		.amdhsa_private_segment_fixed_size 0
		.amdhsa_kernarg_size 72
		.amdhsa_user_sgpr_count 6
		.amdhsa_user_sgpr_private_segment_buffer 1
		.amdhsa_user_sgpr_dispatch_ptr 0
		.amdhsa_user_sgpr_queue_ptr 0
		.amdhsa_user_sgpr_kernarg_segment_ptr 1
		.amdhsa_user_sgpr_dispatch_id 0
		.amdhsa_user_sgpr_flat_scratch_init 0
		.amdhsa_user_sgpr_private_segment_size 0
		.amdhsa_uses_dynamic_stack 0
		.amdhsa_system_sgpr_private_segment_wavefront_offset 0
		.amdhsa_system_sgpr_workgroup_id_x 1
		.amdhsa_system_sgpr_workgroup_id_y 0
		.amdhsa_system_sgpr_workgroup_id_z 0
		.amdhsa_system_sgpr_workgroup_info 0
		.amdhsa_system_vgpr_workitem_id 0
		.amdhsa_next_free_vgpr 39
		.amdhsa_next_free_sgpr 20
		.amdhsa_reserve_vcc 1
		.amdhsa_reserve_flat_scratch 0
		.amdhsa_float_round_mode_32 0
		.amdhsa_float_round_mode_16_64 0
		.amdhsa_float_denorm_mode_32 3
		.amdhsa_float_denorm_mode_16_64 3
		.amdhsa_dx10_clamp 1
		.amdhsa_ieee_mode 1
		.amdhsa_fp16_overflow 0
		.amdhsa_exception_fp_ieee_invalid_op 0
		.amdhsa_exception_fp_denorm_src 0
		.amdhsa_exception_fp_ieee_div_zero 0
		.amdhsa_exception_fp_ieee_overflow 0
		.amdhsa_exception_fp_ieee_underflow 0
		.amdhsa_exception_fp_ieee_inexact 0
		.amdhsa_exception_int_div_zero 0
	.end_amdhsa_kernel
	.section	.text._ZN9rocsparseL19gebsrmvn_2xn_kernelILj128ELj7ELj32EfEEvi20rocsparse_direction_NS_24const_host_device_scalarIT2_EEPKiS6_PKS3_S8_S4_PS3_21rocsparse_index_base_b,"axG",@progbits,_ZN9rocsparseL19gebsrmvn_2xn_kernelILj128ELj7ELj32EfEEvi20rocsparse_direction_NS_24const_host_device_scalarIT2_EEPKiS6_PKS3_S8_S4_PS3_21rocsparse_index_base_b,comdat
.Lfunc_end28:
	.size	_ZN9rocsparseL19gebsrmvn_2xn_kernelILj128ELj7ELj32EfEEvi20rocsparse_direction_NS_24const_host_device_scalarIT2_EEPKiS6_PKS3_S8_S4_PS3_21rocsparse_index_base_b, .Lfunc_end28-_ZN9rocsparseL19gebsrmvn_2xn_kernelILj128ELj7ELj32EfEEvi20rocsparse_direction_NS_24const_host_device_scalarIT2_EEPKiS6_PKS3_S8_S4_PS3_21rocsparse_index_base_b
                                        ; -- End function
	.set _ZN9rocsparseL19gebsrmvn_2xn_kernelILj128ELj7ELj32EfEEvi20rocsparse_direction_NS_24const_host_device_scalarIT2_EEPKiS6_PKS3_S8_S4_PS3_21rocsparse_index_base_b.num_vgpr, 39
	.set _ZN9rocsparseL19gebsrmvn_2xn_kernelILj128ELj7ELj32EfEEvi20rocsparse_direction_NS_24const_host_device_scalarIT2_EEPKiS6_PKS3_S8_S4_PS3_21rocsparse_index_base_b.num_agpr, 0
	.set _ZN9rocsparseL19gebsrmvn_2xn_kernelILj128ELj7ELj32EfEEvi20rocsparse_direction_NS_24const_host_device_scalarIT2_EEPKiS6_PKS3_S8_S4_PS3_21rocsparse_index_base_b.numbered_sgpr, 20
	.set _ZN9rocsparseL19gebsrmvn_2xn_kernelILj128ELj7ELj32EfEEvi20rocsparse_direction_NS_24const_host_device_scalarIT2_EEPKiS6_PKS3_S8_S4_PS3_21rocsparse_index_base_b.num_named_barrier, 0
	.set _ZN9rocsparseL19gebsrmvn_2xn_kernelILj128ELj7ELj32EfEEvi20rocsparse_direction_NS_24const_host_device_scalarIT2_EEPKiS6_PKS3_S8_S4_PS3_21rocsparse_index_base_b.private_seg_size, 0
	.set _ZN9rocsparseL19gebsrmvn_2xn_kernelILj128ELj7ELj32EfEEvi20rocsparse_direction_NS_24const_host_device_scalarIT2_EEPKiS6_PKS3_S8_S4_PS3_21rocsparse_index_base_b.uses_vcc, 1
	.set _ZN9rocsparseL19gebsrmvn_2xn_kernelILj128ELj7ELj32EfEEvi20rocsparse_direction_NS_24const_host_device_scalarIT2_EEPKiS6_PKS3_S8_S4_PS3_21rocsparse_index_base_b.uses_flat_scratch, 0
	.set _ZN9rocsparseL19gebsrmvn_2xn_kernelILj128ELj7ELj32EfEEvi20rocsparse_direction_NS_24const_host_device_scalarIT2_EEPKiS6_PKS3_S8_S4_PS3_21rocsparse_index_base_b.has_dyn_sized_stack, 0
	.set _ZN9rocsparseL19gebsrmvn_2xn_kernelILj128ELj7ELj32EfEEvi20rocsparse_direction_NS_24const_host_device_scalarIT2_EEPKiS6_PKS3_S8_S4_PS3_21rocsparse_index_base_b.has_recursion, 0
	.set _ZN9rocsparseL19gebsrmvn_2xn_kernelILj128ELj7ELj32EfEEvi20rocsparse_direction_NS_24const_host_device_scalarIT2_EEPKiS6_PKS3_S8_S4_PS3_21rocsparse_index_base_b.has_indirect_call, 0
	.section	.AMDGPU.csdata,"",@progbits
; Kernel info:
; codeLenInByte = 1920
; TotalNumSgprs: 24
; NumVgprs: 39
; ScratchSize: 0
; MemoryBound: 0
; FloatMode: 240
; IeeeMode: 1
; LDSByteSize: 0 bytes/workgroup (compile time only)
; SGPRBlocks: 2
; VGPRBlocks: 9
; NumSGPRsForWavesPerEU: 24
; NumVGPRsForWavesPerEU: 39
; Occupancy: 6
; WaveLimiterHint : 1
; COMPUTE_PGM_RSRC2:SCRATCH_EN: 0
; COMPUTE_PGM_RSRC2:USER_SGPR: 6
; COMPUTE_PGM_RSRC2:TRAP_HANDLER: 0
; COMPUTE_PGM_RSRC2:TGID_X_EN: 1
; COMPUTE_PGM_RSRC2:TGID_Y_EN: 0
; COMPUTE_PGM_RSRC2:TGID_Z_EN: 0
; COMPUTE_PGM_RSRC2:TIDIG_COMP_CNT: 0
	.section	.text._ZN9rocsparseL19gebsrmvn_2xn_kernelILj128ELj7ELj64EfEEvi20rocsparse_direction_NS_24const_host_device_scalarIT2_EEPKiS6_PKS3_S8_S4_PS3_21rocsparse_index_base_b,"axG",@progbits,_ZN9rocsparseL19gebsrmvn_2xn_kernelILj128ELj7ELj64EfEEvi20rocsparse_direction_NS_24const_host_device_scalarIT2_EEPKiS6_PKS3_S8_S4_PS3_21rocsparse_index_base_b,comdat
	.globl	_ZN9rocsparseL19gebsrmvn_2xn_kernelILj128ELj7ELj64EfEEvi20rocsparse_direction_NS_24const_host_device_scalarIT2_EEPKiS6_PKS3_S8_S4_PS3_21rocsparse_index_base_b ; -- Begin function _ZN9rocsparseL19gebsrmvn_2xn_kernelILj128ELj7ELj64EfEEvi20rocsparse_direction_NS_24const_host_device_scalarIT2_EEPKiS6_PKS3_S8_S4_PS3_21rocsparse_index_base_b
	.p2align	8
	.type	_ZN9rocsparseL19gebsrmvn_2xn_kernelILj128ELj7ELj64EfEEvi20rocsparse_direction_NS_24const_host_device_scalarIT2_EEPKiS6_PKS3_S8_S4_PS3_21rocsparse_index_base_b,@function
_ZN9rocsparseL19gebsrmvn_2xn_kernelILj128ELj7ELj64EfEEvi20rocsparse_direction_NS_24const_host_device_scalarIT2_EEPKiS6_PKS3_S8_S4_PS3_21rocsparse_index_base_b: ; @_ZN9rocsparseL19gebsrmvn_2xn_kernelILj128ELj7ELj64EfEEvi20rocsparse_direction_NS_24const_host_device_scalarIT2_EEPKiS6_PKS3_S8_S4_PS3_21rocsparse_index_base_b
; %bb.0:
	s_load_dwordx2 s[18:19], s[4:5], 0x40
	s_load_dwordx2 s[16:17], s[4:5], 0x8
	;; [unrolled: 1-line block ×3, first 2 shown]
	s_waitcnt lgkmcnt(0)
	s_bitcmp1_b32 s19, 0
	s_cselect_b64 s[8:9], -1, 0
	s_xor_b64 s[0:1], s[8:9], -1
	s_and_b64 vcc, exec, s[8:9]
	s_cbranch_vccnz .LBB29_2
; %bb.1:
	s_load_dword s16, s[16:17], 0x0
.LBB29_2:
	s_andn2_b64 vcc, exec, s[0:1]
	s_cbranch_vccnz .LBB29_4
; %bb.3:
	s_load_dword s2, s[2:3], 0x0
.LBB29_4:
	s_waitcnt lgkmcnt(0)
	v_cmp_eq_f32_e64 s[0:1], s16, 0
	v_cmp_eq_f32_e64 s[8:9], s2, 1.0
	s_and_b64 s[0:1], s[0:1], s[8:9]
	s_and_b64 vcc, exec, s[0:1]
	s_cbranch_vccnz .LBB29_22
; %bb.5:
	s_load_dwordx2 s[0:1], s[4:5], 0x0
	v_lshrrev_b32_e32 v1, 6, v0
	v_lshl_or_b32 v1, s6, 1, v1
	s_waitcnt lgkmcnt(0)
	v_cmp_gt_i32_e32 vcc, s0, v1
	s_and_saveexec_b64 s[6:7], vcc
	s_cbranch_execz .LBB29_22
; %bb.6:
	s_load_dwordx8 s[8:15], s[4:5], 0x10
	v_ashrrev_i32_e32 v2, 31, v1
	v_lshlrev_b64 v[2:3], 2, v[1:2]
	v_and_b32_e32 v0, 63, v0
	s_cmp_lg_u32 s1, 0
	s_waitcnt lgkmcnt(0)
	v_mov_b32_e32 v4, s9
	v_add_co_u32_e32 v2, vcc, s8, v2
	v_addc_co_u32_e32 v3, vcc, v4, v3, vcc
	global_load_dwordx2 v[2:3], v[2:3], off
	s_waitcnt vmcnt(0)
	v_subrev_u32_e32 v2, s18, v2
	v_subrev_u32_e32 v9, s18, v3
	v_add_u32_e32 v2, v2, v0
	v_cmp_lt_i32_e64 s[0:1], v2, v9
	s_cbranch_scc0 .LBB29_12
; %bb.7:
	v_mov_b32_e32 v11, 0
	v_mov_b32_e32 v10, 0
	s_and_saveexec_b64 s[6:7], s[0:1]
	s_cbranch_execz .LBB29_11
; %bb.8:
	v_mad_u64_u32 v[3:4], s[8:9], v2, 14, 12
	v_mov_b32_e32 v6, 0
	s_mov_b64 s[8:9], 0
	v_mov_b32_e32 v12, s11
	v_mov_b32_e32 v13, s13
	;; [unrolled: 1-line block ×6, first 2 shown]
.LBB29_9:                               ; =>This Inner Loop Header: Depth=1
	v_ashrrev_i32_e32 v8, 31, v7
	v_lshlrev_b64 v[17:18], 2, v[7:8]
	v_add_u32_e32 v5, -12, v3
	v_add_co_u32_e32 v17, vcc, s10, v17
	v_addc_co_u32_e32 v18, vcc, v12, v18, vcc
	global_load_dword v8, v[17:18], off
	v_lshlrev_b64 v[19:20], 2, v[5:6]
	v_mov_b32_e32 v4, v6
	v_lshlrev_b64 v[21:22], 2, v[3:4]
	v_add_co_u32_e32 v17, vcc, s12, v19
	v_add_u32_e32 v5, -10, v3
	v_addc_co_u32_e32 v18, vcc, v13, v20, vcc
	v_lshlrev_b64 v[4:5], 2, v[5:6]
	v_add_co_u32_e32 v19, vcc, s12, v21
	v_addc_co_u32_e32 v20, vcc, v13, v22, vcc
	v_add_co_u32_e32 v4, vcc, s12, v4
	global_load_dwordx2 v[17:18], v[17:18], off
	v_addc_co_u32_e32 v5, vcc, v13, v5, vcc
	global_load_dwordx2 v[21:22], v[19:20], off
	global_load_dwordx2 v[23:24], v[4:5], off
	v_mov_b32_e32 v16, v6
	v_add_u32_e32 v7, 64, v7
	s_waitcnt vmcnt(3)
	v_subrev_u32_e32 v4, s18, v8
	v_mul_lo_u32 v15, v4, 7
	v_lshlrev_b64 v[19:20], 2, v[15:16]
	v_add_u32_e32 v5, 1, v15
	v_lshlrev_b64 v[25:26], 2, v[5:6]
	v_add_co_u32_e32 v19, vcc, s14, v19
	v_add_u32_e32 v5, -8, v3
	v_addc_co_u32_e32 v20, vcc, v14, v20, vcc
	v_lshlrev_b64 v[27:28], 2, v[5:6]
	global_load_dword v8, v[19:20], off
	v_add_co_u32_e32 v19, vcc, s14, v25
	v_add_u32_e32 v5, 2, v15
	v_addc_co_u32_e32 v20, vcc, v14, v26, vcc
	v_lshlrev_b64 v[25:26], 2, v[5:6]
	global_load_dword v35, v[19:20], off
	v_add_co_u32_e32 v19, vcc, s12, v27
	v_add_u32_e32 v5, -6, v3
	v_addc_co_u32_e32 v20, vcc, v13, v28, vcc
	v_lshlrev_b64 v[27:28], 2, v[5:6]
	v_add_co_u32_e32 v25, vcc, s14, v25
	v_add_u32_e32 v5, 3, v15
	v_addc_co_u32_e32 v26, vcc, v14, v26, vcc
	v_lshlrev_b64 v[29:30], 2, v[5:6]
	global_load_dword v36, v[25:26], off
	v_add_co_u32_e32 v25, vcc, s12, v27
	v_add_u32_e32 v5, -4, v3
	v_addc_co_u32_e32 v26, vcc, v13, v28, vcc
	v_lshlrev_b64 v[27:28], 2, v[5:6]
	v_add_co_u32_e32 v29, vcc, s14, v29
	v_add_u32_e32 v5, 4, v15
	v_addc_co_u32_e32 v30, vcc, v14, v30, vcc
	v_lshlrev_b64 v[31:32], 2, v[5:6]
	v_add_co_u32_e32 v27, vcc, s12, v27
	v_addc_co_u32_e32 v28, vcc, v13, v28, vcc
	v_add_co_u32_e32 v31, vcc, s14, v31
	v_add_u32_e32 v5, -2, v3
	v_addc_co_u32_e32 v32, vcc, v14, v32, vcc
	global_load_dword v37, v[29:30], off
	v_add_u32_e32 v3, 0x380, v3
	global_load_dword v31, v[31:32], off
	v_lshlrev_b64 v[29:30], 2, v[5:6]
	v_add_u32_e32 v5, 5, v15
	v_lshlrev_b64 v[33:34], 2, v[5:6]
	v_add_u32_e32 v5, 6, v15
	v_add_co_u32_e32 v15, vcc, s12, v29
	v_addc_co_u32_e32 v16, vcc, v13, v30, vcc
	global_load_dwordx2 v[19:20], v[19:20], off
	v_lshlrev_b64 v[4:5], 2, v[5:6]
	v_add_co_u32_e32 v29, vcc, s14, v33
	global_load_dwordx2 v[25:26], v[25:26], off
	v_addc_co_u32_e32 v30, vcc, v14, v34, vcc
	global_load_dwordx2 v[27:28], v[27:28], off
	v_add_co_u32_e32 v4, vcc, s14, v4
	global_load_dwordx2 v[15:16], v[15:16], off
	v_addc_co_u32_e32 v5, vcc, v14, v5, vcc
	global_load_dword v29, v[29:30], off
	v_cmp_ge_i32_e32 vcc, v7, v9
	global_load_dword v4, v[4:5], off
	s_or_b64 s[8:9], vcc, s[8:9]
	s_waitcnt vmcnt(10)
	v_fmac_f32_e32 v11, v17, v8
	v_fmac_f32_e32 v10, v18, v8
	s_waitcnt vmcnt(9)
	v_fmac_f32_e32 v11, v23, v35
	v_fmac_f32_e32 v10, v24, v35
	;; [unrolled: 3-line block ×7, first 2 shown]
	s_andn2_b64 exec, exec, s[8:9]
	s_cbranch_execnz .LBB29_9
; %bb.10:
	s_or_b64 exec, exec, s[8:9]
.LBB29_11:
	s_or_b64 exec, exec, s[6:7]
	s_cbranch_execz .LBB29_13
	s_branch .LBB29_18
.LBB29_12:
                                        ; implicit-def: $vgpr11
                                        ; implicit-def: $vgpr10
.LBB29_13:
	v_mov_b32_e32 v11, 0
	v_mov_b32_e32 v10, 0
	s_and_saveexec_b64 s[6:7], s[0:1]
	s_cbranch_execz .LBB29_17
; %bb.14:
	v_mad_u64_u32 v[4:5], s[0:1], v2, 14, 13
	v_mov_b32_e32 v7, 0
	s_mov_b64 s[0:1], 0
	v_mov_b32_e32 v8, s11
	v_mov_b32_e32 v12, s13
	;; [unrolled: 1-line block ×5, first 2 shown]
.LBB29_15:                              ; =>This Inner Loop Header: Depth=1
	v_ashrrev_i32_e32 v3, 31, v2
	v_lshlrev_b64 v[17:18], 2, v[2:3]
	v_add_u32_e32 v6, -13, v4
	v_lshlrev_b64 v[19:20], 2, v[6:7]
	v_add_co_u32_e32 v17, vcc, s10, v17
	v_add_u32_e32 v14, -6, v4
	v_mov_b32_e32 v15, v7
	v_addc_co_u32_e32 v18, vcc, v8, v18, vcc
	v_lshlrev_b64 v[14:15], 2, v[14:15]
	v_add_co_u32_e32 v19, vcc, s12, v19
	v_mov_b32_e32 v5, v7
	v_addc_co_u32_e32 v20, vcc, v12, v20, vcc
	v_lshlrev_b64 v[5:6], 2, v[4:5]
	v_add_co_u32_e32 v14, vcc, s12, v14
	v_addc_co_u32_e32 v15, vcc, v12, v15, vcc
	v_add_co_u32_e32 v5, vcc, s12, v5
	v_addc_co_u32_e32 v6, vcc, v12, v6, vcc
	global_load_dword v3, v[17:18], off
	global_load_dword v27, v[14:15], off
	;; [unrolled: 1-line block ×3, first 2 shown]
	global_load_dwordx2 v[21:22], v[19:20], off
	v_mov_b32_e32 v16, v7
	v_add_u32_e32 v2, 64, v2
	s_waitcnt vmcnt(3)
	v_subrev_u32_e32 v3, s18, v3
	v_mul_lo_u32 v15, v3, 7
	v_lshlrev_b64 v[16:17], 2, v[15:16]
	v_add_u32_e32 v6, 1, v15
	v_lshlrev_b64 v[18:19], 2, v[6:7]
	v_add_co_u32_e32 v16, vcc, s14, v16
	v_add_u32_e32 v6, -5, v4
	v_addc_co_u32_e32 v17, vcc, v13, v17, vcc
	v_lshlrev_b64 v[23:24], 2, v[6:7]
	v_add_co_u32_e32 v18, vcc, s14, v18
	v_add_u32_e32 v6, -11, v4
	v_addc_co_u32_e32 v19, vcc, v13, v19, vcc
	v_lshlrev_b64 v[25:26], 2, v[6:7]
	v_add_co_u32_e32 v23, vcc, s12, v23
	v_add_u32_e32 v6, 2, v15
	v_addc_co_u32_e32 v24, vcc, v12, v24, vcc
	global_load_dword v3, v[16:17], off
	global_load_dword v20, v[18:19], off
	v_lshlrev_b64 v[16:17], 2, v[6:7]
	v_add_co_u32_e32 v25, vcc, s12, v25
	v_add_u32_e32 v6, -4, v4
	v_addc_co_u32_e32 v26, vcc, v12, v26, vcc
	v_lshlrev_b64 v[18:19], 2, v[6:7]
	v_add_co_u32_e32 v16, vcc, s14, v16
	v_addc_co_u32_e32 v17, vcc, v13, v17, vcc
	v_add_co_u32_e32 v18, vcc, s12, v18
	v_add_u32_e32 v6, -10, v4
	v_addc_co_u32_e32 v19, vcc, v12, v19, vcc
	global_load_dword v29, v[23:24], off
	global_load_dword v30, v[25:26], off
	;; [unrolled: 1-line block ×3, first 2 shown]
	v_lshlrev_b64 v[23:24], 2, v[6:7]
	v_add_u32_e32 v6, 3, v15
	v_lshlrev_b64 v[25:26], 2, v[6:7]
	global_load_dword v31, v[16:17], off
	v_add_co_u32_e32 v16, vcc, s12, v23
	v_add_u32_e32 v6, -3, v4
	v_addc_co_u32_e32 v17, vcc, v12, v24, vcc
	v_lshlrev_b64 v[23:24], 2, v[6:7]
	global_load_dword v33, v[16:17], off
	v_add_co_u32_e32 v18, vcc, s14, v25
	v_add_u32_e32 v6, -9, v4
	v_addc_co_u32_e32 v19, vcc, v13, v26, vcc
	v_lshlrev_b64 v[25:26], 2, v[6:7]
	v_add_co_u32_e32 v16, vcc, s12, v23
	v_add_u32_e32 v6, 4, v15
	v_addc_co_u32_e32 v17, vcc, v12, v24, vcc
	v_lshlrev_b64 v[23:24], 2, v[6:7]
	global_load_dword v34, v[18:19], off
	v_add_co_u32_e32 v18, vcc, s12, v25
	v_add_u32_e32 v6, -2, v4
	v_addc_co_u32_e32 v19, vcc, v12, v26, vcc
	v_lshlrev_b64 v[25:26], 2, v[6:7]
	global_load_dword v35, v[16:17], off
	v_add_co_u32_e32 v16, vcc, s14, v23
	v_add_u32_e32 v6, -8, v4
	v_addc_co_u32_e32 v17, vcc, v13, v24, vcc
	v_lshlrev_b64 v[23:24], 2, v[6:7]
	global_load_dword v36, v[18:19], off
	v_add_co_u32_e32 v18, vcc, s12, v25
	v_add_u32_e32 v6, 5, v15
	v_addc_co_u32_e32 v19, vcc, v12, v26, vcc
	v_lshlrev_b64 v[25:26], 2, v[6:7]
	global_load_dword v37, v[16:17], off
	v_add_co_u32_e32 v16, vcc, s12, v23
	v_add_u32_e32 v6, -1, v4
	v_addc_co_u32_e32 v17, vcc, v12, v24, vcc
	v_lshlrev_b64 v[23:24], 2, v[6:7]
	v_add_u32_e32 v6, -7, v4
	v_add_co_u32_e32 v14, vcc, s14, v25
	global_load_dword v38, v[18:19], off
	global_load_dword v25, v[16:17], off
	v_lshlrev_b64 v[18:19], 2, v[6:7]
	v_add_u32_e32 v6, 6, v15
	v_addc_co_u32_e32 v15, vcc, v13, v26, vcc
	v_add_co_u32_e32 v16, vcc, s12, v23
	v_addc_co_u32_e32 v17, vcc, v12, v24, vcc
	v_lshlrev_b64 v[5:6], 2, v[6:7]
	global_load_dword v23, v[14:15], off
	v_add_co_u32_e32 v14, vcc, s12, v18
	v_addc_co_u32_e32 v15, vcc, v12, v19, vcc
	global_load_dword v16, v[16:17], off
	v_add_co_u32_e32 v5, vcc, s14, v5
	v_addc_co_u32_e32 v6, vcc, v13, v6, vcc
	global_load_dword v17, v[14:15], off
	global_load_dword v18, v[5:6], off
	s_waitcnt vmcnt(16)
	v_fmac_f32_e32 v10, v27, v3
	v_fmac_f32_e32 v11, v21, v3
	s_waitcnt vmcnt(15)
	v_fmac_f32_e32 v11, v22, v20
	s_waitcnt vmcnt(14)
	v_fmac_f32_e32 v10, v29, v20
	v_cmp_ge_i32_e32 vcc, v2, v9
	s_or_b64 s[0:1], vcc, s[0:1]
	v_add_u32_e32 v4, 0x380, v4
	s_waitcnt vmcnt(11)
	v_fmac_f32_e32 v11, v30, v31
	v_fmac_f32_e32 v10, v32, v31
	s_waitcnt vmcnt(9)
	v_fmac_f32_e32 v11, v33, v34
	s_waitcnt vmcnt(8)
	;; [unrolled: 2-line block ×7, first 2 shown]
	v_fmac_f32_e32 v11, v17, v18
	v_fmac_f32_e32 v10, v28, v18
	s_andn2_b64 exec, exec, s[0:1]
	s_cbranch_execnz .LBB29_15
; %bb.16:
	s_or_b64 exec, exec, s[0:1]
.LBB29_17:
	s_or_b64 exec, exec, s[6:7]
.LBB29_18:
	v_mov_b32_dpp v2, v11 row_shr:1 row_mask:0xf bank_mask:0xf
	v_mov_b32_dpp v4, v10 row_shr:1 row_mask:0xf bank_mask:0xf
	v_add_f32_e32 v2, v11, v2
	v_add_f32_e32 v4, v10, v4
	v_cmp_eq_u32_e32 vcc, 63, v0
	v_mov_b32_dpp v3, v2 row_shr:2 row_mask:0xf bank_mask:0xf
	v_mov_b32_dpp v5, v4 row_shr:2 row_mask:0xf bank_mask:0xf
	v_add_f32_e32 v2, v2, v3
	v_add_f32_e32 v4, v4, v5
	s_nop 0
	v_mov_b32_dpp v3, v2 row_shr:4 row_mask:0xf bank_mask:0xe
	v_mov_b32_dpp v5, v4 row_shr:4 row_mask:0xf bank_mask:0xe
	v_add_f32_e32 v2, v2, v3
	v_add_f32_e32 v4, v4, v5
	s_nop 0
	;; [unrolled: 5-line block ×3, first 2 shown]
	v_mov_b32_dpp v3, v2 row_bcast:15 row_mask:0xa bank_mask:0xf
	v_mov_b32_dpp v5, v4 row_bcast:15 row_mask:0xa bank_mask:0xf
	v_add_f32_e32 v2, v2, v3
	v_add_f32_e32 v4, v4, v5
	s_nop 0
	v_mov_b32_dpp v3, v2 row_bcast:31 row_mask:0xc bank_mask:0xf
	v_mov_b32_dpp v5, v4 row_bcast:31 row_mask:0xc bank_mask:0xf
	s_and_b64 exec, exec, vcc
	s_cbranch_execz .LBB29_22
; %bb.19:
	s_load_dwordx2 s[0:1], s[4:5], 0x38
	v_add_f32_e32 v0, v2, v3
	v_add_f32_e32 v3, v4, v5
	v_cmp_eq_f32_e64 s[4:5], s2, 0
	s_and_b64 vcc, exec, s[4:5]
	v_mul_f32_e32 v2, s16, v0
	v_mul_f32_e32 v3, s16, v3
	v_lshlrev_b32_e32 v0, 1, v1
	s_cbranch_vccz .LBB29_23
; %bb.20:
	v_ashrrev_i32_e32 v1, 31, v0
	v_lshlrev_b64 v[4:5], 2, v[0:1]
	s_waitcnt lgkmcnt(0)
	v_mov_b32_e32 v1, s1
	v_add_co_u32_e32 v4, vcc, s0, v4
	v_addc_co_u32_e32 v5, vcc, v1, v5, vcc
	global_store_dwordx2 v[4:5], v[2:3], off
	s_cbranch_execnz .LBB29_22
.LBB29_21:
	v_ashrrev_i32_e32 v1, 31, v0
	v_lshlrev_b64 v[0:1], 2, v[0:1]
	s_waitcnt lgkmcnt(0)
	v_mov_b32_e32 v4, s1
	v_add_co_u32_e32 v0, vcc, s0, v0
	v_addc_co_u32_e32 v1, vcc, v4, v1, vcc
	global_load_dwordx2 v[4:5], v[0:1], off
	s_waitcnt vmcnt(0)
	v_fmac_f32_e32 v2, s2, v4
	v_fmac_f32_e32 v3, s2, v5
	global_store_dwordx2 v[0:1], v[2:3], off
.LBB29_22:
	s_endpgm
.LBB29_23:
	s_branch .LBB29_21
	.section	.rodata,"a",@progbits
	.p2align	6, 0x0
	.amdhsa_kernel _ZN9rocsparseL19gebsrmvn_2xn_kernelILj128ELj7ELj64EfEEvi20rocsparse_direction_NS_24const_host_device_scalarIT2_EEPKiS6_PKS3_S8_S4_PS3_21rocsparse_index_base_b
		.amdhsa_group_segment_fixed_size 0
		.amdhsa_private_segment_fixed_size 0
		.amdhsa_kernarg_size 72
		.amdhsa_user_sgpr_count 6
		.amdhsa_user_sgpr_private_segment_buffer 1
		.amdhsa_user_sgpr_dispatch_ptr 0
		.amdhsa_user_sgpr_queue_ptr 0
		.amdhsa_user_sgpr_kernarg_segment_ptr 1
		.amdhsa_user_sgpr_dispatch_id 0
		.amdhsa_user_sgpr_flat_scratch_init 0
		.amdhsa_user_sgpr_private_segment_size 0
		.amdhsa_uses_dynamic_stack 0
		.amdhsa_system_sgpr_private_segment_wavefront_offset 0
		.amdhsa_system_sgpr_workgroup_id_x 1
		.amdhsa_system_sgpr_workgroup_id_y 0
		.amdhsa_system_sgpr_workgroup_id_z 0
		.amdhsa_system_sgpr_workgroup_info 0
		.amdhsa_system_vgpr_workitem_id 0
		.amdhsa_next_free_vgpr 39
		.amdhsa_next_free_sgpr 20
		.amdhsa_reserve_vcc 1
		.amdhsa_reserve_flat_scratch 0
		.amdhsa_float_round_mode_32 0
		.amdhsa_float_round_mode_16_64 0
		.amdhsa_float_denorm_mode_32 3
		.amdhsa_float_denorm_mode_16_64 3
		.amdhsa_dx10_clamp 1
		.amdhsa_ieee_mode 1
		.amdhsa_fp16_overflow 0
		.amdhsa_exception_fp_ieee_invalid_op 0
		.amdhsa_exception_fp_denorm_src 0
		.amdhsa_exception_fp_ieee_div_zero 0
		.amdhsa_exception_fp_ieee_overflow 0
		.amdhsa_exception_fp_ieee_underflow 0
		.amdhsa_exception_fp_ieee_inexact 0
		.amdhsa_exception_int_div_zero 0
	.end_amdhsa_kernel
	.section	.text._ZN9rocsparseL19gebsrmvn_2xn_kernelILj128ELj7ELj64EfEEvi20rocsparse_direction_NS_24const_host_device_scalarIT2_EEPKiS6_PKS3_S8_S4_PS3_21rocsparse_index_base_b,"axG",@progbits,_ZN9rocsparseL19gebsrmvn_2xn_kernelILj128ELj7ELj64EfEEvi20rocsparse_direction_NS_24const_host_device_scalarIT2_EEPKiS6_PKS3_S8_S4_PS3_21rocsparse_index_base_b,comdat
.Lfunc_end29:
	.size	_ZN9rocsparseL19gebsrmvn_2xn_kernelILj128ELj7ELj64EfEEvi20rocsparse_direction_NS_24const_host_device_scalarIT2_EEPKiS6_PKS3_S8_S4_PS3_21rocsparse_index_base_b, .Lfunc_end29-_ZN9rocsparseL19gebsrmvn_2xn_kernelILj128ELj7ELj64EfEEvi20rocsparse_direction_NS_24const_host_device_scalarIT2_EEPKiS6_PKS3_S8_S4_PS3_21rocsparse_index_base_b
                                        ; -- End function
	.set _ZN9rocsparseL19gebsrmvn_2xn_kernelILj128ELj7ELj64EfEEvi20rocsparse_direction_NS_24const_host_device_scalarIT2_EEPKiS6_PKS3_S8_S4_PS3_21rocsparse_index_base_b.num_vgpr, 39
	.set _ZN9rocsparseL19gebsrmvn_2xn_kernelILj128ELj7ELj64EfEEvi20rocsparse_direction_NS_24const_host_device_scalarIT2_EEPKiS6_PKS3_S8_S4_PS3_21rocsparse_index_base_b.num_agpr, 0
	.set _ZN9rocsparseL19gebsrmvn_2xn_kernelILj128ELj7ELj64EfEEvi20rocsparse_direction_NS_24const_host_device_scalarIT2_EEPKiS6_PKS3_S8_S4_PS3_21rocsparse_index_base_b.numbered_sgpr, 20
	.set _ZN9rocsparseL19gebsrmvn_2xn_kernelILj128ELj7ELj64EfEEvi20rocsparse_direction_NS_24const_host_device_scalarIT2_EEPKiS6_PKS3_S8_S4_PS3_21rocsparse_index_base_b.num_named_barrier, 0
	.set _ZN9rocsparseL19gebsrmvn_2xn_kernelILj128ELj7ELj64EfEEvi20rocsparse_direction_NS_24const_host_device_scalarIT2_EEPKiS6_PKS3_S8_S4_PS3_21rocsparse_index_base_b.private_seg_size, 0
	.set _ZN9rocsparseL19gebsrmvn_2xn_kernelILj128ELj7ELj64EfEEvi20rocsparse_direction_NS_24const_host_device_scalarIT2_EEPKiS6_PKS3_S8_S4_PS3_21rocsparse_index_base_b.uses_vcc, 1
	.set _ZN9rocsparseL19gebsrmvn_2xn_kernelILj128ELj7ELj64EfEEvi20rocsparse_direction_NS_24const_host_device_scalarIT2_EEPKiS6_PKS3_S8_S4_PS3_21rocsparse_index_base_b.uses_flat_scratch, 0
	.set _ZN9rocsparseL19gebsrmvn_2xn_kernelILj128ELj7ELj64EfEEvi20rocsparse_direction_NS_24const_host_device_scalarIT2_EEPKiS6_PKS3_S8_S4_PS3_21rocsparse_index_base_b.has_dyn_sized_stack, 0
	.set _ZN9rocsparseL19gebsrmvn_2xn_kernelILj128ELj7ELj64EfEEvi20rocsparse_direction_NS_24const_host_device_scalarIT2_EEPKiS6_PKS3_S8_S4_PS3_21rocsparse_index_base_b.has_recursion, 0
	.set _ZN9rocsparseL19gebsrmvn_2xn_kernelILj128ELj7ELj64EfEEvi20rocsparse_direction_NS_24const_host_device_scalarIT2_EEPKiS6_PKS3_S8_S4_PS3_21rocsparse_index_base_b.has_indirect_call, 0
	.section	.AMDGPU.csdata,"",@progbits
; Kernel info:
; codeLenInByte = 1948
; TotalNumSgprs: 24
; NumVgprs: 39
; ScratchSize: 0
; MemoryBound: 0
; FloatMode: 240
; IeeeMode: 1
; LDSByteSize: 0 bytes/workgroup (compile time only)
; SGPRBlocks: 2
; VGPRBlocks: 9
; NumSGPRsForWavesPerEU: 24
; NumVGPRsForWavesPerEU: 39
; Occupancy: 6
; WaveLimiterHint : 1
; COMPUTE_PGM_RSRC2:SCRATCH_EN: 0
; COMPUTE_PGM_RSRC2:USER_SGPR: 6
; COMPUTE_PGM_RSRC2:TRAP_HANDLER: 0
; COMPUTE_PGM_RSRC2:TGID_X_EN: 1
; COMPUTE_PGM_RSRC2:TGID_Y_EN: 0
; COMPUTE_PGM_RSRC2:TGID_Z_EN: 0
; COMPUTE_PGM_RSRC2:TIDIG_COMP_CNT: 0
	.section	.text._ZN9rocsparseL19gebsrmvn_2xn_kernelILj128ELj8ELj4EfEEvi20rocsparse_direction_NS_24const_host_device_scalarIT2_EEPKiS6_PKS3_S8_S4_PS3_21rocsparse_index_base_b,"axG",@progbits,_ZN9rocsparseL19gebsrmvn_2xn_kernelILj128ELj8ELj4EfEEvi20rocsparse_direction_NS_24const_host_device_scalarIT2_EEPKiS6_PKS3_S8_S4_PS3_21rocsparse_index_base_b,comdat
	.globl	_ZN9rocsparseL19gebsrmvn_2xn_kernelILj128ELj8ELj4EfEEvi20rocsparse_direction_NS_24const_host_device_scalarIT2_EEPKiS6_PKS3_S8_S4_PS3_21rocsparse_index_base_b ; -- Begin function _ZN9rocsparseL19gebsrmvn_2xn_kernelILj128ELj8ELj4EfEEvi20rocsparse_direction_NS_24const_host_device_scalarIT2_EEPKiS6_PKS3_S8_S4_PS3_21rocsparse_index_base_b
	.p2align	8
	.type	_ZN9rocsparseL19gebsrmvn_2xn_kernelILj128ELj8ELj4EfEEvi20rocsparse_direction_NS_24const_host_device_scalarIT2_EEPKiS6_PKS3_S8_S4_PS3_21rocsparse_index_base_b,@function
_ZN9rocsparseL19gebsrmvn_2xn_kernelILj128ELj8ELj4EfEEvi20rocsparse_direction_NS_24const_host_device_scalarIT2_EEPKiS6_PKS3_S8_S4_PS3_21rocsparse_index_base_b: ; @_ZN9rocsparseL19gebsrmvn_2xn_kernelILj128ELj8ELj4EfEEvi20rocsparse_direction_NS_24const_host_device_scalarIT2_EEPKiS6_PKS3_S8_S4_PS3_21rocsparse_index_base_b
; %bb.0:
	s_load_dwordx2 s[18:19], s[4:5], 0x40
	s_load_dwordx2 s[16:17], s[4:5], 0x8
	;; [unrolled: 1-line block ×3, first 2 shown]
	s_waitcnt lgkmcnt(0)
	s_bitcmp1_b32 s19, 0
	s_cselect_b64 s[8:9], -1, 0
	s_xor_b64 s[0:1], s[8:9], -1
	s_and_b64 vcc, exec, s[8:9]
	s_cbranch_vccnz .LBB30_2
; %bb.1:
	s_load_dword s16, s[16:17], 0x0
.LBB30_2:
	s_andn2_b64 vcc, exec, s[0:1]
	s_cbranch_vccnz .LBB30_4
; %bb.3:
	s_load_dword s2, s[2:3], 0x0
.LBB30_4:
	s_waitcnt lgkmcnt(0)
	v_cmp_eq_f32_e64 s[0:1], s16, 0
	v_cmp_eq_f32_e64 s[8:9], s2, 1.0
	s_and_b64 s[0:1], s[0:1], s[8:9]
	s_and_b64 vcc, exec, s[0:1]
	s_cbranch_vccnz .LBB30_22
; %bb.5:
	s_load_dwordx2 s[0:1], s[4:5], 0x0
	v_lshrrev_b32_e32 v1, 2, v0
	v_lshl_or_b32 v1, s6, 5, v1
	s_waitcnt lgkmcnt(0)
	v_cmp_gt_i32_e32 vcc, s0, v1
	s_and_saveexec_b64 s[6:7], vcc
	s_cbranch_execz .LBB30_22
; %bb.6:
	s_load_dwordx8 s[8:15], s[4:5], 0x10
	v_ashrrev_i32_e32 v2, 31, v1
	v_lshlrev_b64 v[2:3], 2, v[1:2]
	v_and_b32_e32 v0, 3, v0
	s_cmp_lg_u32 s1, 0
	s_waitcnt lgkmcnt(0)
	v_mov_b32_e32 v4, s9
	v_add_co_u32_e32 v2, vcc, s8, v2
	v_addc_co_u32_e32 v3, vcc, v4, v3, vcc
	global_load_dwordx2 v[2:3], v[2:3], off
	s_waitcnt vmcnt(0)
	v_subrev_u32_e32 v2, s18, v2
	v_subrev_u32_e32 v7, s18, v3
	v_add_u32_e32 v2, v2, v0
	v_cmp_lt_i32_e64 s[0:1], v2, v7
	s_cbranch_scc0 .LBB30_12
; %bb.7:
	v_mov_b32_e32 v8, 0
	v_mov_b32_e32 v9, 0
	s_and_saveexec_b64 s[6:7], s[0:1]
	s_cbranch_execz .LBB30_11
; %bb.8:
	v_mov_b32_e32 v4, 0
	v_lshlrev_b32_e32 v3, 4, v2
	s_mov_b64 s[8:9], 0
	v_mov_b32_e32 v10, s11
	v_mov_b32_e32 v11, s13
	;; [unrolled: 1-line block ×6, first 2 shown]
.LBB30_9:                               ; =>This Inner Loop Header: Depth=1
	v_lshlrev_b64 v[13:14], 2, v[3:4]
	v_ashrrev_i32_e32 v6, 31, v5
	v_lshlrev_b64 v[15:16], 2, v[5:6]
	v_add_co_u32_e32 v21, vcc, s12, v13
	v_addc_co_u32_e32 v22, vcc, v11, v14, vcc
	v_add_co_u32_e32 v19, vcc, s10, v15
	v_addc_co_u32_e32 v20, vcc, v10, v16, vcc
	global_load_dwordx4 v[13:16], v[21:22], off
	global_load_dword v6, v[19:20], off
	v_mov_b32_e32 v18, v4
	v_add_u32_e32 v5, 4, v5
	v_add_u32_e32 v3, 64, v3
	s_waitcnt vmcnt(0)
	v_subrev_u32_e32 v6, s18, v6
	v_lshlrev_b32_e32 v17, 3, v6
	v_lshlrev_b64 v[17:18], 2, v[17:18]
	v_add_co_u32_e32 v23, vcc, s14, v17
	v_addc_co_u32_e32 v24, vcc, v12, v18, vcc
	global_load_dwordx4 v[17:20], v[23:24], off
	v_cmp_ge_i32_e32 vcc, v5, v7
	s_or_b64 s[8:9], vcc, s[8:9]
	s_waitcnt vmcnt(0)
	v_fmac_f32_e32 v8, v13, v17
	v_fmac_f32_e32 v9, v14, v17
	;; [unrolled: 1-line block ×4, first 2 shown]
	global_load_dwordx4 v[13:16], v[21:22], off offset:16
	s_waitcnt vmcnt(0)
	v_fmac_f32_e32 v8, v13, v19
	v_fmac_f32_e32 v9, v14, v19
	;; [unrolled: 1-line block ×4, first 2 shown]
	global_load_dwordx4 v[13:16], v[21:22], off offset:32
	global_load_dwordx4 v[17:20], v[23:24], off offset:16
	s_waitcnt vmcnt(0)
	v_fmac_f32_e32 v8, v13, v17
	v_fmac_f32_e32 v9, v14, v17
	;; [unrolled: 1-line block ×4, first 2 shown]
	global_load_dwordx4 v[13:16], v[21:22], off offset:48
	s_waitcnt vmcnt(0)
	v_fmac_f32_e32 v8, v13, v19
	v_fmac_f32_e32 v9, v14, v19
	;; [unrolled: 1-line block ×4, first 2 shown]
	s_andn2_b64 exec, exec, s[8:9]
	s_cbranch_execnz .LBB30_9
; %bb.10:
	s_or_b64 exec, exec, s[8:9]
.LBB30_11:
	s_or_b64 exec, exec, s[6:7]
	s_cbranch_execz .LBB30_13
	s_branch .LBB30_18
.LBB30_12:
                                        ; implicit-def: $vgpr8
                                        ; implicit-def: $vgpr9
.LBB30_13:
	v_mov_b32_e32 v8, 0
	v_mov_b32_e32 v9, 0
	s_and_saveexec_b64 s[6:7], s[0:1]
	s_cbranch_execz .LBB30_17
; %bb.14:
	v_mov_b32_e32 v5, 0
	v_lshlrev_b32_e32 v4, 4, v2
	s_mov_b64 s[0:1], 0
	v_mov_b32_e32 v6, s11
	v_mov_b32_e32 v10, s13
	;; [unrolled: 1-line block ×5, first 2 shown]
.LBB30_15:                              ; =>This Inner Loop Header: Depth=1
	v_lshlrev_b64 v[12:13], 2, v[4:5]
	v_ashrrev_i32_e32 v3, 31, v2
	v_lshlrev_b64 v[14:15], 2, v[2:3]
	v_add_co_u32_e32 v20, vcc, s12, v12
	v_addc_co_u32_e32 v21, vcc, v10, v13, vcc
	v_add_co_u32_e32 v18, vcc, s10, v14
	v_addc_co_u32_e32 v19, vcc, v6, v15, vcc
	global_load_dwordx4 v[12:15], v[20:21], off
	global_load_dword v3, v[18:19], off
	v_mov_b32_e32 v17, v5
	v_add_u32_e32 v2, 4, v2
	v_add_u32_e32 v4, 64, v4
	s_waitcnt vmcnt(0)
	v_subrev_u32_e32 v3, s18, v3
	v_lshlrev_b32_e32 v16, 3, v3
	v_lshlrev_b64 v[16:17], 2, v[16:17]
	v_add_co_u32_e32 v22, vcc, s14, v16
	v_addc_co_u32_e32 v23, vcc, v11, v17, vcc
	global_load_dwordx4 v[16:19], v[22:23], off
	v_cmp_ge_i32_e32 vcc, v2, v7
	s_or_b64 s[0:1], vcc, s[0:1]
	s_waitcnt vmcnt(0)
	v_fmac_f32_e32 v8, v12, v16
	v_fmac_f32_e32 v8, v13, v17
	;; [unrolled: 1-line block ×4, first 2 shown]
	global_load_dwordx4 v[12:15], v[20:21], off offset:32
	s_waitcnt vmcnt(0)
	v_fmac_f32_e32 v9, v12, v16
	v_fmac_f32_e32 v9, v13, v17
	v_fmac_f32_e32 v9, v14, v18
	v_fmac_f32_e32 v9, v15, v19
	global_load_dwordx4 v[12:15], v[20:21], off offset:16
	global_load_dwordx4 v[16:19], v[22:23], off offset:16
	s_waitcnt vmcnt(0)
	v_fmac_f32_e32 v8, v12, v16
	v_fmac_f32_e32 v8, v13, v17
	;; [unrolled: 1-line block ×4, first 2 shown]
	global_load_dwordx4 v[12:15], v[20:21], off offset:48
	s_waitcnt vmcnt(0)
	v_fmac_f32_e32 v9, v12, v16
	v_fmac_f32_e32 v9, v13, v17
	;; [unrolled: 1-line block ×4, first 2 shown]
	s_andn2_b64 exec, exec, s[0:1]
	s_cbranch_execnz .LBB30_15
; %bb.16:
	s_or_b64 exec, exec, s[0:1]
.LBB30_17:
	s_or_b64 exec, exec, s[6:7]
.LBB30_18:
	v_mov_b32_dpp v2, v8 row_shr:1 row_mask:0xf bank_mask:0xf
	v_mov_b32_dpp v4, v9 row_shr:1 row_mask:0xf bank_mask:0xf
	v_add_f32_e32 v2, v8, v2
	v_add_f32_e32 v4, v9, v4
	v_cmp_eq_u32_e32 vcc, 3, v0
	v_mov_b32_dpp v3, v2 row_shr:2 row_mask:0xf bank_mask:0xf
	v_mov_b32_dpp v5, v4 row_shr:2 row_mask:0xf bank_mask:0xf
	s_and_b64 exec, exec, vcc
	s_cbranch_execz .LBB30_22
; %bb.19:
	s_load_dwordx2 s[0:1], s[4:5], 0x38
	v_add_f32_e32 v0, v2, v3
	v_add_f32_e32 v3, v4, v5
	v_cmp_eq_f32_e64 s[4:5], s2, 0
	s_and_b64 vcc, exec, s[4:5]
	v_mul_f32_e32 v2, s16, v0
	v_mul_f32_e32 v3, s16, v3
	v_lshlrev_b32_e32 v0, 1, v1
	s_cbranch_vccz .LBB30_23
; %bb.20:
	v_ashrrev_i32_e32 v1, 31, v0
	v_lshlrev_b64 v[4:5], 2, v[0:1]
	s_waitcnt lgkmcnt(0)
	v_mov_b32_e32 v1, s1
	v_add_co_u32_e32 v4, vcc, s0, v4
	v_addc_co_u32_e32 v5, vcc, v1, v5, vcc
	global_store_dwordx2 v[4:5], v[2:3], off
	s_cbranch_execnz .LBB30_22
.LBB30_21:
	v_ashrrev_i32_e32 v1, 31, v0
	v_lshlrev_b64 v[0:1], 2, v[0:1]
	s_waitcnt lgkmcnt(0)
	v_mov_b32_e32 v4, s1
	v_add_co_u32_e32 v0, vcc, s0, v0
	v_addc_co_u32_e32 v1, vcc, v4, v1, vcc
	global_load_dwordx2 v[4:5], v[0:1], off
	s_waitcnt vmcnt(0)
	v_fmac_f32_e32 v2, s2, v4
	v_fmac_f32_e32 v3, s2, v5
	global_store_dwordx2 v[0:1], v[2:3], off
.LBB30_22:
	s_endpgm
.LBB30_23:
	s_branch .LBB30_21
	.section	.rodata,"a",@progbits
	.p2align	6, 0x0
	.amdhsa_kernel _ZN9rocsparseL19gebsrmvn_2xn_kernelILj128ELj8ELj4EfEEvi20rocsparse_direction_NS_24const_host_device_scalarIT2_EEPKiS6_PKS3_S8_S4_PS3_21rocsparse_index_base_b
		.amdhsa_group_segment_fixed_size 0
		.amdhsa_private_segment_fixed_size 0
		.amdhsa_kernarg_size 72
		.amdhsa_user_sgpr_count 6
		.amdhsa_user_sgpr_private_segment_buffer 1
		.amdhsa_user_sgpr_dispatch_ptr 0
		.amdhsa_user_sgpr_queue_ptr 0
		.amdhsa_user_sgpr_kernarg_segment_ptr 1
		.amdhsa_user_sgpr_dispatch_id 0
		.amdhsa_user_sgpr_flat_scratch_init 0
		.amdhsa_user_sgpr_private_segment_size 0
		.amdhsa_uses_dynamic_stack 0
		.amdhsa_system_sgpr_private_segment_wavefront_offset 0
		.amdhsa_system_sgpr_workgroup_id_x 1
		.amdhsa_system_sgpr_workgroup_id_y 0
		.amdhsa_system_sgpr_workgroup_id_z 0
		.amdhsa_system_sgpr_workgroup_info 0
		.amdhsa_system_vgpr_workitem_id 0
		.amdhsa_next_free_vgpr 25
		.amdhsa_next_free_sgpr 20
		.amdhsa_reserve_vcc 1
		.amdhsa_reserve_flat_scratch 0
		.amdhsa_float_round_mode_32 0
		.amdhsa_float_round_mode_16_64 0
		.amdhsa_float_denorm_mode_32 3
		.amdhsa_float_denorm_mode_16_64 3
		.amdhsa_dx10_clamp 1
		.amdhsa_ieee_mode 1
		.amdhsa_fp16_overflow 0
		.amdhsa_exception_fp_ieee_invalid_op 0
		.amdhsa_exception_fp_denorm_src 0
		.amdhsa_exception_fp_ieee_div_zero 0
		.amdhsa_exception_fp_ieee_overflow 0
		.amdhsa_exception_fp_ieee_underflow 0
		.amdhsa_exception_fp_ieee_inexact 0
		.amdhsa_exception_int_div_zero 0
	.end_amdhsa_kernel
	.section	.text._ZN9rocsparseL19gebsrmvn_2xn_kernelILj128ELj8ELj4EfEEvi20rocsparse_direction_NS_24const_host_device_scalarIT2_EEPKiS6_PKS3_S8_S4_PS3_21rocsparse_index_base_b,"axG",@progbits,_ZN9rocsparseL19gebsrmvn_2xn_kernelILj128ELj8ELj4EfEEvi20rocsparse_direction_NS_24const_host_device_scalarIT2_EEPKiS6_PKS3_S8_S4_PS3_21rocsparse_index_base_b,comdat
.Lfunc_end30:
	.size	_ZN9rocsparseL19gebsrmvn_2xn_kernelILj128ELj8ELj4EfEEvi20rocsparse_direction_NS_24const_host_device_scalarIT2_EEPKiS6_PKS3_S8_S4_PS3_21rocsparse_index_base_b, .Lfunc_end30-_ZN9rocsparseL19gebsrmvn_2xn_kernelILj128ELj8ELj4EfEEvi20rocsparse_direction_NS_24const_host_device_scalarIT2_EEPKiS6_PKS3_S8_S4_PS3_21rocsparse_index_base_b
                                        ; -- End function
	.set _ZN9rocsparseL19gebsrmvn_2xn_kernelILj128ELj8ELj4EfEEvi20rocsparse_direction_NS_24const_host_device_scalarIT2_EEPKiS6_PKS3_S8_S4_PS3_21rocsparse_index_base_b.num_vgpr, 25
	.set _ZN9rocsparseL19gebsrmvn_2xn_kernelILj128ELj8ELj4EfEEvi20rocsparse_direction_NS_24const_host_device_scalarIT2_EEPKiS6_PKS3_S8_S4_PS3_21rocsparse_index_base_b.num_agpr, 0
	.set _ZN9rocsparseL19gebsrmvn_2xn_kernelILj128ELj8ELj4EfEEvi20rocsparse_direction_NS_24const_host_device_scalarIT2_EEPKiS6_PKS3_S8_S4_PS3_21rocsparse_index_base_b.numbered_sgpr, 20
	.set _ZN9rocsparseL19gebsrmvn_2xn_kernelILj128ELj8ELj4EfEEvi20rocsparse_direction_NS_24const_host_device_scalarIT2_EEPKiS6_PKS3_S8_S4_PS3_21rocsparse_index_base_b.num_named_barrier, 0
	.set _ZN9rocsparseL19gebsrmvn_2xn_kernelILj128ELj8ELj4EfEEvi20rocsparse_direction_NS_24const_host_device_scalarIT2_EEPKiS6_PKS3_S8_S4_PS3_21rocsparse_index_base_b.private_seg_size, 0
	.set _ZN9rocsparseL19gebsrmvn_2xn_kernelILj128ELj8ELj4EfEEvi20rocsparse_direction_NS_24const_host_device_scalarIT2_EEPKiS6_PKS3_S8_S4_PS3_21rocsparse_index_base_b.uses_vcc, 1
	.set _ZN9rocsparseL19gebsrmvn_2xn_kernelILj128ELj8ELj4EfEEvi20rocsparse_direction_NS_24const_host_device_scalarIT2_EEPKiS6_PKS3_S8_S4_PS3_21rocsparse_index_base_b.uses_flat_scratch, 0
	.set _ZN9rocsparseL19gebsrmvn_2xn_kernelILj128ELj8ELj4EfEEvi20rocsparse_direction_NS_24const_host_device_scalarIT2_EEPKiS6_PKS3_S8_S4_PS3_21rocsparse_index_base_b.has_dyn_sized_stack, 0
	.set _ZN9rocsparseL19gebsrmvn_2xn_kernelILj128ELj8ELj4EfEEvi20rocsparse_direction_NS_24const_host_device_scalarIT2_EEPKiS6_PKS3_S8_S4_PS3_21rocsparse_index_base_b.has_recursion, 0
	.set _ZN9rocsparseL19gebsrmvn_2xn_kernelILj128ELj8ELj4EfEEvi20rocsparse_direction_NS_24const_host_device_scalarIT2_EEPKiS6_PKS3_S8_S4_PS3_21rocsparse_index_base_b.has_indirect_call, 0
	.section	.AMDGPU.csdata,"",@progbits
; Kernel info:
; codeLenInByte = 1000
; TotalNumSgprs: 24
; NumVgprs: 25
; ScratchSize: 0
; MemoryBound: 0
; FloatMode: 240
; IeeeMode: 1
; LDSByteSize: 0 bytes/workgroup (compile time only)
; SGPRBlocks: 2
; VGPRBlocks: 6
; NumSGPRsForWavesPerEU: 24
; NumVGPRsForWavesPerEU: 25
; Occupancy: 9
; WaveLimiterHint : 1
; COMPUTE_PGM_RSRC2:SCRATCH_EN: 0
; COMPUTE_PGM_RSRC2:USER_SGPR: 6
; COMPUTE_PGM_RSRC2:TRAP_HANDLER: 0
; COMPUTE_PGM_RSRC2:TGID_X_EN: 1
; COMPUTE_PGM_RSRC2:TGID_Y_EN: 0
; COMPUTE_PGM_RSRC2:TGID_Z_EN: 0
; COMPUTE_PGM_RSRC2:TIDIG_COMP_CNT: 0
	.section	.text._ZN9rocsparseL19gebsrmvn_2xn_kernelILj128ELj8ELj8EfEEvi20rocsparse_direction_NS_24const_host_device_scalarIT2_EEPKiS6_PKS3_S8_S4_PS3_21rocsparse_index_base_b,"axG",@progbits,_ZN9rocsparseL19gebsrmvn_2xn_kernelILj128ELj8ELj8EfEEvi20rocsparse_direction_NS_24const_host_device_scalarIT2_EEPKiS6_PKS3_S8_S4_PS3_21rocsparse_index_base_b,comdat
	.globl	_ZN9rocsparseL19gebsrmvn_2xn_kernelILj128ELj8ELj8EfEEvi20rocsparse_direction_NS_24const_host_device_scalarIT2_EEPKiS6_PKS3_S8_S4_PS3_21rocsparse_index_base_b ; -- Begin function _ZN9rocsparseL19gebsrmvn_2xn_kernelILj128ELj8ELj8EfEEvi20rocsparse_direction_NS_24const_host_device_scalarIT2_EEPKiS6_PKS3_S8_S4_PS3_21rocsparse_index_base_b
	.p2align	8
	.type	_ZN9rocsparseL19gebsrmvn_2xn_kernelILj128ELj8ELj8EfEEvi20rocsparse_direction_NS_24const_host_device_scalarIT2_EEPKiS6_PKS3_S8_S4_PS3_21rocsparse_index_base_b,@function
_ZN9rocsparseL19gebsrmvn_2xn_kernelILj128ELj8ELj8EfEEvi20rocsparse_direction_NS_24const_host_device_scalarIT2_EEPKiS6_PKS3_S8_S4_PS3_21rocsparse_index_base_b: ; @_ZN9rocsparseL19gebsrmvn_2xn_kernelILj128ELj8ELj8EfEEvi20rocsparse_direction_NS_24const_host_device_scalarIT2_EEPKiS6_PKS3_S8_S4_PS3_21rocsparse_index_base_b
; %bb.0:
	s_load_dwordx2 s[18:19], s[4:5], 0x40
	s_load_dwordx2 s[16:17], s[4:5], 0x8
	;; [unrolled: 1-line block ×3, first 2 shown]
	s_waitcnt lgkmcnt(0)
	s_bitcmp1_b32 s19, 0
	s_cselect_b64 s[8:9], -1, 0
	s_xor_b64 s[0:1], s[8:9], -1
	s_and_b64 vcc, exec, s[8:9]
	s_cbranch_vccnz .LBB31_2
; %bb.1:
	s_load_dword s16, s[16:17], 0x0
.LBB31_2:
	s_andn2_b64 vcc, exec, s[0:1]
	s_cbranch_vccnz .LBB31_4
; %bb.3:
	s_load_dword s2, s[2:3], 0x0
.LBB31_4:
	s_waitcnt lgkmcnt(0)
	v_cmp_eq_f32_e64 s[0:1], s16, 0
	v_cmp_eq_f32_e64 s[8:9], s2, 1.0
	s_and_b64 s[0:1], s[0:1], s[8:9]
	s_and_b64 vcc, exec, s[0:1]
	s_cbranch_vccnz .LBB31_22
; %bb.5:
	s_load_dwordx2 s[0:1], s[4:5], 0x0
	v_lshrrev_b32_e32 v1, 3, v0
	v_lshl_or_b32 v1, s6, 4, v1
	s_waitcnt lgkmcnt(0)
	v_cmp_gt_i32_e32 vcc, s0, v1
	s_and_saveexec_b64 s[6:7], vcc
	s_cbranch_execz .LBB31_22
; %bb.6:
	s_load_dwordx8 s[8:15], s[4:5], 0x10
	v_ashrrev_i32_e32 v2, 31, v1
	v_lshlrev_b64 v[2:3], 2, v[1:2]
	v_and_b32_e32 v0, 7, v0
	s_cmp_lg_u32 s1, 0
	s_waitcnt lgkmcnt(0)
	v_mov_b32_e32 v4, s9
	v_add_co_u32_e32 v2, vcc, s8, v2
	v_addc_co_u32_e32 v3, vcc, v4, v3, vcc
	global_load_dwordx2 v[2:3], v[2:3], off
	s_waitcnt vmcnt(0)
	v_subrev_u32_e32 v2, s18, v2
	v_subrev_u32_e32 v7, s18, v3
	v_add_u32_e32 v2, v2, v0
	v_cmp_lt_i32_e64 s[0:1], v2, v7
	s_cbranch_scc0 .LBB31_12
; %bb.7:
	v_mov_b32_e32 v8, 0
	v_mov_b32_e32 v9, 0
	s_and_saveexec_b64 s[6:7], s[0:1]
	s_cbranch_execz .LBB31_11
; %bb.8:
	v_mov_b32_e32 v4, 0
	v_lshlrev_b32_e32 v3, 4, v2
	s_mov_b64 s[8:9], 0
	v_mov_b32_e32 v10, s11
	v_mov_b32_e32 v11, s13
	;; [unrolled: 1-line block ×6, first 2 shown]
.LBB31_9:                               ; =>This Inner Loop Header: Depth=1
	v_lshlrev_b64 v[13:14], 2, v[3:4]
	v_ashrrev_i32_e32 v6, 31, v5
	v_lshlrev_b64 v[15:16], 2, v[5:6]
	v_add_co_u32_e32 v21, vcc, s12, v13
	v_addc_co_u32_e32 v22, vcc, v11, v14, vcc
	v_add_co_u32_e32 v19, vcc, s10, v15
	v_addc_co_u32_e32 v20, vcc, v10, v16, vcc
	global_load_dwordx4 v[13:16], v[21:22], off
	global_load_dword v6, v[19:20], off
	v_mov_b32_e32 v18, v4
	v_add_u32_e32 v5, 8, v5
	v_add_u32_e32 v3, 0x80, v3
	s_waitcnt vmcnt(0)
	v_subrev_u32_e32 v6, s18, v6
	v_lshlrev_b32_e32 v17, 3, v6
	v_lshlrev_b64 v[17:18], 2, v[17:18]
	v_add_co_u32_e32 v23, vcc, s14, v17
	v_addc_co_u32_e32 v24, vcc, v12, v18, vcc
	global_load_dwordx4 v[17:20], v[23:24], off
	v_cmp_ge_i32_e32 vcc, v5, v7
	s_or_b64 s[8:9], vcc, s[8:9]
	s_waitcnt vmcnt(0)
	v_fmac_f32_e32 v8, v13, v17
	v_fmac_f32_e32 v9, v14, v17
	;; [unrolled: 1-line block ×4, first 2 shown]
	global_load_dwordx4 v[13:16], v[21:22], off offset:16
	s_waitcnt vmcnt(0)
	v_fmac_f32_e32 v8, v13, v19
	v_fmac_f32_e32 v9, v14, v19
	;; [unrolled: 1-line block ×4, first 2 shown]
	global_load_dwordx4 v[13:16], v[21:22], off offset:32
	global_load_dwordx4 v[17:20], v[23:24], off offset:16
	s_waitcnt vmcnt(0)
	v_fmac_f32_e32 v8, v13, v17
	v_fmac_f32_e32 v9, v14, v17
	;; [unrolled: 1-line block ×4, first 2 shown]
	global_load_dwordx4 v[13:16], v[21:22], off offset:48
	s_waitcnt vmcnt(0)
	v_fmac_f32_e32 v8, v13, v19
	v_fmac_f32_e32 v9, v14, v19
	;; [unrolled: 1-line block ×4, first 2 shown]
	s_andn2_b64 exec, exec, s[8:9]
	s_cbranch_execnz .LBB31_9
; %bb.10:
	s_or_b64 exec, exec, s[8:9]
.LBB31_11:
	s_or_b64 exec, exec, s[6:7]
	s_cbranch_execz .LBB31_13
	s_branch .LBB31_18
.LBB31_12:
                                        ; implicit-def: $vgpr8
                                        ; implicit-def: $vgpr9
.LBB31_13:
	v_mov_b32_e32 v8, 0
	v_mov_b32_e32 v9, 0
	s_and_saveexec_b64 s[6:7], s[0:1]
	s_cbranch_execz .LBB31_17
; %bb.14:
	v_mov_b32_e32 v5, 0
	v_lshlrev_b32_e32 v4, 4, v2
	s_mov_b64 s[0:1], 0
	v_mov_b32_e32 v6, s11
	v_mov_b32_e32 v10, s13
	;; [unrolled: 1-line block ×5, first 2 shown]
.LBB31_15:                              ; =>This Inner Loop Header: Depth=1
	v_lshlrev_b64 v[12:13], 2, v[4:5]
	v_ashrrev_i32_e32 v3, 31, v2
	v_lshlrev_b64 v[14:15], 2, v[2:3]
	v_add_co_u32_e32 v20, vcc, s12, v12
	v_addc_co_u32_e32 v21, vcc, v10, v13, vcc
	v_add_co_u32_e32 v18, vcc, s10, v14
	v_addc_co_u32_e32 v19, vcc, v6, v15, vcc
	global_load_dwordx4 v[12:15], v[20:21], off
	global_load_dword v3, v[18:19], off
	v_mov_b32_e32 v17, v5
	v_add_u32_e32 v2, 8, v2
	v_add_u32_e32 v4, 0x80, v4
	s_waitcnt vmcnt(0)
	v_subrev_u32_e32 v3, s18, v3
	v_lshlrev_b32_e32 v16, 3, v3
	v_lshlrev_b64 v[16:17], 2, v[16:17]
	v_add_co_u32_e32 v22, vcc, s14, v16
	v_addc_co_u32_e32 v23, vcc, v11, v17, vcc
	global_load_dwordx4 v[16:19], v[22:23], off
	v_cmp_ge_i32_e32 vcc, v2, v7
	s_or_b64 s[0:1], vcc, s[0:1]
	s_waitcnt vmcnt(0)
	v_fmac_f32_e32 v8, v12, v16
	v_fmac_f32_e32 v8, v13, v17
	v_fmac_f32_e32 v8, v14, v18
	v_fmac_f32_e32 v8, v15, v19
	global_load_dwordx4 v[12:15], v[20:21], off offset:32
	s_waitcnt vmcnt(0)
	v_fmac_f32_e32 v9, v12, v16
	v_fmac_f32_e32 v9, v13, v17
	;; [unrolled: 1-line block ×4, first 2 shown]
	global_load_dwordx4 v[12:15], v[20:21], off offset:16
	global_load_dwordx4 v[16:19], v[22:23], off offset:16
	s_waitcnt vmcnt(0)
	v_fmac_f32_e32 v8, v12, v16
	v_fmac_f32_e32 v8, v13, v17
	v_fmac_f32_e32 v8, v14, v18
	v_fmac_f32_e32 v8, v15, v19
	global_load_dwordx4 v[12:15], v[20:21], off offset:48
	s_waitcnt vmcnt(0)
	v_fmac_f32_e32 v9, v12, v16
	v_fmac_f32_e32 v9, v13, v17
	;; [unrolled: 1-line block ×4, first 2 shown]
	s_andn2_b64 exec, exec, s[0:1]
	s_cbranch_execnz .LBB31_15
; %bb.16:
	s_or_b64 exec, exec, s[0:1]
.LBB31_17:
	s_or_b64 exec, exec, s[6:7]
.LBB31_18:
	v_mov_b32_dpp v2, v8 row_shr:1 row_mask:0xf bank_mask:0xf
	v_mov_b32_dpp v4, v9 row_shr:1 row_mask:0xf bank_mask:0xf
	v_add_f32_e32 v2, v8, v2
	v_add_f32_e32 v4, v9, v4
	v_cmp_eq_u32_e32 vcc, 7, v0
	v_mov_b32_dpp v3, v2 row_shr:2 row_mask:0xf bank_mask:0xf
	v_mov_b32_dpp v5, v4 row_shr:2 row_mask:0xf bank_mask:0xf
	v_add_f32_e32 v2, v2, v3
	v_add_f32_e32 v4, v4, v5
	s_nop 0
	v_mov_b32_dpp v3, v2 row_shr:4 row_mask:0xf bank_mask:0xe
	v_mov_b32_dpp v5, v4 row_shr:4 row_mask:0xf bank_mask:0xe
	s_and_b64 exec, exec, vcc
	s_cbranch_execz .LBB31_22
; %bb.19:
	s_load_dwordx2 s[0:1], s[4:5], 0x38
	v_add_f32_e32 v0, v2, v3
	v_add_f32_e32 v3, v4, v5
	v_cmp_eq_f32_e64 s[4:5], s2, 0
	s_and_b64 vcc, exec, s[4:5]
	v_mul_f32_e32 v2, s16, v0
	v_mul_f32_e32 v3, s16, v3
	v_lshlrev_b32_e32 v0, 1, v1
	s_cbranch_vccz .LBB31_23
; %bb.20:
	v_ashrrev_i32_e32 v1, 31, v0
	v_lshlrev_b64 v[4:5], 2, v[0:1]
	s_waitcnt lgkmcnt(0)
	v_mov_b32_e32 v1, s1
	v_add_co_u32_e32 v4, vcc, s0, v4
	v_addc_co_u32_e32 v5, vcc, v1, v5, vcc
	global_store_dwordx2 v[4:5], v[2:3], off
	s_cbranch_execnz .LBB31_22
.LBB31_21:
	v_ashrrev_i32_e32 v1, 31, v0
	v_lshlrev_b64 v[0:1], 2, v[0:1]
	s_waitcnt lgkmcnt(0)
	v_mov_b32_e32 v4, s1
	v_add_co_u32_e32 v0, vcc, s0, v0
	v_addc_co_u32_e32 v1, vcc, v4, v1, vcc
	global_load_dwordx2 v[4:5], v[0:1], off
	s_waitcnt vmcnt(0)
	v_fmac_f32_e32 v2, s2, v4
	v_fmac_f32_e32 v3, s2, v5
	global_store_dwordx2 v[0:1], v[2:3], off
.LBB31_22:
	s_endpgm
.LBB31_23:
	s_branch .LBB31_21
	.section	.rodata,"a",@progbits
	.p2align	6, 0x0
	.amdhsa_kernel _ZN9rocsparseL19gebsrmvn_2xn_kernelILj128ELj8ELj8EfEEvi20rocsparse_direction_NS_24const_host_device_scalarIT2_EEPKiS6_PKS3_S8_S4_PS3_21rocsparse_index_base_b
		.amdhsa_group_segment_fixed_size 0
		.amdhsa_private_segment_fixed_size 0
		.amdhsa_kernarg_size 72
		.amdhsa_user_sgpr_count 6
		.amdhsa_user_sgpr_private_segment_buffer 1
		.amdhsa_user_sgpr_dispatch_ptr 0
		.amdhsa_user_sgpr_queue_ptr 0
		.amdhsa_user_sgpr_kernarg_segment_ptr 1
		.amdhsa_user_sgpr_dispatch_id 0
		.amdhsa_user_sgpr_flat_scratch_init 0
		.amdhsa_user_sgpr_private_segment_size 0
		.amdhsa_uses_dynamic_stack 0
		.amdhsa_system_sgpr_private_segment_wavefront_offset 0
		.amdhsa_system_sgpr_workgroup_id_x 1
		.amdhsa_system_sgpr_workgroup_id_y 0
		.amdhsa_system_sgpr_workgroup_id_z 0
		.amdhsa_system_sgpr_workgroup_info 0
		.amdhsa_system_vgpr_workitem_id 0
		.amdhsa_next_free_vgpr 25
		.amdhsa_next_free_sgpr 20
		.amdhsa_reserve_vcc 1
		.amdhsa_reserve_flat_scratch 0
		.amdhsa_float_round_mode_32 0
		.amdhsa_float_round_mode_16_64 0
		.amdhsa_float_denorm_mode_32 3
		.amdhsa_float_denorm_mode_16_64 3
		.amdhsa_dx10_clamp 1
		.amdhsa_ieee_mode 1
		.amdhsa_fp16_overflow 0
		.amdhsa_exception_fp_ieee_invalid_op 0
		.amdhsa_exception_fp_denorm_src 0
		.amdhsa_exception_fp_ieee_div_zero 0
		.amdhsa_exception_fp_ieee_overflow 0
		.amdhsa_exception_fp_ieee_underflow 0
		.amdhsa_exception_fp_ieee_inexact 0
		.amdhsa_exception_int_div_zero 0
	.end_amdhsa_kernel
	.section	.text._ZN9rocsparseL19gebsrmvn_2xn_kernelILj128ELj8ELj8EfEEvi20rocsparse_direction_NS_24const_host_device_scalarIT2_EEPKiS6_PKS3_S8_S4_PS3_21rocsparse_index_base_b,"axG",@progbits,_ZN9rocsparseL19gebsrmvn_2xn_kernelILj128ELj8ELj8EfEEvi20rocsparse_direction_NS_24const_host_device_scalarIT2_EEPKiS6_PKS3_S8_S4_PS3_21rocsparse_index_base_b,comdat
.Lfunc_end31:
	.size	_ZN9rocsparseL19gebsrmvn_2xn_kernelILj128ELj8ELj8EfEEvi20rocsparse_direction_NS_24const_host_device_scalarIT2_EEPKiS6_PKS3_S8_S4_PS3_21rocsparse_index_base_b, .Lfunc_end31-_ZN9rocsparseL19gebsrmvn_2xn_kernelILj128ELj8ELj8EfEEvi20rocsparse_direction_NS_24const_host_device_scalarIT2_EEPKiS6_PKS3_S8_S4_PS3_21rocsparse_index_base_b
                                        ; -- End function
	.set _ZN9rocsparseL19gebsrmvn_2xn_kernelILj128ELj8ELj8EfEEvi20rocsparse_direction_NS_24const_host_device_scalarIT2_EEPKiS6_PKS3_S8_S4_PS3_21rocsparse_index_base_b.num_vgpr, 25
	.set _ZN9rocsparseL19gebsrmvn_2xn_kernelILj128ELj8ELj8EfEEvi20rocsparse_direction_NS_24const_host_device_scalarIT2_EEPKiS6_PKS3_S8_S4_PS3_21rocsparse_index_base_b.num_agpr, 0
	.set _ZN9rocsparseL19gebsrmvn_2xn_kernelILj128ELj8ELj8EfEEvi20rocsparse_direction_NS_24const_host_device_scalarIT2_EEPKiS6_PKS3_S8_S4_PS3_21rocsparse_index_base_b.numbered_sgpr, 20
	.set _ZN9rocsparseL19gebsrmvn_2xn_kernelILj128ELj8ELj8EfEEvi20rocsparse_direction_NS_24const_host_device_scalarIT2_EEPKiS6_PKS3_S8_S4_PS3_21rocsparse_index_base_b.num_named_barrier, 0
	.set _ZN9rocsparseL19gebsrmvn_2xn_kernelILj128ELj8ELj8EfEEvi20rocsparse_direction_NS_24const_host_device_scalarIT2_EEPKiS6_PKS3_S8_S4_PS3_21rocsparse_index_base_b.private_seg_size, 0
	.set _ZN9rocsparseL19gebsrmvn_2xn_kernelILj128ELj8ELj8EfEEvi20rocsparse_direction_NS_24const_host_device_scalarIT2_EEPKiS6_PKS3_S8_S4_PS3_21rocsparse_index_base_b.uses_vcc, 1
	.set _ZN9rocsparseL19gebsrmvn_2xn_kernelILj128ELj8ELj8EfEEvi20rocsparse_direction_NS_24const_host_device_scalarIT2_EEPKiS6_PKS3_S8_S4_PS3_21rocsparse_index_base_b.uses_flat_scratch, 0
	.set _ZN9rocsparseL19gebsrmvn_2xn_kernelILj128ELj8ELj8EfEEvi20rocsparse_direction_NS_24const_host_device_scalarIT2_EEPKiS6_PKS3_S8_S4_PS3_21rocsparse_index_base_b.has_dyn_sized_stack, 0
	.set _ZN9rocsparseL19gebsrmvn_2xn_kernelILj128ELj8ELj8EfEEvi20rocsparse_direction_NS_24const_host_device_scalarIT2_EEPKiS6_PKS3_S8_S4_PS3_21rocsparse_index_base_b.has_recursion, 0
	.set _ZN9rocsparseL19gebsrmvn_2xn_kernelILj128ELj8ELj8EfEEvi20rocsparse_direction_NS_24const_host_device_scalarIT2_EEPKiS6_PKS3_S8_S4_PS3_21rocsparse_index_base_b.has_indirect_call, 0
	.section	.AMDGPU.csdata,"",@progbits
; Kernel info:
; codeLenInByte = 1036
; TotalNumSgprs: 24
; NumVgprs: 25
; ScratchSize: 0
; MemoryBound: 0
; FloatMode: 240
; IeeeMode: 1
; LDSByteSize: 0 bytes/workgroup (compile time only)
; SGPRBlocks: 2
; VGPRBlocks: 6
; NumSGPRsForWavesPerEU: 24
; NumVGPRsForWavesPerEU: 25
; Occupancy: 9
; WaveLimiterHint : 1
; COMPUTE_PGM_RSRC2:SCRATCH_EN: 0
; COMPUTE_PGM_RSRC2:USER_SGPR: 6
; COMPUTE_PGM_RSRC2:TRAP_HANDLER: 0
; COMPUTE_PGM_RSRC2:TGID_X_EN: 1
; COMPUTE_PGM_RSRC2:TGID_Y_EN: 0
; COMPUTE_PGM_RSRC2:TGID_Z_EN: 0
; COMPUTE_PGM_RSRC2:TIDIG_COMP_CNT: 0
	.section	.text._ZN9rocsparseL19gebsrmvn_2xn_kernelILj128ELj8ELj16EfEEvi20rocsparse_direction_NS_24const_host_device_scalarIT2_EEPKiS6_PKS3_S8_S4_PS3_21rocsparse_index_base_b,"axG",@progbits,_ZN9rocsparseL19gebsrmvn_2xn_kernelILj128ELj8ELj16EfEEvi20rocsparse_direction_NS_24const_host_device_scalarIT2_EEPKiS6_PKS3_S8_S4_PS3_21rocsparse_index_base_b,comdat
	.globl	_ZN9rocsparseL19gebsrmvn_2xn_kernelILj128ELj8ELj16EfEEvi20rocsparse_direction_NS_24const_host_device_scalarIT2_EEPKiS6_PKS3_S8_S4_PS3_21rocsparse_index_base_b ; -- Begin function _ZN9rocsparseL19gebsrmvn_2xn_kernelILj128ELj8ELj16EfEEvi20rocsparse_direction_NS_24const_host_device_scalarIT2_EEPKiS6_PKS3_S8_S4_PS3_21rocsparse_index_base_b
	.p2align	8
	.type	_ZN9rocsparseL19gebsrmvn_2xn_kernelILj128ELj8ELj16EfEEvi20rocsparse_direction_NS_24const_host_device_scalarIT2_EEPKiS6_PKS3_S8_S4_PS3_21rocsparse_index_base_b,@function
_ZN9rocsparseL19gebsrmvn_2xn_kernelILj128ELj8ELj16EfEEvi20rocsparse_direction_NS_24const_host_device_scalarIT2_EEPKiS6_PKS3_S8_S4_PS3_21rocsparse_index_base_b: ; @_ZN9rocsparseL19gebsrmvn_2xn_kernelILj128ELj8ELj16EfEEvi20rocsparse_direction_NS_24const_host_device_scalarIT2_EEPKiS6_PKS3_S8_S4_PS3_21rocsparse_index_base_b
; %bb.0:
	s_load_dwordx2 s[18:19], s[4:5], 0x40
	s_load_dwordx2 s[16:17], s[4:5], 0x8
	;; [unrolled: 1-line block ×3, first 2 shown]
	s_waitcnt lgkmcnt(0)
	s_bitcmp1_b32 s19, 0
	s_cselect_b64 s[8:9], -1, 0
	s_xor_b64 s[0:1], s[8:9], -1
	s_and_b64 vcc, exec, s[8:9]
	s_cbranch_vccnz .LBB32_2
; %bb.1:
	s_load_dword s16, s[16:17], 0x0
.LBB32_2:
	s_andn2_b64 vcc, exec, s[0:1]
	s_cbranch_vccnz .LBB32_4
; %bb.3:
	s_load_dword s2, s[2:3], 0x0
.LBB32_4:
	s_waitcnt lgkmcnt(0)
	v_cmp_eq_f32_e64 s[0:1], s16, 0
	v_cmp_eq_f32_e64 s[8:9], s2, 1.0
	s_and_b64 s[0:1], s[0:1], s[8:9]
	s_and_b64 vcc, exec, s[0:1]
	s_cbranch_vccnz .LBB32_22
; %bb.5:
	s_load_dwordx2 s[0:1], s[4:5], 0x0
	v_lshrrev_b32_e32 v1, 4, v0
	v_lshl_or_b32 v1, s6, 3, v1
	s_waitcnt lgkmcnt(0)
	v_cmp_gt_i32_e32 vcc, s0, v1
	s_and_saveexec_b64 s[6:7], vcc
	s_cbranch_execz .LBB32_22
; %bb.6:
	s_load_dwordx8 s[8:15], s[4:5], 0x10
	v_ashrrev_i32_e32 v2, 31, v1
	v_lshlrev_b64 v[2:3], 2, v[1:2]
	v_and_b32_e32 v0, 15, v0
	s_cmp_lg_u32 s1, 0
	s_waitcnt lgkmcnt(0)
	v_mov_b32_e32 v4, s9
	v_add_co_u32_e32 v2, vcc, s8, v2
	v_addc_co_u32_e32 v3, vcc, v4, v3, vcc
	global_load_dwordx2 v[2:3], v[2:3], off
	s_waitcnt vmcnt(0)
	v_subrev_u32_e32 v2, s18, v2
	v_subrev_u32_e32 v7, s18, v3
	v_add_u32_e32 v2, v2, v0
	v_cmp_lt_i32_e64 s[0:1], v2, v7
	s_cbranch_scc0 .LBB32_12
; %bb.7:
	v_mov_b32_e32 v8, 0
	v_mov_b32_e32 v9, 0
	s_and_saveexec_b64 s[6:7], s[0:1]
	s_cbranch_execz .LBB32_11
; %bb.8:
	v_mov_b32_e32 v4, 0
	v_lshlrev_b32_e32 v3, 4, v2
	s_mov_b64 s[8:9], 0
	v_mov_b32_e32 v10, s11
	v_mov_b32_e32 v11, s13
	;; [unrolled: 1-line block ×6, first 2 shown]
.LBB32_9:                               ; =>This Inner Loop Header: Depth=1
	v_lshlrev_b64 v[13:14], 2, v[3:4]
	v_ashrrev_i32_e32 v6, 31, v5
	v_lshlrev_b64 v[15:16], 2, v[5:6]
	v_add_co_u32_e32 v21, vcc, s12, v13
	v_addc_co_u32_e32 v22, vcc, v11, v14, vcc
	v_add_co_u32_e32 v19, vcc, s10, v15
	v_addc_co_u32_e32 v20, vcc, v10, v16, vcc
	global_load_dwordx4 v[13:16], v[21:22], off
	global_load_dword v6, v[19:20], off
	v_mov_b32_e32 v18, v4
	v_add_u32_e32 v5, 16, v5
	v_add_u32_e32 v3, 0x100, v3
	s_waitcnt vmcnt(0)
	v_subrev_u32_e32 v6, s18, v6
	v_lshlrev_b32_e32 v17, 3, v6
	v_lshlrev_b64 v[17:18], 2, v[17:18]
	v_add_co_u32_e32 v23, vcc, s14, v17
	v_addc_co_u32_e32 v24, vcc, v12, v18, vcc
	global_load_dwordx4 v[17:20], v[23:24], off
	v_cmp_ge_i32_e32 vcc, v5, v7
	s_or_b64 s[8:9], vcc, s[8:9]
	s_waitcnt vmcnt(0)
	v_fmac_f32_e32 v8, v13, v17
	v_fmac_f32_e32 v9, v14, v17
	v_fmac_f32_e32 v8, v15, v18
	v_fmac_f32_e32 v9, v16, v18
	global_load_dwordx4 v[13:16], v[21:22], off offset:16
	s_waitcnt vmcnt(0)
	v_fmac_f32_e32 v8, v13, v19
	v_fmac_f32_e32 v9, v14, v19
	;; [unrolled: 1-line block ×4, first 2 shown]
	global_load_dwordx4 v[13:16], v[21:22], off offset:32
	global_load_dwordx4 v[17:20], v[23:24], off offset:16
	s_waitcnt vmcnt(0)
	v_fmac_f32_e32 v8, v13, v17
	v_fmac_f32_e32 v9, v14, v17
	;; [unrolled: 1-line block ×4, first 2 shown]
	global_load_dwordx4 v[13:16], v[21:22], off offset:48
	s_waitcnt vmcnt(0)
	v_fmac_f32_e32 v8, v13, v19
	v_fmac_f32_e32 v9, v14, v19
	;; [unrolled: 1-line block ×4, first 2 shown]
	s_andn2_b64 exec, exec, s[8:9]
	s_cbranch_execnz .LBB32_9
; %bb.10:
	s_or_b64 exec, exec, s[8:9]
.LBB32_11:
	s_or_b64 exec, exec, s[6:7]
	s_cbranch_execz .LBB32_13
	s_branch .LBB32_18
.LBB32_12:
                                        ; implicit-def: $vgpr8
                                        ; implicit-def: $vgpr9
.LBB32_13:
	v_mov_b32_e32 v8, 0
	v_mov_b32_e32 v9, 0
	s_and_saveexec_b64 s[6:7], s[0:1]
	s_cbranch_execz .LBB32_17
; %bb.14:
	v_mov_b32_e32 v5, 0
	v_lshlrev_b32_e32 v4, 4, v2
	s_mov_b64 s[0:1], 0
	v_mov_b32_e32 v6, s11
	v_mov_b32_e32 v10, s13
	;; [unrolled: 1-line block ×5, first 2 shown]
.LBB32_15:                              ; =>This Inner Loop Header: Depth=1
	v_lshlrev_b64 v[12:13], 2, v[4:5]
	v_ashrrev_i32_e32 v3, 31, v2
	v_lshlrev_b64 v[14:15], 2, v[2:3]
	v_add_co_u32_e32 v20, vcc, s12, v12
	v_addc_co_u32_e32 v21, vcc, v10, v13, vcc
	v_add_co_u32_e32 v18, vcc, s10, v14
	v_addc_co_u32_e32 v19, vcc, v6, v15, vcc
	global_load_dwordx4 v[12:15], v[20:21], off
	global_load_dword v3, v[18:19], off
	v_mov_b32_e32 v17, v5
	v_add_u32_e32 v2, 16, v2
	v_add_u32_e32 v4, 0x100, v4
	s_waitcnt vmcnt(0)
	v_subrev_u32_e32 v3, s18, v3
	v_lshlrev_b32_e32 v16, 3, v3
	v_lshlrev_b64 v[16:17], 2, v[16:17]
	v_add_co_u32_e32 v22, vcc, s14, v16
	v_addc_co_u32_e32 v23, vcc, v11, v17, vcc
	global_load_dwordx4 v[16:19], v[22:23], off
	v_cmp_ge_i32_e32 vcc, v2, v7
	s_or_b64 s[0:1], vcc, s[0:1]
	s_waitcnt vmcnt(0)
	v_fmac_f32_e32 v8, v12, v16
	v_fmac_f32_e32 v8, v13, v17
	;; [unrolled: 1-line block ×4, first 2 shown]
	global_load_dwordx4 v[12:15], v[20:21], off offset:32
	s_waitcnt vmcnt(0)
	v_fmac_f32_e32 v9, v12, v16
	v_fmac_f32_e32 v9, v13, v17
	;; [unrolled: 1-line block ×4, first 2 shown]
	global_load_dwordx4 v[12:15], v[20:21], off offset:16
	global_load_dwordx4 v[16:19], v[22:23], off offset:16
	s_waitcnt vmcnt(0)
	v_fmac_f32_e32 v8, v12, v16
	v_fmac_f32_e32 v8, v13, v17
	;; [unrolled: 1-line block ×4, first 2 shown]
	global_load_dwordx4 v[12:15], v[20:21], off offset:48
	s_waitcnt vmcnt(0)
	v_fmac_f32_e32 v9, v12, v16
	v_fmac_f32_e32 v9, v13, v17
	;; [unrolled: 1-line block ×4, first 2 shown]
	s_andn2_b64 exec, exec, s[0:1]
	s_cbranch_execnz .LBB32_15
; %bb.16:
	s_or_b64 exec, exec, s[0:1]
.LBB32_17:
	s_or_b64 exec, exec, s[6:7]
.LBB32_18:
	v_mov_b32_dpp v2, v8 row_shr:1 row_mask:0xf bank_mask:0xf
	v_mov_b32_dpp v4, v9 row_shr:1 row_mask:0xf bank_mask:0xf
	v_add_f32_e32 v2, v8, v2
	v_add_f32_e32 v4, v9, v4
	v_cmp_eq_u32_e32 vcc, 15, v0
	v_mov_b32_dpp v3, v2 row_shr:2 row_mask:0xf bank_mask:0xf
	v_mov_b32_dpp v5, v4 row_shr:2 row_mask:0xf bank_mask:0xf
	v_add_f32_e32 v2, v2, v3
	v_add_f32_e32 v4, v4, v5
	s_nop 0
	v_mov_b32_dpp v3, v2 row_shr:4 row_mask:0xf bank_mask:0xe
	v_mov_b32_dpp v5, v4 row_shr:4 row_mask:0xf bank_mask:0xe
	v_add_f32_e32 v2, v2, v3
	v_add_f32_e32 v4, v4, v5
	s_nop 0
	v_mov_b32_dpp v3, v2 row_shr:8 row_mask:0xf bank_mask:0xc
	v_mov_b32_dpp v5, v4 row_shr:8 row_mask:0xf bank_mask:0xc
	s_and_b64 exec, exec, vcc
	s_cbranch_execz .LBB32_22
; %bb.19:
	s_load_dwordx2 s[0:1], s[4:5], 0x38
	v_add_f32_e32 v0, v2, v3
	v_add_f32_e32 v3, v4, v5
	v_cmp_eq_f32_e64 s[4:5], s2, 0
	s_and_b64 vcc, exec, s[4:5]
	v_mul_f32_e32 v2, s16, v0
	v_mul_f32_e32 v3, s16, v3
	v_lshlrev_b32_e32 v0, 1, v1
	s_cbranch_vccz .LBB32_23
; %bb.20:
	v_ashrrev_i32_e32 v1, 31, v0
	v_lshlrev_b64 v[4:5], 2, v[0:1]
	s_waitcnt lgkmcnt(0)
	v_mov_b32_e32 v1, s1
	v_add_co_u32_e32 v4, vcc, s0, v4
	v_addc_co_u32_e32 v5, vcc, v1, v5, vcc
	global_store_dwordx2 v[4:5], v[2:3], off
	s_cbranch_execnz .LBB32_22
.LBB32_21:
	v_ashrrev_i32_e32 v1, 31, v0
	v_lshlrev_b64 v[0:1], 2, v[0:1]
	s_waitcnt lgkmcnt(0)
	v_mov_b32_e32 v4, s1
	v_add_co_u32_e32 v0, vcc, s0, v0
	v_addc_co_u32_e32 v1, vcc, v4, v1, vcc
	global_load_dwordx2 v[4:5], v[0:1], off
	s_waitcnt vmcnt(0)
	v_fmac_f32_e32 v2, s2, v4
	v_fmac_f32_e32 v3, s2, v5
	global_store_dwordx2 v[0:1], v[2:3], off
.LBB32_22:
	s_endpgm
.LBB32_23:
	s_branch .LBB32_21
	.section	.rodata,"a",@progbits
	.p2align	6, 0x0
	.amdhsa_kernel _ZN9rocsparseL19gebsrmvn_2xn_kernelILj128ELj8ELj16EfEEvi20rocsparse_direction_NS_24const_host_device_scalarIT2_EEPKiS6_PKS3_S8_S4_PS3_21rocsparse_index_base_b
		.amdhsa_group_segment_fixed_size 0
		.amdhsa_private_segment_fixed_size 0
		.amdhsa_kernarg_size 72
		.amdhsa_user_sgpr_count 6
		.amdhsa_user_sgpr_private_segment_buffer 1
		.amdhsa_user_sgpr_dispatch_ptr 0
		.amdhsa_user_sgpr_queue_ptr 0
		.amdhsa_user_sgpr_kernarg_segment_ptr 1
		.amdhsa_user_sgpr_dispatch_id 0
		.amdhsa_user_sgpr_flat_scratch_init 0
		.amdhsa_user_sgpr_private_segment_size 0
		.amdhsa_uses_dynamic_stack 0
		.amdhsa_system_sgpr_private_segment_wavefront_offset 0
		.amdhsa_system_sgpr_workgroup_id_x 1
		.amdhsa_system_sgpr_workgroup_id_y 0
		.amdhsa_system_sgpr_workgroup_id_z 0
		.amdhsa_system_sgpr_workgroup_info 0
		.amdhsa_system_vgpr_workitem_id 0
		.amdhsa_next_free_vgpr 25
		.amdhsa_next_free_sgpr 20
		.amdhsa_reserve_vcc 1
		.amdhsa_reserve_flat_scratch 0
		.amdhsa_float_round_mode_32 0
		.amdhsa_float_round_mode_16_64 0
		.amdhsa_float_denorm_mode_32 3
		.amdhsa_float_denorm_mode_16_64 3
		.amdhsa_dx10_clamp 1
		.amdhsa_ieee_mode 1
		.amdhsa_fp16_overflow 0
		.amdhsa_exception_fp_ieee_invalid_op 0
		.amdhsa_exception_fp_denorm_src 0
		.amdhsa_exception_fp_ieee_div_zero 0
		.amdhsa_exception_fp_ieee_overflow 0
		.amdhsa_exception_fp_ieee_underflow 0
		.amdhsa_exception_fp_ieee_inexact 0
		.amdhsa_exception_int_div_zero 0
	.end_amdhsa_kernel
	.section	.text._ZN9rocsparseL19gebsrmvn_2xn_kernelILj128ELj8ELj16EfEEvi20rocsparse_direction_NS_24const_host_device_scalarIT2_EEPKiS6_PKS3_S8_S4_PS3_21rocsparse_index_base_b,"axG",@progbits,_ZN9rocsparseL19gebsrmvn_2xn_kernelILj128ELj8ELj16EfEEvi20rocsparse_direction_NS_24const_host_device_scalarIT2_EEPKiS6_PKS3_S8_S4_PS3_21rocsparse_index_base_b,comdat
.Lfunc_end32:
	.size	_ZN9rocsparseL19gebsrmvn_2xn_kernelILj128ELj8ELj16EfEEvi20rocsparse_direction_NS_24const_host_device_scalarIT2_EEPKiS6_PKS3_S8_S4_PS3_21rocsparse_index_base_b, .Lfunc_end32-_ZN9rocsparseL19gebsrmvn_2xn_kernelILj128ELj8ELj16EfEEvi20rocsparse_direction_NS_24const_host_device_scalarIT2_EEPKiS6_PKS3_S8_S4_PS3_21rocsparse_index_base_b
                                        ; -- End function
	.set _ZN9rocsparseL19gebsrmvn_2xn_kernelILj128ELj8ELj16EfEEvi20rocsparse_direction_NS_24const_host_device_scalarIT2_EEPKiS6_PKS3_S8_S4_PS3_21rocsparse_index_base_b.num_vgpr, 25
	.set _ZN9rocsparseL19gebsrmvn_2xn_kernelILj128ELj8ELj16EfEEvi20rocsparse_direction_NS_24const_host_device_scalarIT2_EEPKiS6_PKS3_S8_S4_PS3_21rocsparse_index_base_b.num_agpr, 0
	.set _ZN9rocsparseL19gebsrmvn_2xn_kernelILj128ELj8ELj16EfEEvi20rocsparse_direction_NS_24const_host_device_scalarIT2_EEPKiS6_PKS3_S8_S4_PS3_21rocsparse_index_base_b.numbered_sgpr, 20
	.set _ZN9rocsparseL19gebsrmvn_2xn_kernelILj128ELj8ELj16EfEEvi20rocsparse_direction_NS_24const_host_device_scalarIT2_EEPKiS6_PKS3_S8_S4_PS3_21rocsparse_index_base_b.num_named_barrier, 0
	.set _ZN9rocsparseL19gebsrmvn_2xn_kernelILj128ELj8ELj16EfEEvi20rocsparse_direction_NS_24const_host_device_scalarIT2_EEPKiS6_PKS3_S8_S4_PS3_21rocsparse_index_base_b.private_seg_size, 0
	.set _ZN9rocsparseL19gebsrmvn_2xn_kernelILj128ELj8ELj16EfEEvi20rocsparse_direction_NS_24const_host_device_scalarIT2_EEPKiS6_PKS3_S8_S4_PS3_21rocsparse_index_base_b.uses_vcc, 1
	.set _ZN9rocsparseL19gebsrmvn_2xn_kernelILj128ELj8ELj16EfEEvi20rocsparse_direction_NS_24const_host_device_scalarIT2_EEPKiS6_PKS3_S8_S4_PS3_21rocsparse_index_base_b.uses_flat_scratch, 0
	.set _ZN9rocsparseL19gebsrmvn_2xn_kernelILj128ELj8ELj16EfEEvi20rocsparse_direction_NS_24const_host_device_scalarIT2_EEPKiS6_PKS3_S8_S4_PS3_21rocsparse_index_base_b.has_dyn_sized_stack, 0
	.set _ZN9rocsparseL19gebsrmvn_2xn_kernelILj128ELj8ELj16EfEEvi20rocsparse_direction_NS_24const_host_device_scalarIT2_EEPKiS6_PKS3_S8_S4_PS3_21rocsparse_index_base_b.has_recursion, 0
	.set _ZN9rocsparseL19gebsrmvn_2xn_kernelILj128ELj8ELj16EfEEvi20rocsparse_direction_NS_24const_host_device_scalarIT2_EEPKiS6_PKS3_S8_S4_PS3_21rocsparse_index_base_b.has_indirect_call, 0
	.section	.AMDGPU.csdata,"",@progbits
; Kernel info:
; codeLenInByte = 1064
; TotalNumSgprs: 24
; NumVgprs: 25
; ScratchSize: 0
; MemoryBound: 0
; FloatMode: 240
; IeeeMode: 1
; LDSByteSize: 0 bytes/workgroup (compile time only)
; SGPRBlocks: 2
; VGPRBlocks: 6
; NumSGPRsForWavesPerEU: 24
; NumVGPRsForWavesPerEU: 25
; Occupancy: 9
; WaveLimiterHint : 1
; COMPUTE_PGM_RSRC2:SCRATCH_EN: 0
; COMPUTE_PGM_RSRC2:USER_SGPR: 6
; COMPUTE_PGM_RSRC2:TRAP_HANDLER: 0
; COMPUTE_PGM_RSRC2:TGID_X_EN: 1
; COMPUTE_PGM_RSRC2:TGID_Y_EN: 0
; COMPUTE_PGM_RSRC2:TGID_Z_EN: 0
; COMPUTE_PGM_RSRC2:TIDIG_COMP_CNT: 0
	.section	.text._ZN9rocsparseL19gebsrmvn_2xn_kernelILj128ELj8ELj32EfEEvi20rocsparse_direction_NS_24const_host_device_scalarIT2_EEPKiS6_PKS3_S8_S4_PS3_21rocsparse_index_base_b,"axG",@progbits,_ZN9rocsparseL19gebsrmvn_2xn_kernelILj128ELj8ELj32EfEEvi20rocsparse_direction_NS_24const_host_device_scalarIT2_EEPKiS6_PKS3_S8_S4_PS3_21rocsparse_index_base_b,comdat
	.globl	_ZN9rocsparseL19gebsrmvn_2xn_kernelILj128ELj8ELj32EfEEvi20rocsparse_direction_NS_24const_host_device_scalarIT2_EEPKiS6_PKS3_S8_S4_PS3_21rocsparse_index_base_b ; -- Begin function _ZN9rocsparseL19gebsrmvn_2xn_kernelILj128ELj8ELj32EfEEvi20rocsparse_direction_NS_24const_host_device_scalarIT2_EEPKiS6_PKS3_S8_S4_PS3_21rocsparse_index_base_b
	.p2align	8
	.type	_ZN9rocsparseL19gebsrmvn_2xn_kernelILj128ELj8ELj32EfEEvi20rocsparse_direction_NS_24const_host_device_scalarIT2_EEPKiS6_PKS3_S8_S4_PS3_21rocsparse_index_base_b,@function
_ZN9rocsparseL19gebsrmvn_2xn_kernelILj128ELj8ELj32EfEEvi20rocsparse_direction_NS_24const_host_device_scalarIT2_EEPKiS6_PKS3_S8_S4_PS3_21rocsparse_index_base_b: ; @_ZN9rocsparseL19gebsrmvn_2xn_kernelILj128ELj8ELj32EfEEvi20rocsparse_direction_NS_24const_host_device_scalarIT2_EEPKiS6_PKS3_S8_S4_PS3_21rocsparse_index_base_b
; %bb.0:
	s_load_dwordx2 s[18:19], s[4:5], 0x40
	s_load_dwordx2 s[16:17], s[4:5], 0x8
	;; [unrolled: 1-line block ×3, first 2 shown]
	s_waitcnt lgkmcnt(0)
	s_bitcmp1_b32 s19, 0
	s_cselect_b64 s[8:9], -1, 0
	s_xor_b64 s[0:1], s[8:9], -1
	s_and_b64 vcc, exec, s[8:9]
	s_cbranch_vccnz .LBB33_2
; %bb.1:
	s_load_dword s16, s[16:17], 0x0
.LBB33_2:
	s_andn2_b64 vcc, exec, s[0:1]
	s_cbranch_vccnz .LBB33_4
; %bb.3:
	s_load_dword s2, s[2:3], 0x0
.LBB33_4:
	s_waitcnt lgkmcnt(0)
	v_cmp_eq_f32_e64 s[0:1], s16, 0
	v_cmp_eq_f32_e64 s[8:9], s2, 1.0
	s_and_b64 s[0:1], s[0:1], s[8:9]
	s_and_b64 vcc, exec, s[0:1]
	s_cbranch_vccnz .LBB33_22
; %bb.5:
	s_load_dwordx2 s[0:1], s[4:5], 0x0
	v_lshrrev_b32_e32 v1, 5, v0
	v_lshl_or_b32 v1, s6, 2, v1
	s_waitcnt lgkmcnt(0)
	v_cmp_gt_i32_e32 vcc, s0, v1
	s_and_saveexec_b64 s[6:7], vcc
	s_cbranch_execz .LBB33_22
; %bb.6:
	s_load_dwordx8 s[8:15], s[4:5], 0x10
	v_ashrrev_i32_e32 v2, 31, v1
	v_lshlrev_b64 v[2:3], 2, v[1:2]
	v_and_b32_e32 v0, 31, v0
	s_cmp_lg_u32 s1, 0
	s_waitcnt lgkmcnt(0)
	v_mov_b32_e32 v4, s9
	v_add_co_u32_e32 v2, vcc, s8, v2
	v_addc_co_u32_e32 v3, vcc, v4, v3, vcc
	global_load_dwordx2 v[2:3], v[2:3], off
	s_waitcnt vmcnt(0)
	v_subrev_u32_e32 v2, s18, v2
	v_subrev_u32_e32 v7, s18, v3
	v_add_u32_e32 v2, v2, v0
	v_cmp_lt_i32_e64 s[0:1], v2, v7
	s_cbranch_scc0 .LBB33_12
; %bb.7:
	v_mov_b32_e32 v9, 0
	v_mov_b32_e32 v8, 0
	s_and_saveexec_b64 s[6:7], s[0:1]
	s_cbranch_execz .LBB33_11
; %bb.8:
	v_mov_b32_e32 v4, 0
	v_lshlrev_b32_e32 v3, 4, v2
	s_mov_b64 s[8:9], 0
	v_mov_b32_e32 v10, s11
	v_mov_b32_e32 v11, s13
	;; [unrolled: 1-line block ×6, first 2 shown]
.LBB33_9:                               ; =>This Inner Loop Header: Depth=1
	v_lshlrev_b64 v[13:14], 2, v[3:4]
	v_ashrrev_i32_e32 v6, 31, v5
	v_lshlrev_b64 v[15:16], 2, v[5:6]
	v_add_co_u32_e32 v21, vcc, s12, v13
	v_addc_co_u32_e32 v22, vcc, v11, v14, vcc
	v_add_co_u32_e32 v19, vcc, s10, v15
	v_addc_co_u32_e32 v20, vcc, v10, v16, vcc
	global_load_dwordx4 v[13:16], v[21:22], off
	global_load_dword v6, v[19:20], off
	v_mov_b32_e32 v18, v4
	v_add_u32_e32 v5, 32, v5
	v_add_u32_e32 v3, 0x200, v3
	s_waitcnt vmcnt(0)
	v_subrev_u32_e32 v6, s18, v6
	v_lshlrev_b32_e32 v17, 3, v6
	v_lshlrev_b64 v[17:18], 2, v[17:18]
	v_add_co_u32_e32 v23, vcc, s14, v17
	v_addc_co_u32_e32 v24, vcc, v12, v18, vcc
	global_load_dwordx4 v[17:20], v[23:24], off
	v_cmp_ge_i32_e32 vcc, v5, v7
	s_or_b64 s[8:9], vcc, s[8:9]
	s_waitcnt vmcnt(0)
	v_fmac_f32_e32 v9, v13, v17
	v_fmac_f32_e32 v8, v14, v17
	;; [unrolled: 1-line block ×4, first 2 shown]
	global_load_dwordx4 v[13:16], v[21:22], off offset:16
	s_waitcnt vmcnt(0)
	v_fmac_f32_e32 v9, v13, v19
	v_fmac_f32_e32 v8, v14, v19
	;; [unrolled: 1-line block ×4, first 2 shown]
	global_load_dwordx4 v[13:16], v[21:22], off offset:32
	global_load_dwordx4 v[17:20], v[23:24], off offset:16
	s_waitcnt vmcnt(0)
	v_fmac_f32_e32 v9, v13, v17
	v_fmac_f32_e32 v8, v14, v17
	;; [unrolled: 1-line block ×4, first 2 shown]
	global_load_dwordx4 v[13:16], v[21:22], off offset:48
	s_waitcnt vmcnt(0)
	v_fmac_f32_e32 v9, v13, v19
	v_fmac_f32_e32 v8, v14, v19
	;; [unrolled: 1-line block ×4, first 2 shown]
	s_andn2_b64 exec, exec, s[8:9]
	s_cbranch_execnz .LBB33_9
; %bb.10:
	s_or_b64 exec, exec, s[8:9]
.LBB33_11:
	s_or_b64 exec, exec, s[6:7]
	s_cbranch_execz .LBB33_13
	s_branch .LBB33_18
.LBB33_12:
                                        ; implicit-def: $vgpr9
                                        ; implicit-def: $vgpr8
.LBB33_13:
	v_mov_b32_e32 v9, 0
	v_mov_b32_e32 v8, 0
	s_and_saveexec_b64 s[6:7], s[0:1]
	s_cbranch_execz .LBB33_17
; %bb.14:
	v_mov_b32_e32 v5, 0
	v_lshlrev_b32_e32 v4, 4, v2
	s_mov_b64 s[0:1], 0
	v_mov_b32_e32 v6, s11
	v_mov_b32_e32 v10, s13
	;; [unrolled: 1-line block ×5, first 2 shown]
.LBB33_15:                              ; =>This Inner Loop Header: Depth=1
	v_lshlrev_b64 v[12:13], 2, v[4:5]
	v_ashrrev_i32_e32 v3, 31, v2
	v_lshlrev_b64 v[14:15], 2, v[2:3]
	v_add_co_u32_e32 v20, vcc, s12, v12
	v_addc_co_u32_e32 v21, vcc, v10, v13, vcc
	v_add_co_u32_e32 v18, vcc, s10, v14
	v_addc_co_u32_e32 v19, vcc, v6, v15, vcc
	global_load_dwordx4 v[12:15], v[20:21], off
	global_load_dword v3, v[18:19], off
	v_mov_b32_e32 v17, v5
	v_add_u32_e32 v2, 32, v2
	v_add_u32_e32 v4, 0x200, v4
	s_waitcnt vmcnt(0)
	v_subrev_u32_e32 v3, s18, v3
	v_lshlrev_b32_e32 v16, 3, v3
	v_lshlrev_b64 v[16:17], 2, v[16:17]
	v_add_co_u32_e32 v22, vcc, s14, v16
	v_addc_co_u32_e32 v23, vcc, v11, v17, vcc
	global_load_dwordx4 v[16:19], v[22:23], off
	v_cmp_ge_i32_e32 vcc, v2, v7
	s_or_b64 s[0:1], vcc, s[0:1]
	s_waitcnt vmcnt(0)
	v_fmac_f32_e32 v9, v12, v16
	v_fmac_f32_e32 v9, v13, v17
	;; [unrolled: 1-line block ×4, first 2 shown]
	global_load_dwordx4 v[12:15], v[20:21], off offset:32
	s_waitcnt vmcnt(0)
	v_fmac_f32_e32 v8, v12, v16
	v_fmac_f32_e32 v8, v13, v17
	;; [unrolled: 1-line block ×4, first 2 shown]
	global_load_dwordx4 v[12:15], v[20:21], off offset:16
	global_load_dwordx4 v[16:19], v[22:23], off offset:16
	s_waitcnt vmcnt(0)
	v_fmac_f32_e32 v9, v12, v16
	v_fmac_f32_e32 v9, v13, v17
	;; [unrolled: 1-line block ×4, first 2 shown]
	global_load_dwordx4 v[12:15], v[20:21], off offset:48
	s_waitcnt vmcnt(0)
	v_fmac_f32_e32 v8, v12, v16
	v_fmac_f32_e32 v8, v13, v17
	;; [unrolled: 1-line block ×4, first 2 shown]
	s_andn2_b64 exec, exec, s[0:1]
	s_cbranch_execnz .LBB33_15
; %bb.16:
	s_or_b64 exec, exec, s[0:1]
.LBB33_17:
	s_or_b64 exec, exec, s[6:7]
.LBB33_18:
	v_mov_b32_dpp v2, v9 row_shr:1 row_mask:0xf bank_mask:0xf
	v_mov_b32_dpp v4, v8 row_shr:1 row_mask:0xf bank_mask:0xf
	v_add_f32_e32 v2, v9, v2
	v_add_f32_e32 v4, v8, v4
	v_cmp_eq_u32_e32 vcc, 31, v0
	v_mov_b32_dpp v3, v2 row_shr:2 row_mask:0xf bank_mask:0xf
	v_mov_b32_dpp v5, v4 row_shr:2 row_mask:0xf bank_mask:0xf
	v_add_f32_e32 v2, v2, v3
	v_add_f32_e32 v4, v4, v5
	s_nop 0
	v_mov_b32_dpp v3, v2 row_shr:4 row_mask:0xf bank_mask:0xe
	v_mov_b32_dpp v5, v4 row_shr:4 row_mask:0xf bank_mask:0xe
	v_add_f32_e32 v2, v2, v3
	v_add_f32_e32 v4, v4, v5
	s_nop 0
	;; [unrolled: 5-line block ×3, first 2 shown]
	v_mov_b32_dpp v3, v2 row_bcast:15 row_mask:0xa bank_mask:0xf
	v_mov_b32_dpp v5, v4 row_bcast:15 row_mask:0xa bank_mask:0xf
	s_and_b64 exec, exec, vcc
	s_cbranch_execz .LBB33_22
; %bb.19:
	s_load_dwordx2 s[0:1], s[4:5], 0x38
	v_add_f32_e32 v0, v2, v3
	v_add_f32_e32 v3, v4, v5
	v_cmp_eq_f32_e64 s[4:5], s2, 0
	s_and_b64 vcc, exec, s[4:5]
	v_mul_f32_e32 v2, s16, v0
	v_mul_f32_e32 v3, s16, v3
	v_lshlrev_b32_e32 v0, 1, v1
	s_cbranch_vccz .LBB33_23
; %bb.20:
	v_ashrrev_i32_e32 v1, 31, v0
	v_lshlrev_b64 v[4:5], 2, v[0:1]
	s_waitcnt lgkmcnt(0)
	v_mov_b32_e32 v1, s1
	v_add_co_u32_e32 v4, vcc, s0, v4
	v_addc_co_u32_e32 v5, vcc, v1, v5, vcc
	global_store_dwordx2 v[4:5], v[2:3], off
	s_cbranch_execnz .LBB33_22
.LBB33_21:
	v_ashrrev_i32_e32 v1, 31, v0
	v_lshlrev_b64 v[0:1], 2, v[0:1]
	s_waitcnt lgkmcnt(0)
	v_mov_b32_e32 v4, s1
	v_add_co_u32_e32 v0, vcc, s0, v0
	v_addc_co_u32_e32 v1, vcc, v4, v1, vcc
	global_load_dwordx2 v[4:5], v[0:1], off
	s_waitcnt vmcnt(0)
	v_fmac_f32_e32 v2, s2, v4
	v_fmac_f32_e32 v3, s2, v5
	global_store_dwordx2 v[0:1], v[2:3], off
.LBB33_22:
	s_endpgm
.LBB33_23:
	s_branch .LBB33_21
	.section	.rodata,"a",@progbits
	.p2align	6, 0x0
	.amdhsa_kernel _ZN9rocsparseL19gebsrmvn_2xn_kernelILj128ELj8ELj32EfEEvi20rocsparse_direction_NS_24const_host_device_scalarIT2_EEPKiS6_PKS3_S8_S4_PS3_21rocsparse_index_base_b
		.amdhsa_group_segment_fixed_size 0
		.amdhsa_private_segment_fixed_size 0
		.amdhsa_kernarg_size 72
		.amdhsa_user_sgpr_count 6
		.amdhsa_user_sgpr_private_segment_buffer 1
		.amdhsa_user_sgpr_dispatch_ptr 0
		.amdhsa_user_sgpr_queue_ptr 0
		.amdhsa_user_sgpr_kernarg_segment_ptr 1
		.amdhsa_user_sgpr_dispatch_id 0
		.amdhsa_user_sgpr_flat_scratch_init 0
		.amdhsa_user_sgpr_private_segment_size 0
		.amdhsa_uses_dynamic_stack 0
		.amdhsa_system_sgpr_private_segment_wavefront_offset 0
		.amdhsa_system_sgpr_workgroup_id_x 1
		.amdhsa_system_sgpr_workgroup_id_y 0
		.amdhsa_system_sgpr_workgroup_id_z 0
		.amdhsa_system_sgpr_workgroup_info 0
		.amdhsa_system_vgpr_workitem_id 0
		.amdhsa_next_free_vgpr 25
		.amdhsa_next_free_sgpr 20
		.amdhsa_reserve_vcc 1
		.amdhsa_reserve_flat_scratch 0
		.amdhsa_float_round_mode_32 0
		.amdhsa_float_round_mode_16_64 0
		.amdhsa_float_denorm_mode_32 3
		.amdhsa_float_denorm_mode_16_64 3
		.amdhsa_dx10_clamp 1
		.amdhsa_ieee_mode 1
		.amdhsa_fp16_overflow 0
		.amdhsa_exception_fp_ieee_invalid_op 0
		.amdhsa_exception_fp_denorm_src 0
		.amdhsa_exception_fp_ieee_div_zero 0
		.amdhsa_exception_fp_ieee_overflow 0
		.amdhsa_exception_fp_ieee_underflow 0
		.amdhsa_exception_fp_ieee_inexact 0
		.amdhsa_exception_int_div_zero 0
	.end_amdhsa_kernel
	.section	.text._ZN9rocsparseL19gebsrmvn_2xn_kernelILj128ELj8ELj32EfEEvi20rocsparse_direction_NS_24const_host_device_scalarIT2_EEPKiS6_PKS3_S8_S4_PS3_21rocsparse_index_base_b,"axG",@progbits,_ZN9rocsparseL19gebsrmvn_2xn_kernelILj128ELj8ELj32EfEEvi20rocsparse_direction_NS_24const_host_device_scalarIT2_EEPKiS6_PKS3_S8_S4_PS3_21rocsparse_index_base_b,comdat
.Lfunc_end33:
	.size	_ZN9rocsparseL19gebsrmvn_2xn_kernelILj128ELj8ELj32EfEEvi20rocsparse_direction_NS_24const_host_device_scalarIT2_EEPKiS6_PKS3_S8_S4_PS3_21rocsparse_index_base_b, .Lfunc_end33-_ZN9rocsparseL19gebsrmvn_2xn_kernelILj128ELj8ELj32EfEEvi20rocsparse_direction_NS_24const_host_device_scalarIT2_EEPKiS6_PKS3_S8_S4_PS3_21rocsparse_index_base_b
                                        ; -- End function
	.set _ZN9rocsparseL19gebsrmvn_2xn_kernelILj128ELj8ELj32EfEEvi20rocsparse_direction_NS_24const_host_device_scalarIT2_EEPKiS6_PKS3_S8_S4_PS3_21rocsparse_index_base_b.num_vgpr, 25
	.set _ZN9rocsparseL19gebsrmvn_2xn_kernelILj128ELj8ELj32EfEEvi20rocsparse_direction_NS_24const_host_device_scalarIT2_EEPKiS6_PKS3_S8_S4_PS3_21rocsparse_index_base_b.num_agpr, 0
	.set _ZN9rocsparseL19gebsrmvn_2xn_kernelILj128ELj8ELj32EfEEvi20rocsparse_direction_NS_24const_host_device_scalarIT2_EEPKiS6_PKS3_S8_S4_PS3_21rocsparse_index_base_b.numbered_sgpr, 20
	.set _ZN9rocsparseL19gebsrmvn_2xn_kernelILj128ELj8ELj32EfEEvi20rocsparse_direction_NS_24const_host_device_scalarIT2_EEPKiS6_PKS3_S8_S4_PS3_21rocsparse_index_base_b.num_named_barrier, 0
	.set _ZN9rocsparseL19gebsrmvn_2xn_kernelILj128ELj8ELj32EfEEvi20rocsparse_direction_NS_24const_host_device_scalarIT2_EEPKiS6_PKS3_S8_S4_PS3_21rocsparse_index_base_b.private_seg_size, 0
	.set _ZN9rocsparseL19gebsrmvn_2xn_kernelILj128ELj8ELj32EfEEvi20rocsparse_direction_NS_24const_host_device_scalarIT2_EEPKiS6_PKS3_S8_S4_PS3_21rocsparse_index_base_b.uses_vcc, 1
	.set _ZN9rocsparseL19gebsrmvn_2xn_kernelILj128ELj8ELj32EfEEvi20rocsparse_direction_NS_24const_host_device_scalarIT2_EEPKiS6_PKS3_S8_S4_PS3_21rocsparse_index_base_b.uses_flat_scratch, 0
	.set _ZN9rocsparseL19gebsrmvn_2xn_kernelILj128ELj8ELj32EfEEvi20rocsparse_direction_NS_24const_host_device_scalarIT2_EEPKiS6_PKS3_S8_S4_PS3_21rocsparse_index_base_b.has_dyn_sized_stack, 0
	.set _ZN9rocsparseL19gebsrmvn_2xn_kernelILj128ELj8ELj32EfEEvi20rocsparse_direction_NS_24const_host_device_scalarIT2_EEPKiS6_PKS3_S8_S4_PS3_21rocsparse_index_base_b.has_recursion, 0
	.set _ZN9rocsparseL19gebsrmvn_2xn_kernelILj128ELj8ELj32EfEEvi20rocsparse_direction_NS_24const_host_device_scalarIT2_EEPKiS6_PKS3_S8_S4_PS3_21rocsparse_index_base_b.has_indirect_call, 0
	.section	.AMDGPU.csdata,"",@progbits
; Kernel info:
; codeLenInByte = 1092
; TotalNumSgprs: 24
; NumVgprs: 25
; ScratchSize: 0
; MemoryBound: 0
; FloatMode: 240
; IeeeMode: 1
; LDSByteSize: 0 bytes/workgroup (compile time only)
; SGPRBlocks: 2
; VGPRBlocks: 6
; NumSGPRsForWavesPerEU: 24
; NumVGPRsForWavesPerEU: 25
; Occupancy: 9
; WaveLimiterHint : 1
; COMPUTE_PGM_RSRC2:SCRATCH_EN: 0
; COMPUTE_PGM_RSRC2:USER_SGPR: 6
; COMPUTE_PGM_RSRC2:TRAP_HANDLER: 0
; COMPUTE_PGM_RSRC2:TGID_X_EN: 1
; COMPUTE_PGM_RSRC2:TGID_Y_EN: 0
; COMPUTE_PGM_RSRC2:TGID_Z_EN: 0
; COMPUTE_PGM_RSRC2:TIDIG_COMP_CNT: 0
	.section	.text._ZN9rocsparseL19gebsrmvn_2xn_kernelILj128ELj8ELj64EfEEvi20rocsparse_direction_NS_24const_host_device_scalarIT2_EEPKiS6_PKS3_S8_S4_PS3_21rocsparse_index_base_b,"axG",@progbits,_ZN9rocsparseL19gebsrmvn_2xn_kernelILj128ELj8ELj64EfEEvi20rocsparse_direction_NS_24const_host_device_scalarIT2_EEPKiS6_PKS3_S8_S4_PS3_21rocsparse_index_base_b,comdat
	.globl	_ZN9rocsparseL19gebsrmvn_2xn_kernelILj128ELj8ELj64EfEEvi20rocsparse_direction_NS_24const_host_device_scalarIT2_EEPKiS6_PKS3_S8_S4_PS3_21rocsparse_index_base_b ; -- Begin function _ZN9rocsparseL19gebsrmvn_2xn_kernelILj128ELj8ELj64EfEEvi20rocsparse_direction_NS_24const_host_device_scalarIT2_EEPKiS6_PKS3_S8_S4_PS3_21rocsparse_index_base_b
	.p2align	8
	.type	_ZN9rocsparseL19gebsrmvn_2xn_kernelILj128ELj8ELj64EfEEvi20rocsparse_direction_NS_24const_host_device_scalarIT2_EEPKiS6_PKS3_S8_S4_PS3_21rocsparse_index_base_b,@function
_ZN9rocsparseL19gebsrmvn_2xn_kernelILj128ELj8ELj64EfEEvi20rocsparse_direction_NS_24const_host_device_scalarIT2_EEPKiS6_PKS3_S8_S4_PS3_21rocsparse_index_base_b: ; @_ZN9rocsparseL19gebsrmvn_2xn_kernelILj128ELj8ELj64EfEEvi20rocsparse_direction_NS_24const_host_device_scalarIT2_EEPKiS6_PKS3_S8_S4_PS3_21rocsparse_index_base_b
; %bb.0:
	s_load_dwordx2 s[18:19], s[4:5], 0x40
	s_load_dwordx2 s[16:17], s[4:5], 0x8
	;; [unrolled: 1-line block ×3, first 2 shown]
	s_waitcnt lgkmcnt(0)
	s_bitcmp1_b32 s19, 0
	s_cselect_b64 s[8:9], -1, 0
	s_xor_b64 s[0:1], s[8:9], -1
	s_and_b64 vcc, exec, s[8:9]
	s_cbranch_vccnz .LBB34_2
; %bb.1:
	s_load_dword s16, s[16:17], 0x0
.LBB34_2:
	s_andn2_b64 vcc, exec, s[0:1]
	s_cbranch_vccnz .LBB34_4
; %bb.3:
	s_load_dword s2, s[2:3], 0x0
.LBB34_4:
	s_waitcnt lgkmcnt(0)
	v_cmp_eq_f32_e64 s[0:1], s16, 0
	v_cmp_eq_f32_e64 s[8:9], s2, 1.0
	s_and_b64 s[0:1], s[0:1], s[8:9]
	s_and_b64 vcc, exec, s[0:1]
	s_cbranch_vccnz .LBB34_22
; %bb.5:
	s_load_dwordx2 s[0:1], s[4:5], 0x0
	v_lshrrev_b32_e32 v1, 6, v0
	v_lshl_or_b32 v1, s6, 1, v1
	s_waitcnt lgkmcnt(0)
	v_cmp_gt_i32_e32 vcc, s0, v1
	s_and_saveexec_b64 s[6:7], vcc
	s_cbranch_execz .LBB34_22
; %bb.6:
	s_load_dwordx8 s[8:15], s[4:5], 0x10
	v_ashrrev_i32_e32 v2, 31, v1
	v_lshlrev_b64 v[2:3], 2, v[1:2]
	v_and_b32_e32 v0, 63, v0
	s_cmp_lg_u32 s1, 0
	s_waitcnt lgkmcnt(0)
	v_mov_b32_e32 v4, s9
	v_add_co_u32_e32 v2, vcc, s8, v2
	v_addc_co_u32_e32 v3, vcc, v4, v3, vcc
	global_load_dwordx2 v[2:3], v[2:3], off
	s_waitcnt vmcnt(0)
	v_subrev_u32_e32 v2, s18, v2
	v_subrev_u32_e32 v7, s18, v3
	v_add_u32_e32 v2, v2, v0
	v_cmp_lt_i32_e64 s[0:1], v2, v7
	s_cbranch_scc0 .LBB34_12
; %bb.7:
	v_mov_b32_e32 v9, 0
	v_mov_b32_e32 v8, 0
	s_and_saveexec_b64 s[6:7], s[0:1]
	s_cbranch_execz .LBB34_11
; %bb.8:
	v_mov_b32_e32 v4, 0
	v_lshlrev_b32_e32 v3, 4, v2
	s_mov_b64 s[8:9], 0
	v_mov_b32_e32 v10, s11
	v_mov_b32_e32 v11, s13
	;; [unrolled: 1-line block ×6, first 2 shown]
.LBB34_9:                               ; =>This Inner Loop Header: Depth=1
	v_lshlrev_b64 v[13:14], 2, v[3:4]
	v_ashrrev_i32_e32 v6, 31, v5
	v_lshlrev_b64 v[15:16], 2, v[5:6]
	v_add_co_u32_e32 v21, vcc, s12, v13
	v_addc_co_u32_e32 v22, vcc, v11, v14, vcc
	v_add_co_u32_e32 v19, vcc, s10, v15
	v_addc_co_u32_e32 v20, vcc, v10, v16, vcc
	global_load_dwordx4 v[13:16], v[21:22], off
	global_load_dword v6, v[19:20], off
	v_mov_b32_e32 v18, v4
	v_add_u32_e32 v5, 64, v5
	v_add_u32_e32 v3, 0x400, v3
	s_waitcnt vmcnt(0)
	v_subrev_u32_e32 v6, s18, v6
	v_lshlrev_b32_e32 v17, 3, v6
	v_lshlrev_b64 v[17:18], 2, v[17:18]
	v_add_co_u32_e32 v23, vcc, s14, v17
	v_addc_co_u32_e32 v24, vcc, v12, v18, vcc
	global_load_dwordx4 v[17:20], v[23:24], off
	v_cmp_ge_i32_e32 vcc, v5, v7
	s_or_b64 s[8:9], vcc, s[8:9]
	s_waitcnt vmcnt(0)
	v_fmac_f32_e32 v9, v13, v17
	v_fmac_f32_e32 v8, v14, v17
	;; [unrolled: 1-line block ×4, first 2 shown]
	global_load_dwordx4 v[13:16], v[21:22], off offset:16
	s_waitcnt vmcnt(0)
	v_fmac_f32_e32 v9, v13, v19
	v_fmac_f32_e32 v8, v14, v19
	;; [unrolled: 1-line block ×4, first 2 shown]
	global_load_dwordx4 v[13:16], v[21:22], off offset:32
	global_load_dwordx4 v[17:20], v[23:24], off offset:16
	s_waitcnt vmcnt(0)
	v_fmac_f32_e32 v9, v13, v17
	v_fmac_f32_e32 v8, v14, v17
	;; [unrolled: 1-line block ×4, first 2 shown]
	global_load_dwordx4 v[13:16], v[21:22], off offset:48
	s_waitcnt vmcnt(0)
	v_fmac_f32_e32 v9, v13, v19
	v_fmac_f32_e32 v8, v14, v19
	v_fmac_f32_e32 v9, v15, v20
	v_fmac_f32_e32 v8, v16, v20
	s_andn2_b64 exec, exec, s[8:9]
	s_cbranch_execnz .LBB34_9
; %bb.10:
	s_or_b64 exec, exec, s[8:9]
.LBB34_11:
	s_or_b64 exec, exec, s[6:7]
	s_cbranch_execz .LBB34_13
	s_branch .LBB34_18
.LBB34_12:
                                        ; implicit-def: $vgpr9
                                        ; implicit-def: $vgpr8
.LBB34_13:
	v_mov_b32_e32 v9, 0
	v_mov_b32_e32 v8, 0
	s_and_saveexec_b64 s[6:7], s[0:1]
	s_cbranch_execz .LBB34_17
; %bb.14:
	v_mov_b32_e32 v5, 0
	v_lshlrev_b32_e32 v4, 4, v2
	s_mov_b64 s[0:1], 0
	v_mov_b32_e32 v6, s11
	v_mov_b32_e32 v10, s13
	;; [unrolled: 1-line block ×5, first 2 shown]
.LBB34_15:                              ; =>This Inner Loop Header: Depth=1
	v_lshlrev_b64 v[12:13], 2, v[4:5]
	v_ashrrev_i32_e32 v3, 31, v2
	v_lshlrev_b64 v[14:15], 2, v[2:3]
	v_add_co_u32_e32 v20, vcc, s12, v12
	v_addc_co_u32_e32 v21, vcc, v10, v13, vcc
	v_add_co_u32_e32 v18, vcc, s10, v14
	v_addc_co_u32_e32 v19, vcc, v6, v15, vcc
	global_load_dwordx4 v[12:15], v[20:21], off
	global_load_dword v3, v[18:19], off
	v_mov_b32_e32 v17, v5
	v_add_u32_e32 v2, 64, v2
	v_add_u32_e32 v4, 0x400, v4
	s_waitcnt vmcnt(0)
	v_subrev_u32_e32 v3, s18, v3
	v_lshlrev_b32_e32 v16, 3, v3
	v_lshlrev_b64 v[16:17], 2, v[16:17]
	v_add_co_u32_e32 v22, vcc, s14, v16
	v_addc_co_u32_e32 v23, vcc, v11, v17, vcc
	global_load_dwordx4 v[16:19], v[22:23], off
	v_cmp_ge_i32_e32 vcc, v2, v7
	s_or_b64 s[0:1], vcc, s[0:1]
	s_waitcnt vmcnt(0)
	v_fmac_f32_e32 v9, v12, v16
	v_fmac_f32_e32 v9, v13, v17
	;; [unrolled: 1-line block ×4, first 2 shown]
	global_load_dwordx4 v[12:15], v[20:21], off offset:32
	s_waitcnt vmcnt(0)
	v_fmac_f32_e32 v8, v12, v16
	v_fmac_f32_e32 v8, v13, v17
	;; [unrolled: 1-line block ×4, first 2 shown]
	global_load_dwordx4 v[12:15], v[20:21], off offset:16
	global_load_dwordx4 v[16:19], v[22:23], off offset:16
	s_waitcnt vmcnt(0)
	v_fmac_f32_e32 v9, v12, v16
	v_fmac_f32_e32 v9, v13, v17
	;; [unrolled: 1-line block ×4, first 2 shown]
	global_load_dwordx4 v[12:15], v[20:21], off offset:48
	s_waitcnt vmcnt(0)
	v_fmac_f32_e32 v8, v12, v16
	v_fmac_f32_e32 v8, v13, v17
	;; [unrolled: 1-line block ×4, first 2 shown]
	s_andn2_b64 exec, exec, s[0:1]
	s_cbranch_execnz .LBB34_15
; %bb.16:
	s_or_b64 exec, exec, s[0:1]
.LBB34_17:
	s_or_b64 exec, exec, s[6:7]
.LBB34_18:
	v_mov_b32_dpp v2, v9 row_shr:1 row_mask:0xf bank_mask:0xf
	v_mov_b32_dpp v4, v8 row_shr:1 row_mask:0xf bank_mask:0xf
	v_add_f32_e32 v2, v9, v2
	v_add_f32_e32 v4, v8, v4
	v_cmp_eq_u32_e32 vcc, 63, v0
	v_mov_b32_dpp v3, v2 row_shr:2 row_mask:0xf bank_mask:0xf
	v_mov_b32_dpp v5, v4 row_shr:2 row_mask:0xf bank_mask:0xf
	v_add_f32_e32 v2, v2, v3
	v_add_f32_e32 v4, v4, v5
	s_nop 0
	v_mov_b32_dpp v3, v2 row_shr:4 row_mask:0xf bank_mask:0xe
	v_mov_b32_dpp v5, v4 row_shr:4 row_mask:0xf bank_mask:0xe
	v_add_f32_e32 v2, v2, v3
	v_add_f32_e32 v4, v4, v5
	s_nop 0
	;; [unrolled: 5-line block ×3, first 2 shown]
	v_mov_b32_dpp v3, v2 row_bcast:15 row_mask:0xa bank_mask:0xf
	v_mov_b32_dpp v5, v4 row_bcast:15 row_mask:0xa bank_mask:0xf
	v_add_f32_e32 v2, v2, v3
	v_add_f32_e32 v4, v4, v5
	s_nop 0
	v_mov_b32_dpp v3, v2 row_bcast:31 row_mask:0xc bank_mask:0xf
	v_mov_b32_dpp v5, v4 row_bcast:31 row_mask:0xc bank_mask:0xf
	s_and_b64 exec, exec, vcc
	s_cbranch_execz .LBB34_22
; %bb.19:
	s_load_dwordx2 s[0:1], s[4:5], 0x38
	v_add_f32_e32 v0, v2, v3
	v_add_f32_e32 v3, v4, v5
	v_cmp_eq_f32_e64 s[4:5], s2, 0
	s_and_b64 vcc, exec, s[4:5]
	v_mul_f32_e32 v2, s16, v0
	v_mul_f32_e32 v3, s16, v3
	v_lshlrev_b32_e32 v0, 1, v1
	s_cbranch_vccz .LBB34_23
; %bb.20:
	v_ashrrev_i32_e32 v1, 31, v0
	v_lshlrev_b64 v[4:5], 2, v[0:1]
	s_waitcnt lgkmcnt(0)
	v_mov_b32_e32 v1, s1
	v_add_co_u32_e32 v4, vcc, s0, v4
	v_addc_co_u32_e32 v5, vcc, v1, v5, vcc
	global_store_dwordx2 v[4:5], v[2:3], off
	s_cbranch_execnz .LBB34_22
.LBB34_21:
	v_ashrrev_i32_e32 v1, 31, v0
	v_lshlrev_b64 v[0:1], 2, v[0:1]
	s_waitcnt lgkmcnt(0)
	v_mov_b32_e32 v4, s1
	v_add_co_u32_e32 v0, vcc, s0, v0
	v_addc_co_u32_e32 v1, vcc, v4, v1, vcc
	global_load_dwordx2 v[4:5], v[0:1], off
	s_waitcnt vmcnt(0)
	v_fmac_f32_e32 v2, s2, v4
	v_fmac_f32_e32 v3, s2, v5
	global_store_dwordx2 v[0:1], v[2:3], off
.LBB34_22:
	s_endpgm
.LBB34_23:
	s_branch .LBB34_21
	.section	.rodata,"a",@progbits
	.p2align	6, 0x0
	.amdhsa_kernel _ZN9rocsparseL19gebsrmvn_2xn_kernelILj128ELj8ELj64EfEEvi20rocsparse_direction_NS_24const_host_device_scalarIT2_EEPKiS6_PKS3_S8_S4_PS3_21rocsparse_index_base_b
		.amdhsa_group_segment_fixed_size 0
		.amdhsa_private_segment_fixed_size 0
		.amdhsa_kernarg_size 72
		.amdhsa_user_sgpr_count 6
		.amdhsa_user_sgpr_private_segment_buffer 1
		.amdhsa_user_sgpr_dispatch_ptr 0
		.amdhsa_user_sgpr_queue_ptr 0
		.amdhsa_user_sgpr_kernarg_segment_ptr 1
		.amdhsa_user_sgpr_dispatch_id 0
		.amdhsa_user_sgpr_flat_scratch_init 0
		.amdhsa_user_sgpr_private_segment_size 0
		.amdhsa_uses_dynamic_stack 0
		.amdhsa_system_sgpr_private_segment_wavefront_offset 0
		.amdhsa_system_sgpr_workgroup_id_x 1
		.amdhsa_system_sgpr_workgroup_id_y 0
		.amdhsa_system_sgpr_workgroup_id_z 0
		.amdhsa_system_sgpr_workgroup_info 0
		.amdhsa_system_vgpr_workitem_id 0
		.amdhsa_next_free_vgpr 25
		.amdhsa_next_free_sgpr 20
		.amdhsa_reserve_vcc 1
		.amdhsa_reserve_flat_scratch 0
		.amdhsa_float_round_mode_32 0
		.amdhsa_float_round_mode_16_64 0
		.amdhsa_float_denorm_mode_32 3
		.amdhsa_float_denorm_mode_16_64 3
		.amdhsa_dx10_clamp 1
		.amdhsa_ieee_mode 1
		.amdhsa_fp16_overflow 0
		.amdhsa_exception_fp_ieee_invalid_op 0
		.amdhsa_exception_fp_denorm_src 0
		.amdhsa_exception_fp_ieee_div_zero 0
		.amdhsa_exception_fp_ieee_overflow 0
		.amdhsa_exception_fp_ieee_underflow 0
		.amdhsa_exception_fp_ieee_inexact 0
		.amdhsa_exception_int_div_zero 0
	.end_amdhsa_kernel
	.section	.text._ZN9rocsparseL19gebsrmvn_2xn_kernelILj128ELj8ELj64EfEEvi20rocsparse_direction_NS_24const_host_device_scalarIT2_EEPKiS6_PKS3_S8_S4_PS3_21rocsparse_index_base_b,"axG",@progbits,_ZN9rocsparseL19gebsrmvn_2xn_kernelILj128ELj8ELj64EfEEvi20rocsparse_direction_NS_24const_host_device_scalarIT2_EEPKiS6_PKS3_S8_S4_PS3_21rocsparse_index_base_b,comdat
.Lfunc_end34:
	.size	_ZN9rocsparseL19gebsrmvn_2xn_kernelILj128ELj8ELj64EfEEvi20rocsparse_direction_NS_24const_host_device_scalarIT2_EEPKiS6_PKS3_S8_S4_PS3_21rocsparse_index_base_b, .Lfunc_end34-_ZN9rocsparseL19gebsrmvn_2xn_kernelILj128ELj8ELj64EfEEvi20rocsparse_direction_NS_24const_host_device_scalarIT2_EEPKiS6_PKS3_S8_S4_PS3_21rocsparse_index_base_b
                                        ; -- End function
	.set _ZN9rocsparseL19gebsrmvn_2xn_kernelILj128ELj8ELj64EfEEvi20rocsparse_direction_NS_24const_host_device_scalarIT2_EEPKiS6_PKS3_S8_S4_PS3_21rocsparse_index_base_b.num_vgpr, 25
	.set _ZN9rocsparseL19gebsrmvn_2xn_kernelILj128ELj8ELj64EfEEvi20rocsparse_direction_NS_24const_host_device_scalarIT2_EEPKiS6_PKS3_S8_S4_PS3_21rocsparse_index_base_b.num_agpr, 0
	.set _ZN9rocsparseL19gebsrmvn_2xn_kernelILj128ELj8ELj64EfEEvi20rocsparse_direction_NS_24const_host_device_scalarIT2_EEPKiS6_PKS3_S8_S4_PS3_21rocsparse_index_base_b.numbered_sgpr, 20
	.set _ZN9rocsparseL19gebsrmvn_2xn_kernelILj128ELj8ELj64EfEEvi20rocsparse_direction_NS_24const_host_device_scalarIT2_EEPKiS6_PKS3_S8_S4_PS3_21rocsparse_index_base_b.num_named_barrier, 0
	.set _ZN9rocsparseL19gebsrmvn_2xn_kernelILj128ELj8ELj64EfEEvi20rocsparse_direction_NS_24const_host_device_scalarIT2_EEPKiS6_PKS3_S8_S4_PS3_21rocsparse_index_base_b.private_seg_size, 0
	.set _ZN9rocsparseL19gebsrmvn_2xn_kernelILj128ELj8ELj64EfEEvi20rocsparse_direction_NS_24const_host_device_scalarIT2_EEPKiS6_PKS3_S8_S4_PS3_21rocsparse_index_base_b.uses_vcc, 1
	.set _ZN9rocsparseL19gebsrmvn_2xn_kernelILj128ELj8ELj64EfEEvi20rocsparse_direction_NS_24const_host_device_scalarIT2_EEPKiS6_PKS3_S8_S4_PS3_21rocsparse_index_base_b.uses_flat_scratch, 0
	.set _ZN9rocsparseL19gebsrmvn_2xn_kernelILj128ELj8ELj64EfEEvi20rocsparse_direction_NS_24const_host_device_scalarIT2_EEPKiS6_PKS3_S8_S4_PS3_21rocsparse_index_base_b.has_dyn_sized_stack, 0
	.set _ZN9rocsparseL19gebsrmvn_2xn_kernelILj128ELj8ELj64EfEEvi20rocsparse_direction_NS_24const_host_device_scalarIT2_EEPKiS6_PKS3_S8_S4_PS3_21rocsparse_index_base_b.has_recursion, 0
	.set _ZN9rocsparseL19gebsrmvn_2xn_kernelILj128ELj8ELj64EfEEvi20rocsparse_direction_NS_24const_host_device_scalarIT2_EEPKiS6_PKS3_S8_S4_PS3_21rocsparse_index_base_b.has_indirect_call, 0
	.section	.AMDGPU.csdata,"",@progbits
; Kernel info:
; codeLenInByte = 1120
; TotalNumSgprs: 24
; NumVgprs: 25
; ScratchSize: 0
; MemoryBound: 0
; FloatMode: 240
; IeeeMode: 1
; LDSByteSize: 0 bytes/workgroup (compile time only)
; SGPRBlocks: 2
; VGPRBlocks: 6
; NumSGPRsForWavesPerEU: 24
; NumVGPRsForWavesPerEU: 25
; Occupancy: 9
; WaveLimiterHint : 1
; COMPUTE_PGM_RSRC2:SCRATCH_EN: 0
; COMPUTE_PGM_RSRC2:USER_SGPR: 6
; COMPUTE_PGM_RSRC2:TRAP_HANDLER: 0
; COMPUTE_PGM_RSRC2:TGID_X_EN: 1
; COMPUTE_PGM_RSRC2:TGID_Y_EN: 0
; COMPUTE_PGM_RSRC2:TGID_Z_EN: 0
; COMPUTE_PGM_RSRC2:TIDIG_COMP_CNT: 0
	.section	.text._ZN9rocsparseL19gebsrmvn_2xn_kernelILj128ELj9ELj4EfEEvi20rocsparse_direction_NS_24const_host_device_scalarIT2_EEPKiS6_PKS3_S8_S4_PS3_21rocsparse_index_base_b,"axG",@progbits,_ZN9rocsparseL19gebsrmvn_2xn_kernelILj128ELj9ELj4EfEEvi20rocsparse_direction_NS_24const_host_device_scalarIT2_EEPKiS6_PKS3_S8_S4_PS3_21rocsparse_index_base_b,comdat
	.globl	_ZN9rocsparseL19gebsrmvn_2xn_kernelILj128ELj9ELj4EfEEvi20rocsparse_direction_NS_24const_host_device_scalarIT2_EEPKiS6_PKS3_S8_S4_PS3_21rocsparse_index_base_b ; -- Begin function _ZN9rocsparseL19gebsrmvn_2xn_kernelILj128ELj9ELj4EfEEvi20rocsparse_direction_NS_24const_host_device_scalarIT2_EEPKiS6_PKS3_S8_S4_PS3_21rocsparse_index_base_b
	.p2align	8
	.type	_ZN9rocsparseL19gebsrmvn_2xn_kernelILj128ELj9ELj4EfEEvi20rocsparse_direction_NS_24const_host_device_scalarIT2_EEPKiS6_PKS3_S8_S4_PS3_21rocsparse_index_base_b,@function
_ZN9rocsparseL19gebsrmvn_2xn_kernelILj128ELj9ELj4EfEEvi20rocsparse_direction_NS_24const_host_device_scalarIT2_EEPKiS6_PKS3_S8_S4_PS3_21rocsparse_index_base_b: ; @_ZN9rocsparseL19gebsrmvn_2xn_kernelILj128ELj9ELj4EfEEvi20rocsparse_direction_NS_24const_host_device_scalarIT2_EEPKiS6_PKS3_S8_S4_PS3_21rocsparse_index_base_b
; %bb.0:
	s_load_dwordx2 s[18:19], s[4:5], 0x40
	s_load_dwordx2 s[16:17], s[4:5], 0x8
	;; [unrolled: 1-line block ×3, first 2 shown]
	s_waitcnt lgkmcnt(0)
	s_bitcmp1_b32 s19, 0
	s_cselect_b64 s[8:9], -1, 0
	s_xor_b64 s[0:1], s[8:9], -1
	s_and_b64 vcc, exec, s[8:9]
	s_cbranch_vccnz .LBB35_2
; %bb.1:
	s_load_dword s16, s[16:17], 0x0
.LBB35_2:
	s_andn2_b64 vcc, exec, s[0:1]
	s_cbranch_vccnz .LBB35_4
; %bb.3:
	s_load_dword s2, s[2:3], 0x0
.LBB35_4:
	s_waitcnt lgkmcnt(0)
	v_cmp_eq_f32_e64 s[0:1], s16, 0
	v_cmp_eq_f32_e64 s[8:9], s2, 1.0
	s_and_b64 s[0:1], s[0:1], s[8:9]
	s_and_b64 vcc, exec, s[0:1]
	s_cbranch_vccnz .LBB35_22
; %bb.5:
	s_load_dwordx2 s[0:1], s[4:5], 0x0
	v_lshrrev_b32_e32 v1, 2, v0
	v_lshl_or_b32 v1, s6, 5, v1
	s_waitcnt lgkmcnt(0)
	v_cmp_gt_i32_e32 vcc, s0, v1
	s_and_saveexec_b64 s[6:7], vcc
	s_cbranch_execz .LBB35_22
; %bb.6:
	s_load_dwordx8 s[8:15], s[4:5], 0x10
	v_ashrrev_i32_e32 v2, 31, v1
	v_lshlrev_b64 v[2:3], 2, v[1:2]
	v_and_b32_e32 v0, 3, v0
	s_cmp_lg_u32 s1, 0
	s_waitcnt lgkmcnt(0)
	v_mov_b32_e32 v4, s9
	v_add_co_u32_e32 v2, vcc, s8, v2
	v_addc_co_u32_e32 v3, vcc, v4, v3, vcc
	global_load_dwordx2 v[2:3], v[2:3], off
	s_waitcnt vmcnt(0)
	v_subrev_u32_e32 v2, s18, v2
	v_subrev_u32_e32 v9, s18, v3
	v_add_u32_e32 v2, v2, v0
	v_cmp_lt_i32_e64 s[0:1], v2, v9
	s_cbranch_scc0 .LBB35_12
; %bb.7:
	v_mov_b32_e32 v10, 0
	v_mov_b32_e32 v11, 0
	s_and_saveexec_b64 s[6:7], s[0:1]
	s_cbranch_execz .LBB35_11
; %bb.8:
	v_mad_u64_u32 v[3:4], s[8:9], v2, 18, 16
	v_mov_b32_e32 v6, 0
	s_mov_b64 s[8:9], 0
	v_mov_b32_e32 v12, s11
	v_mov_b32_e32 v13, s13
	;; [unrolled: 1-line block ×6, first 2 shown]
.LBB35_9:                               ; =>This Inner Loop Header: Depth=1
	v_ashrrev_i32_e32 v8, 31, v7
	v_lshlrev_b64 v[17:18], 2, v[7:8]
	v_add_u32_e32 v5, -16, v3
	v_lshlrev_b64 v[19:20], 2, v[5:6]
	v_add_co_u32_e32 v17, vcc, s10, v17
	v_addc_co_u32_e32 v18, vcc, v12, v18, vcc
	v_add_co_u32_e32 v19, vcc, s12, v19
	v_addc_co_u32_e32 v20, vcc, v13, v20, vcc
	global_load_dword v8, v[17:18], off
	global_load_dwordx2 v[23:24], v[19:20], off
	v_mov_b32_e32 v4, v6
	v_lshlrev_b64 v[21:22], 2, v[3:4]
	v_add_u32_e32 v5, -14, v3
	v_lshlrev_b64 v[4:5], 2, v[5:6]
	v_add_co_u32_e32 v21, vcc, s12, v21
	v_addc_co_u32_e32 v22, vcc, v13, v22, vcc
	v_add_co_u32_e32 v4, vcc, s12, v4
	v_addc_co_u32_e32 v5, vcc, v13, v5, vcc
	global_load_dwordx2 v[17:18], v[21:22], off
	global_load_dwordx2 v[19:20], v[4:5], off
	v_mov_b32_e32 v16, v6
	v_add_u32_e32 v7, 4, v7
	s_waitcnt vmcnt(3)
	v_subrev_u32_e32 v4, s18, v8
	v_lshl_add_u32 v15, v4, 3, v4
	v_lshlrev_b64 v[21:22], 2, v[15:16]
	v_add_u32_e32 v5, 1, v15
	v_lshlrev_b64 v[25:26], 2, v[5:6]
	v_add_co_u32_e32 v21, vcc, s14, v21
	v_add_u32_e32 v5, -12, v3
	v_addc_co_u32_e32 v22, vcc, v14, v22, vcc
	v_lshlrev_b64 v[27:28], 2, v[5:6]
	global_load_dword v8, v[21:22], off
	v_add_co_u32_e32 v21, vcc, s14, v25
	v_add_u32_e32 v5, 2, v15
	v_addc_co_u32_e32 v22, vcc, v14, v26, vcc
	v_lshlrev_b64 v[25:26], 2, v[5:6]
	global_load_dword v39, v[21:22], off
	v_add_co_u32_e32 v21, vcc, s12, v27
	v_add_u32_e32 v5, -10, v3
	v_addc_co_u32_e32 v22, vcc, v13, v28, vcc
	v_lshlrev_b64 v[27:28], 2, v[5:6]
	v_add_co_u32_e32 v25, vcc, s14, v25
	v_add_u32_e32 v5, 3, v15
	v_addc_co_u32_e32 v26, vcc, v14, v26, vcc
	v_lshlrev_b64 v[29:30], 2, v[5:6]
	global_load_dword v40, v[25:26], off
	v_add_co_u32_e32 v25, vcc, s12, v27
	v_add_u32_e32 v5, -8, v3
	v_addc_co_u32_e32 v26, vcc, v13, v28, vcc
	v_lshlrev_b64 v[27:28], 2, v[5:6]
	v_add_co_u32_e32 v29, vcc, s14, v29
	v_add_u32_e32 v5, 4, v15
	v_addc_co_u32_e32 v30, vcc, v14, v30, vcc
	v_lshlrev_b64 v[31:32], 2, v[5:6]
	v_add_co_u32_e32 v27, vcc, s12, v27
	v_addc_co_u32_e32 v28, vcc, v13, v28, vcc
	v_add_co_u32_e32 v31, vcc, s14, v31
	v_add_u32_e32 v5, -6, v3
	v_addc_co_u32_e32 v32, vcc, v14, v32, vcc
	global_load_dword v41, v[29:30], off
	global_load_dword v42, v[31:32], off
	v_lshlrev_b64 v[29:30], 2, v[5:6]
	v_add_u32_e32 v5, 5, v15
	v_lshlrev_b64 v[33:34], 2, v[5:6]
	v_add_co_u32_e32 v29, vcc, s12, v29
	v_add_u32_e32 v5, -4, v3
	v_addc_co_u32_e32 v30, vcc, v13, v30, vcc
	v_lshlrev_b64 v[31:32], 2, v[5:6]
	v_add_co_u32_e32 v33, vcc, s14, v33
	v_add_u32_e32 v5, 6, v15
	v_addc_co_u32_e32 v34, vcc, v14, v34, vcc
	v_lshlrev_b64 v[35:36], 2, v[5:6]
	v_add_co_u32_e32 v31, vcc, s12, v31
	v_addc_co_u32_e32 v32, vcc, v13, v32, vcc
	v_add_co_u32_e32 v35, vcc, s14, v35
	v_add_u32_e32 v5, -2, v3
	v_addc_co_u32_e32 v36, vcc, v14, v36, vcc
	global_load_dword v43, v[33:34], off
	v_add_u32_e32 v3, 0x48, v3
	global_load_dword v35, v[35:36], off
	v_lshlrev_b64 v[33:34], 2, v[5:6]
	v_add_u32_e32 v5, 7, v15
	global_load_dwordx2 v[21:22], v[21:22], off
	v_lshlrev_b64 v[37:38], 2, v[5:6]
	v_add_u32_e32 v5, 8, v15
	v_add_co_u32_e32 v15, vcc, s12, v33
	global_load_dwordx2 v[25:26], v[25:26], off
	v_addc_co_u32_e32 v16, vcc, v13, v34, vcc
	global_load_dwordx2 v[27:28], v[27:28], off
	v_lshlrev_b64 v[4:5], 2, v[5:6]
	v_add_co_u32_e32 v33, vcc, s14, v37
	global_load_dwordx2 v[29:30], v[29:30], off
	v_addc_co_u32_e32 v34, vcc, v14, v38, vcc
	global_load_dwordx2 v[31:32], v[31:32], off
	v_add_co_u32_e32 v4, vcc, s14, v4
	global_load_dwordx2 v[15:16], v[15:16], off
	v_addc_co_u32_e32 v5, vcc, v14, v5, vcc
	global_load_dword v33, v[33:34], off
	s_waitcnt vmcnt(13)
	v_fmac_f32_e32 v10, v23, v8
	global_load_dword v4, v[4:5], off
	v_fmac_f32_e32 v11, v24, v8
	s_waitcnt vmcnt(13)
	v_fmac_f32_e32 v10, v19, v39
	v_fmac_f32_e32 v11, v20, v39
	v_cmp_ge_i32_e32 vcc, v7, v9
	s_or_b64 s[8:9], vcc, s[8:9]
	s_waitcnt vmcnt(7)
	v_fmac_f32_e32 v10, v21, v40
	v_fmac_f32_e32 v11, v22, v40
	s_waitcnt vmcnt(6)
	v_fmac_f32_e32 v10, v25, v41
	v_fmac_f32_e32 v11, v26, v41
	;; [unrolled: 3-line block ×7, first 2 shown]
	s_andn2_b64 exec, exec, s[8:9]
	s_cbranch_execnz .LBB35_9
; %bb.10:
	s_or_b64 exec, exec, s[8:9]
.LBB35_11:
	s_or_b64 exec, exec, s[6:7]
	s_cbranch_execz .LBB35_13
	s_branch .LBB35_18
.LBB35_12:
                                        ; implicit-def: $vgpr10
                                        ; implicit-def: $vgpr11
.LBB35_13:
	v_mov_b32_e32 v10, 0
	v_mov_b32_e32 v11, 0
	s_and_saveexec_b64 s[6:7], s[0:1]
	s_cbranch_execz .LBB35_17
; %bb.14:
	v_mad_u64_u32 v[4:5], s[0:1], v2, 18, 17
	v_mov_b32_e32 v7, 0
	s_mov_b64 s[0:1], 0
	v_mov_b32_e32 v8, s11
	v_mov_b32_e32 v12, s13
	;; [unrolled: 1-line block ×5, first 2 shown]
.LBB35_15:                              ; =>This Inner Loop Header: Depth=1
	v_ashrrev_i32_e32 v3, 31, v2
	v_lshlrev_b64 v[17:18], 2, v[2:3]
	v_subrev_u32_e32 v6, 17, v4
	v_lshlrev_b64 v[19:20], 2, v[6:7]
	v_add_co_u32_e32 v17, vcc, s10, v17
	v_add_u32_e32 v14, -8, v4
	v_mov_b32_e32 v15, v7
	v_addc_co_u32_e32 v18, vcc, v8, v18, vcc
	v_lshlrev_b64 v[14:15], 2, v[14:15]
	v_add_co_u32_e32 v19, vcc, s12, v19
	v_mov_b32_e32 v5, v7
	v_addc_co_u32_e32 v20, vcc, v12, v20, vcc
	v_lshlrev_b64 v[5:6], 2, v[4:5]
	v_add_co_u32_e32 v14, vcc, s12, v14
	v_addc_co_u32_e32 v15, vcc, v12, v15, vcc
	v_add_co_u32_e32 v5, vcc, s12, v5
	v_addc_co_u32_e32 v6, vcc, v12, v6, vcc
	global_load_dword v3, v[17:18], off
	global_load_dword v27, v[14:15], off
	;; [unrolled: 1-line block ×3, first 2 shown]
	global_load_dwordx2 v[21:22], v[19:20], off
	v_mov_b32_e32 v16, v7
	v_add_u32_e32 v2, 4, v2
	s_waitcnt vmcnt(3)
	v_subrev_u32_e32 v3, s18, v3
	v_lshl_add_u32 v15, v3, 3, v3
	v_lshlrev_b64 v[16:17], 2, v[15:16]
	v_add_u32_e32 v6, 1, v15
	v_lshlrev_b64 v[18:19], 2, v[6:7]
	v_add_co_u32_e32 v16, vcc, s14, v16
	v_add_u32_e32 v6, -7, v4
	v_addc_co_u32_e32 v17, vcc, v13, v17, vcc
	v_lshlrev_b64 v[23:24], 2, v[6:7]
	v_add_co_u32_e32 v18, vcc, s14, v18
	v_add_u32_e32 v6, -15, v4
	v_addc_co_u32_e32 v19, vcc, v13, v19, vcc
	v_lshlrev_b64 v[25:26], 2, v[6:7]
	v_add_co_u32_e32 v23, vcc, s12, v23
	v_add_u32_e32 v6, 2, v15
	v_addc_co_u32_e32 v24, vcc, v12, v24, vcc
	global_load_dword v3, v[16:17], off
	global_load_dword v20, v[18:19], off
	v_lshlrev_b64 v[16:17], 2, v[6:7]
	v_add_co_u32_e32 v25, vcc, s12, v25
	v_add_u32_e32 v6, -6, v4
	v_addc_co_u32_e32 v26, vcc, v12, v26, vcc
	v_lshlrev_b64 v[18:19], 2, v[6:7]
	v_add_co_u32_e32 v16, vcc, s14, v16
	v_addc_co_u32_e32 v17, vcc, v13, v17, vcc
	v_add_co_u32_e32 v18, vcc, s12, v18
	v_add_u32_e32 v6, -14, v4
	v_addc_co_u32_e32 v19, vcc, v12, v19, vcc
	global_load_dword v29, v[23:24], off
	global_load_dword v30, v[25:26], off
	;; [unrolled: 1-line block ×3, first 2 shown]
	v_lshlrev_b64 v[23:24], 2, v[6:7]
	v_add_u32_e32 v6, 3, v15
	v_lshlrev_b64 v[25:26], 2, v[6:7]
	global_load_dword v31, v[16:17], off
	v_add_co_u32_e32 v16, vcc, s12, v23
	v_add_u32_e32 v6, -5, v4
	v_addc_co_u32_e32 v17, vcc, v12, v24, vcc
	v_lshlrev_b64 v[23:24], 2, v[6:7]
	global_load_dword v33, v[16:17], off
	v_add_co_u32_e32 v18, vcc, s14, v25
	v_add_u32_e32 v6, -13, v4
	v_addc_co_u32_e32 v19, vcc, v13, v26, vcc
	v_lshlrev_b64 v[25:26], 2, v[6:7]
	v_add_co_u32_e32 v16, vcc, s12, v23
	v_add_u32_e32 v6, 4, v15
	v_addc_co_u32_e32 v17, vcc, v12, v24, vcc
	v_lshlrev_b64 v[23:24], 2, v[6:7]
	global_load_dword v34, v[18:19], off
	v_add_co_u32_e32 v18, vcc, s12, v25
	v_add_u32_e32 v6, -4, v4
	v_addc_co_u32_e32 v19, vcc, v12, v26, vcc
	v_lshlrev_b64 v[25:26], 2, v[6:7]
	global_load_dword v35, v[16:17], off
	v_add_co_u32_e32 v16, vcc, s14, v23
	v_add_u32_e32 v6, -12, v4
	v_addc_co_u32_e32 v17, vcc, v13, v24, vcc
	v_lshlrev_b64 v[23:24], 2, v[6:7]
	global_load_dword v36, v[18:19], off
	v_add_co_u32_e32 v18, vcc, s12, v25
	v_add_u32_e32 v6, 5, v15
	v_addc_co_u32_e32 v19, vcc, v12, v26, vcc
	v_lshlrev_b64 v[25:26], 2, v[6:7]
	global_load_dword v37, v[16:17], off
	v_add_co_u32_e32 v16, vcc, s12, v23
	v_add_u32_e32 v6, -3, v4
	v_addc_co_u32_e32 v17, vcc, v12, v24, vcc
	v_lshlrev_b64 v[23:24], 2, v[6:7]
	global_load_dword v38, v[18:19], off
	global_load_dword v39, v[16:17], off
	v_add_co_u32_e32 v18, vcc, s14, v25
	v_add_u32_e32 v6, -11, v4
	v_addc_co_u32_e32 v19, vcc, v13, v26, vcc
	v_lshlrev_b64 v[25:26], 2, v[6:7]
	v_add_co_u32_e32 v16, vcc, s12, v23
	v_add_u32_e32 v6, 6, v15
	v_addc_co_u32_e32 v17, vcc, v12, v24, vcc
	v_lshlrev_b64 v[23:24], 2, v[6:7]
	global_load_dword v40, v[18:19], off
	v_add_co_u32_e32 v18, vcc, s12, v25
	v_add_u32_e32 v6, -2, v4
	v_addc_co_u32_e32 v19, vcc, v12, v26, vcc
	v_lshlrev_b64 v[25:26], 2, v[6:7]
	global_load_dword v41, v[16:17], off
	v_add_co_u32_e32 v16, vcc, s14, v23
	v_add_u32_e32 v6, -10, v4
	v_addc_co_u32_e32 v17, vcc, v13, v24, vcc
	v_lshlrev_b64 v[23:24], 2, v[6:7]
	global_load_dword v42, v[18:19], off
	v_add_co_u32_e32 v18, vcc, s12, v25
	v_add_u32_e32 v6, 7, v15
	v_addc_co_u32_e32 v19, vcc, v12, v26, vcc
	v_lshlrev_b64 v[25:26], 2, v[6:7]
	global_load_dword v43, v[16:17], off
	v_add_co_u32_e32 v16, vcc, s12, v23
	v_add_u32_e32 v6, -1, v4
	v_addc_co_u32_e32 v17, vcc, v12, v24, vcc
	v_lshlrev_b64 v[23:24], 2, v[6:7]
	v_add_u32_e32 v6, -9, v4
	v_add_co_u32_e32 v14, vcc, s14, v25
	global_load_dword v44, v[18:19], off
	global_load_dword v25, v[16:17], off
	v_lshlrev_b64 v[18:19], 2, v[6:7]
	v_add_u32_e32 v6, 8, v15
	v_addc_co_u32_e32 v15, vcc, v13, v26, vcc
	v_add_co_u32_e32 v16, vcc, s12, v23
	v_addc_co_u32_e32 v17, vcc, v12, v24, vcc
	v_lshlrev_b64 v[5:6], 2, v[6:7]
	global_load_dword v23, v[14:15], off
	v_add_co_u32_e32 v14, vcc, s12, v18
	v_addc_co_u32_e32 v15, vcc, v12, v19, vcc
	global_load_dword v16, v[16:17], off
	v_add_co_u32_e32 v5, vcc, s14, v5
	v_addc_co_u32_e32 v6, vcc, v13, v6, vcc
	global_load_dword v17, v[14:15], off
	global_load_dword v18, v[5:6], off
	s_waitcnt vmcnt(22)
	v_fmac_f32_e32 v11, v27, v3
	v_fmac_f32_e32 v10, v21, v3
	s_waitcnt vmcnt(21)
	v_fmac_f32_e32 v10, v22, v20
	s_waitcnt vmcnt(20)
	;; [unrolled: 2-line block ×3, first 2 shown]
	v_fmac_f32_e32 v10, v30, v31
	v_fmac_f32_e32 v11, v32, v31
	s_waitcnt vmcnt(15)
	v_fmac_f32_e32 v10, v33, v34
	s_waitcnt vmcnt(14)
	;; [unrolled: 2-line block ×3, first 2 shown]
	v_fmac_f32_e32 v10, v36, v37
	v_cmp_ge_i32_e32 vcc, v2, v9
	s_or_b64 s[0:1], vcc, s[0:1]
	v_add_u32_e32 v4, 0x48, v4
	s_waitcnt vmcnt(11)
	v_fmac_f32_e32 v11, v38, v37
	s_waitcnt vmcnt(9)
	v_fmac_f32_e32 v10, v39, v40
	;; [unrolled: 2-line block ×8, first 2 shown]
	v_fmac_f32_e32 v11, v28, v18
	s_andn2_b64 exec, exec, s[0:1]
	s_cbranch_execnz .LBB35_15
; %bb.16:
	s_or_b64 exec, exec, s[0:1]
.LBB35_17:
	s_or_b64 exec, exec, s[6:7]
.LBB35_18:
	v_mov_b32_dpp v2, v10 row_shr:1 row_mask:0xf bank_mask:0xf
	v_mov_b32_dpp v4, v11 row_shr:1 row_mask:0xf bank_mask:0xf
	v_add_f32_e32 v2, v10, v2
	v_add_f32_e32 v4, v11, v4
	v_cmp_eq_u32_e32 vcc, 3, v0
	v_mov_b32_dpp v3, v2 row_shr:2 row_mask:0xf bank_mask:0xf
	v_mov_b32_dpp v5, v4 row_shr:2 row_mask:0xf bank_mask:0xf
	s_and_b64 exec, exec, vcc
	s_cbranch_execz .LBB35_22
; %bb.19:
	s_load_dwordx2 s[0:1], s[4:5], 0x38
	v_add_f32_e32 v0, v2, v3
	v_add_f32_e32 v3, v4, v5
	v_cmp_eq_f32_e64 s[4:5], s2, 0
	s_and_b64 vcc, exec, s[4:5]
	v_mul_f32_e32 v2, s16, v0
	v_mul_f32_e32 v3, s16, v3
	v_lshlrev_b32_e32 v0, 1, v1
	s_cbranch_vccz .LBB35_23
; %bb.20:
	v_ashrrev_i32_e32 v1, 31, v0
	v_lshlrev_b64 v[4:5], 2, v[0:1]
	s_waitcnt lgkmcnt(0)
	v_mov_b32_e32 v1, s1
	v_add_co_u32_e32 v4, vcc, s0, v4
	v_addc_co_u32_e32 v5, vcc, v1, v5, vcc
	global_store_dwordx2 v[4:5], v[2:3], off
	s_cbranch_execnz .LBB35_22
.LBB35_21:
	v_ashrrev_i32_e32 v1, 31, v0
	v_lshlrev_b64 v[0:1], 2, v[0:1]
	s_waitcnt lgkmcnt(0)
	v_mov_b32_e32 v4, s1
	v_add_co_u32_e32 v0, vcc, s0, v0
	v_addc_co_u32_e32 v1, vcc, v4, v1, vcc
	global_load_dwordx2 v[4:5], v[0:1], off
	s_waitcnt vmcnt(0)
	v_fmac_f32_e32 v2, s2, v4
	v_fmac_f32_e32 v3, s2, v5
	global_store_dwordx2 v[0:1], v[2:3], off
.LBB35_22:
	s_endpgm
.LBB35_23:
	s_branch .LBB35_21
	.section	.rodata,"a",@progbits
	.p2align	6, 0x0
	.amdhsa_kernel _ZN9rocsparseL19gebsrmvn_2xn_kernelILj128ELj9ELj4EfEEvi20rocsparse_direction_NS_24const_host_device_scalarIT2_EEPKiS6_PKS3_S8_S4_PS3_21rocsparse_index_base_b
		.amdhsa_group_segment_fixed_size 0
		.amdhsa_private_segment_fixed_size 0
		.amdhsa_kernarg_size 72
		.amdhsa_user_sgpr_count 6
		.amdhsa_user_sgpr_private_segment_buffer 1
		.amdhsa_user_sgpr_dispatch_ptr 0
		.amdhsa_user_sgpr_queue_ptr 0
		.amdhsa_user_sgpr_kernarg_segment_ptr 1
		.amdhsa_user_sgpr_dispatch_id 0
		.amdhsa_user_sgpr_flat_scratch_init 0
		.amdhsa_user_sgpr_private_segment_size 0
		.amdhsa_uses_dynamic_stack 0
		.amdhsa_system_sgpr_private_segment_wavefront_offset 0
		.amdhsa_system_sgpr_workgroup_id_x 1
		.amdhsa_system_sgpr_workgroup_id_y 0
		.amdhsa_system_sgpr_workgroup_id_z 0
		.amdhsa_system_sgpr_workgroup_info 0
		.amdhsa_system_vgpr_workitem_id 0
		.amdhsa_next_free_vgpr 45
		.amdhsa_next_free_sgpr 20
		.amdhsa_reserve_vcc 1
		.amdhsa_reserve_flat_scratch 0
		.amdhsa_float_round_mode_32 0
		.amdhsa_float_round_mode_16_64 0
		.amdhsa_float_denorm_mode_32 3
		.amdhsa_float_denorm_mode_16_64 3
		.amdhsa_dx10_clamp 1
		.amdhsa_ieee_mode 1
		.amdhsa_fp16_overflow 0
		.amdhsa_exception_fp_ieee_invalid_op 0
		.amdhsa_exception_fp_denorm_src 0
		.amdhsa_exception_fp_ieee_div_zero 0
		.amdhsa_exception_fp_ieee_overflow 0
		.amdhsa_exception_fp_ieee_underflow 0
		.amdhsa_exception_fp_ieee_inexact 0
		.amdhsa_exception_int_div_zero 0
	.end_amdhsa_kernel
	.section	.text._ZN9rocsparseL19gebsrmvn_2xn_kernelILj128ELj9ELj4EfEEvi20rocsparse_direction_NS_24const_host_device_scalarIT2_EEPKiS6_PKS3_S8_S4_PS3_21rocsparse_index_base_b,"axG",@progbits,_ZN9rocsparseL19gebsrmvn_2xn_kernelILj128ELj9ELj4EfEEvi20rocsparse_direction_NS_24const_host_device_scalarIT2_EEPKiS6_PKS3_S8_S4_PS3_21rocsparse_index_base_b,comdat
.Lfunc_end35:
	.size	_ZN9rocsparseL19gebsrmvn_2xn_kernelILj128ELj9ELj4EfEEvi20rocsparse_direction_NS_24const_host_device_scalarIT2_EEPKiS6_PKS3_S8_S4_PS3_21rocsparse_index_base_b, .Lfunc_end35-_ZN9rocsparseL19gebsrmvn_2xn_kernelILj128ELj9ELj4EfEEvi20rocsparse_direction_NS_24const_host_device_scalarIT2_EEPKiS6_PKS3_S8_S4_PS3_21rocsparse_index_base_b
                                        ; -- End function
	.set _ZN9rocsparseL19gebsrmvn_2xn_kernelILj128ELj9ELj4EfEEvi20rocsparse_direction_NS_24const_host_device_scalarIT2_EEPKiS6_PKS3_S8_S4_PS3_21rocsparse_index_base_b.num_vgpr, 45
	.set _ZN9rocsparseL19gebsrmvn_2xn_kernelILj128ELj9ELj4EfEEvi20rocsparse_direction_NS_24const_host_device_scalarIT2_EEPKiS6_PKS3_S8_S4_PS3_21rocsparse_index_base_b.num_agpr, 0
	.set _ZN9rocsparseL19gebsrmvn_2xn_kernelILj128ELj9ELj4EfEEvi20rocsparse_direction_NS_24const_host_device_scalarIT2_EEPKiS6_PKS3_S8_S4_PS3_21rocsparse_index_base_b.numbered_sgpr, 20
	.set _ZN9rocsparseL19gebsrmvn_2xn_kernelILj128ELj9ELj4EfEEvi20rocsparse_direction_NS_24const_host_device_scalarIT2_EEPKiS6_PKS3_S8_S4_PS3_21rocsparse_index_base_b.num_named_barrier, 0
	.set _ZN9rocsparseL19gebsrmvn_2xn_kernelILj128ELj9ELj4EfEEvi20rocsparse_direction_NS_24const_host_device_scalarIT2_EEPKiS6_PKS3_S8_S4_PS3_21rocsparse_index_base_b.private_seg_size, 0
	.set _ZN9rocsparseL19gebsrmvn_2xn_kernelILj128ELj9ELj4EfEEvi20rocsparse_direction_NS_24const_host_device_scalarIT2_EEPKiS6_PKS3_S8_S4_PS3_21rocsparse_index_base_b.uses_vcc, 1
	.set _ZN9rocsparseL19gebsrmvn_2xn_kernelILj128ELj9ELj4EfEEvi20rocsparse_direction_NS_24const_host_device_scalarIT2_EEPKiS6_PKS3_S8_S4_PS3_21rocsparse_index_base_b.uses_flat_scratch, 0
	.set _ZN9rocsparseL19gebsrmvn_2xn_kernelILj128ELj9ELj4EfEEvi20rocsparse_direction_NS_24const_host_device_scalarIT2_EEPKiS6_PKS3_S8_S4_PS3_21rocsparse_index_base_b.has_dyn_sized_stack, 0
	.set _ZN9rocsparseL19gebsrmvn_2xn_kernelILj128ELj9ELj4EfEEvi20rocsparse_direction_NS_24const_host_device_scalarIT2_EEPKiS6_PKS3_S8_S4_PS3_21rocsparse_index_base_b.has_recursion, 0
	.set _ZN9rocsparseL19gebsrmvn_2xn_kernelILj128ELj9ELj4EfEEvi20rocsparse_direction_NS_24const_host_device_scalarIT2_EEPKiS6_PKS3_S8_S4_PS3_21rocsparse_index_base_b.has_indirect_call, 0
	.section	.AMDGPU.csdata,"",@progbits
; Kernel info:
; codeLenInByte = 2172
; TotalNumSgprs: 24
; NumVgprs: 45
; ScratchSize: 0
; MemoryBound: 0
; FloatMode: 240
; IeeeMode: 1
; LDSByteSize: 0 bytes/workgroup (compile time only)
; SGPRBlocks: 2
; VGPRBlocks: 11
; NumSGPRsForWavesPerEU: 24
; NumVGPRsForWavesPerEU: 45
; Occupancy: 5
; WaveLimiterHint : 1
; COMPUTE_PGM_RSRC2:SCRATCH_EN: 0
; COMPUTE_PGM_RSRC2:USER_SGPR: 6
; COMPUTE_PGM_RSRC2:TRAP_HANDLER: 0
; COMPUTE_PGM_RSRC2:TGID_X_EN: 1
; COMPUTE_PGM_RSRC2:TGID_Y_EN: 0
; COMPUTE_PGM_RSRC2:TGID_Z_EN: 0
; COMPUTE_PGM_RSRC2:TIDIG_COMP_CNT: 0
	.section	.text._ZN9rocsparseL19gebsrmvn_2xn_kernelILj128ELj9ELj8EfEEvi20rocsparse_direction_NS_24const_host_device_scalarIT2_EEPKiS6_PKS3_S8_S4_PS3_21rocsparse_index_base_b,"axG",@progbits,_ZN9rocsparseL19gebsrmvn_2xn_kernelILj128ELj9ELj8EfEEvi20rocsparse_direction_NS_24const_host_device_scalarIT2_EEPKiS6_PKS3_S8_S4_PS3_21rocsparse_index_base_b,comdat
	.globl	_ZN9rocsparseL19gebsrmvn_2xn_kernelILj128ELj9ELj8EfEEvi20rocsparse_direction_NS_24const_host_device_scalarIT2_EEPKiS6_PKS3_S8_S4_PS3_21rocsparse_index_base_b ; -- Begin function _ZN9rocsparseL19gebsrmvn_2xn_kernelILj128ELj9ELj8EfEEvi20rocsparse_direction_NS_24const_host_device_scalarIT2_EEPKiS6_PKS3_S8_S4_PS3_21rocsparse_index_base_b
	.p2align	8
	.type	_ZN9rocsparseL19gebsrmvn_2xn_kernelILj128ELj9ELj8EfEEvi20rocsparse_direction_NS_24const_host_device_scalarIT2_EEPKiS6_PKS3_S8_S4_PS3_21rocsparse_index_base_b,@function
_ZN9rocsparseL19gebsrmvn_2xn_kernelILj128ELj9ELj8EfEEvi20rocsparse_direction_NS_24const_host_device_scalarIT2_EEPKiS6_PKS3_S8_S4_PS3_21rocsparse_index_base_b: ; @_ZN9rocsparseL19gebsrmvn_2xn_kernelILj128ELj9ELj8EfEEvi20rocsparse_direction_NS_24const_host_device_scalarIT2_EEPKiS6_PKS3_S8_S4_PS3_21rocsparse_index_base_b
; %bb.0:
	s_load_dwordx2 s[18:19], s[4:5], 0x40
	s_load_dwordx2 s[16:17], s[4:5], 0x8
	;; [unrolled: 1-line block ×3, first 2 shown]
	s_waitcnt lgkmcnt(0)
	s_bitcmp1_b32 s19, 0
	s_cselect_b64 s[8:9], -1, 0
	s_xor_b64 s[0:1], s[8:9], -1
	s_and_b64 vcc, exec, s[8:9]
	s_cbranch_vccnz .LBB36_2
; %bb.1:
	s_load_dword s16, s[16:17], 0x0
.LBB36_2:
	s_andn2_b64 vcc, exec, s[0:1]
	s_cbranch_vccnz .LBB36_4
; %bb.3:
	s_load_dword s2, s[2:3], 0x0
.LBB36_4:
	s_waitcnt lgkmcnt(0)
	v_cmp_eq_f32_e64 s[0:1], s16, 0
	v_cmp_eq_f32_e64 s[8:9], s2, 1.0
	s_and_b64 s[0:1], s[0:1], s[8:9]
	s_and_b64 vcc, exec, s[0:1]
	s_cbranch_vccnz .LBB36_22
; %bb.5:
	s_load_dwordx2 s[0:1], s[4:5], 0x0
	v_lshrrev_b32_e32 v1, 3, v0
	v_lshl_or_b32 v1, s6, 4, v1
	s_waitcnt lgkmcnt(0)
	v_cmp_gt_i32_e32 vcc, s0, v1
	s_and_saveexec_b64 s[6:7], vcc
	s_cbranch_execz .LBB36_22
; %bb.6:
	s_load_dwordx8 s[8:15], s[4:5], 0x10
	v_ashrrev_i32_e32 v2, 31, v1
	v_lshlrev_b64 v[2:3], 2, v[1:2]
	v_and_b32_e32 v0, 7, v0
	s_cmp_lg_u32 s1, 0
	s_waitcnt lgkmcnt(0)
	v_mov_b32_e32 v4, s9
	v_add_co_u32_e32 v2, vcc, s8, v2
	v_addc_co_u32_e32 v3, vcc, v4, v3, vcc
	global_load_dwordx2 v[2:3], v[2:3], off
	s_waitcnt vmcnt(0)
	v_subrev_u32_e32 v2, s18, v2
	v_subrev_u32_e32 v9, s18, v3
	v_add_u32_e32 v2, v2, v0
	v_cmp_lt_i32_e64 s[0:1], v2, v9
	s_cbranch_scc0 .LBB36_12
; %bb.7:
	v_mov_b32_e32 v10, 0
	v_mov_b32_e32 v11, 0
	s_and_saveexec_b64 s[6:7], s[0:1]
	s_cbranch_execz .LBB36_11
; %bb.8:
	v_mad_u64_u32 v[3:4], s[8:9], v2, 18, 16
	v_mov_b32_e32 v6, 0
	s_mov_b64 s[8:9], 0
	v_mov_b32_e32 v12, s11
	v_mov_b32_e32 v13, s13
	;; [unrolled: 1-line block ×6, first 2 shown]
.LBB36_9:                               ; =>This Inner Loop Header: Depth=1
	v_ashrrev_i32_e32 v8, 31, v7
	v_lshlrev_b64 v[17:18], 2, v[7:8]
	v_add_u32_e32 v5, -16, v3
	v_lshlrev_b64 v[19:20], 2, v[5:6]
	v_add_co_u32_e32 v17, vcc, s10, v17
	v_addc_co_u32_e32 v18, vcc, v12, v18, vcc
	v_add_co_u32_e32 v19, vcc, s12, v19
	v_addc_co_u32_e32 v20, vcc, v13, v20, vcc
	global_load_dword v8, v[17:18], off
	global_load_dwordx2 v[23:24], v[19:20], off
	v_mov_b32_e32 v4, v6
	v_lshlrev_b64 v[21:22], 2, v[3:4]
	v_add_u32_e32 v5, -14, v3
	v_lshlrev_b64 v[4:5], 2, v[5:6]
	v_add_co_u32_e32 v21, vcc, s12, v21
	v_addc_co_u32_e32 v22, vcc, v13, v22, vcc
	v_add_co_u32_e32 v4, vcc, s12, v4
	v_addc_co_u32_e32 v5, vcc, v13, v5, vcc
	global_load_dwordx2 v[17:18], v[21:22], off
	global_load_dwordx2 v[19:20], v[4:5], off
	v_mov_b32_e32 v16, v6
	v_add_u32_e32 v7, 8, v7
	s_waitcnt vmcnt(3)
	v_subrev_u32_e32 v4, s18, v8
	v_lshl_add_u32 v15, v4, 3, v4
	v_lshlrev_b64 v[21:22], 2, v[15:16]
	v_add_u32_e32 v5, 1, v15
	v_lshlrev_b64 v[25:26], 2, v[5:6]
	v_add_co_u32_e32 v21, vcc, s14, v21
	v_add_u32_e32 v5, -12, v3
	v_addc_co_u32_e32 v22, vcc, v14, v22, vcc
	v_lshlrev_b64 v[27:28], 2, v[5:6]
	global_load_dword v8, v[21:22], off
	v_add_co_u32_e32 v21, vcc, s14, v25
	v_add_u32_e32 v5, 2, v15
	v_addc_co_u32_e32 v22, vcc, v14, v26, vcc
	v_lshlrev_b64 v[25:26], 2, v[5:6]
	global_load_dword v39, v[21:22], off
	v_add_co_u32_e32 v21, vcc, s12, v27
	v_add_u32_e32 v5, -10, v3
	v_addc_co_u32_e32 v22, vcc, v13, v28, vcc
	v_lshlrev_b64 v[27:28], 2, v[5:6]
	v_add_co_u32_e32 v25, vcc, s14, v25
	v_add_u32_e32 v5, 3, v15
	v_addc_co_u32_e32 v26, vcc, v14, v26, vcc
	v_lshlrev_b64 v[29:30], 2, v[5:6]
	global_load_dword v40, v[25:26], off
	v_add_co_u32_e32 v25, vcc, s12, v27
	v_add_u32_e32 v5, -8, v3
	v_addc_co_u32_e32 v26, vcc, v13, v28, vcc
	v_lshlrev_b64 v[27:28], 2, v[5:6]
	v_add_co_u32_e32 v29, vcc, s14, v29
	v_add_u32_e32 v5, 4, v15
	v_addc_co_u32_e32 v30, vcc, v14, v30, vcc
	v_lshlrev_b64 v[31:32], 2, v[5:6]
	v_add_co_u32_e32 v27, vcc, s12, v27
	v_addc_co_u32_e32 v28, vcc, v13, v28, vcc
	v_add_co_u32_e32 v31, vcc, s14, v31
	v_add_u32_e32 v5, -6, v3
	v_addc_co_u32_e32 v32, vcc, v14, v32, vcc
	global_load_dword v41, v[29:30], off
	global_load_dword v42, v[31:32], off
	v_lshlrev_b64 v[29:30], 2, v[5:6]
	v_add_u32_e32 v5, 5, v15
	v_lshlrev_b64 v[33:34], 2, v[5:6]
	v_add_co_u32_e32 v29, vcc, s12, v29
	v_add_u32_e32 v5, -4, v3
	v_addc_co_u32_e32 v30, vcc, v13, v30, vcc
	v_lshlrev_b64 v[31:32], 2, v[5:6]
	v_add_co_u32_e32 v33, vcc, s14, v33
	v_add_u32_e32 v5, 6, v15
	v_addc_co_u32_e32 v34, vcc, v14, v34, vcc
	v_lshlrev_b64 v[35:36], 2, v[5:6]
	v_add_co_u32_e32 v31, vcc, s12, v31
	v_addc_co_u32_e32 v32, vcc, v13, v32, vcc
	v_add_co_u32_e32 v35, vcc, s14, v35
	v_add_u32_e32 v5, -2, v3
	v_addc_co_u32_e32 v36, vcc, v14, v36, vcc
	global_load_dword v43, v[33:34], off
	v_add_u32_e32 v3, 0x90, v3
	global_load_dword v35, v[35:36], off
	v_lshlrev_b64 v[33:34], 2, v[5:6]
	v_add_u32_e32 v5, 7, v15
	global_load_dwordx2 v[21:22], v[21:22], off
	v_lshlrev_b64 v[37:38], 2, v[5:6]
	v_add_u32_e32 v5, 8, v15
	v_add_co_u32_e32 v15, vcc, s12, v33
	global_load_dwordx2 v[25:26], v[25:26], off
	v_addc_co_u32_e32 v16, vcc, v13, v34, vcc
	global_load_dwordx2 v[27:28], v[27:28], off
	v_lshlrev_b64 v[4:5], 2, v[5:6]
	v_add_co_u32_e32 v33, vcc, s14, v37
	global_load_dwordx2 v[29:30], v[29:30], off
	v_addc_co_u32_e32 v34, vcc, v14, v38, vcc
	global_load_dwordx2 v[31:32], v[31:32], off
	v_add_co_u32_e32 v4, vcc, s14, v4
	global_load_dwordx2 v[15:16], v[15:16], off
	v_addc_co_u32_e32 v5, vcc, v14, v5, vcc
	global_load_dword v33, v[33:34], off
	s_waitcnt vmcnt(13)
	v_fmac_f32_e32 v10, v23, v8
	global_load_dword v4, v[4:5], off
	v_fmac_f32_e32 v11, v24, v8
	s_waitcnt vmcnt(13)
	v_fmac_f32_e32 v10, v19, v39
	v_fmac_f32_e32 v11, v20, v39
	v_cmp_ge_i32_e32 vcc, v7, v9
	s_or_b64 s[8:9], vcc, s[8:9]
	s_waitcnt vmcnt(7)
	v_fmac_f32_e32 v10, v21, v40
	v_fmac_f32_e32 v11, v22, v40
	s_waitcnt vmcnt(6)
	v_fmac_f32_e32 v10, v25, v41
	v_fmac_f32_e32 v11, v26, v41
	;; [unrolled: 3-line block ×7, first 2 shown]
	s_andn2_b64 exec, exec, s[8:9]
	s_cbranch_execnz .LBB36_9
; %bb.10:
	s_or_b64 exec, exec, s[8:9]
.LBB36_11:
	s_or_b64 exec, exec, s[6:7]
	s_cbranch_execz .LBB36_13
	s_branch .LBB36_18
.LBB36_12:
                                        ; implicit-def: $vgpr10
                                        ; implicit-def: $vgpr11
.LBB36_13:
	v_mov_b32_e32 v10, 0
	v_mov_b32_e32 v11, 0
	s_and_saveexec_b64 s[6:7], s[0:1]
	s_cbranch_execz .LBB36_17
; %bb.14:
	v_mad_u64_u32 v[4:5], s[0:1], v2, 18, 17
	v_mov_b32_e32 v7, 0
	s_mov_b64 s[0:1], 0
	v_mov_b32_e32 v8, s11
	v_mov_b32_e32 v12, s13
	;; [unrolled: 1-line block ×5, first 2 shown]
.LBB36_15:                              ; =>This Inner Loop Header: Depth=1
	v_ashrrev_i32_e32 v3, 31, v2
	v_lshlrev_b64 v[17:18], 2, v[2:3]
	v_subrev_u32_e32 v6, 17, v4
	v_lshlrev_b64 v[19:20], 2, v[6:7]
	v_add_co_u32_e32 v17, vcc, s10, v17
	v_add_u32_e32 v14, -8, v4
	v_mov_b32_e32 v15, v7
	v_addc_co_u32_e32 v18, vcc, v8, v18, vcc
	v_lshlrev_b64 v[14:15], 2, v[14:15]
	v_add_co_u32_e32 v19, vcc, s12, v19
	v_mov_b32_e32 v5, v7
	v_addc_co_u32_e32 v20, vcc, v12, v20, vcc
	v_lshlrev_b64 v[5:6], 2, v[4:5]
	v_add_co_u32_e32 v14, vcc, s12, v14
	v_addc_co_u32_e32 v15, vcc, v12, v15, vcc
	v_add_co_u32_e32 v5, vcc, s12, v5
	v_addc_co_u32_e32 v6, vcc, v12, v6, vcc
	global_load_dword v3, v[17:18], off
	global_load_dword v27, v[14:15], off
	;; [unrolled: 1-line block ×3, first 2 shown]
	global_load_dwordx2 v[21:22], v[19:20], off
	v_mov_b32_e32 v16, v7
	v_add_u32_e32 v2, 8, v2
	s_waitcnt vmcnt(3)
	v_subrev_u32_e32 v3, s18, v3
	v_lshl_add_u32 v15, v3, 3, v3
	v_lshlrev_b64 v[16:17], 2, v[15:16]
	v_add_u32_e32 v6, 1, v15
	v_lshlrev_b64 v[18:19], 2, v[6:7]
	v_add_co_u32_e32 v16, vcc, s14, v16
	v_add_u32_e32 v6, -7, v4
	v_addc_co_u32_e32 v17, vcc, v13, v17, vcc
	v_lshlrev_b64 v[23:24], 2, v[6:7]
	v_add_co_u32_e32 v18, vcc, s14, v18
	v_add_u32_e32 v6, -15, v4
	v_addc_co_u32_e32 v19, vcc, v13, v19, vcc
	v_lshlrev_b64 v[25:26], 2, v[6:7]
	v_add_co_u32_e32 v23, vcc, s12, v23
	v_add_u32_e32 v6, 2, v15
	v_addc_co_u32_e32 v24, vcc, v12, v24, vcc
	global_load_dword v3, v[16:17], off
	global_load_dword v20, v[18:19], off
	v_lshlrev_b64 v[16:17], 2, v[6:7]
	v_add_co_u32_e32 v25, vcc, s12, v25
	v_add_u32_e32 v6, -6, v4
	v_addc_co_u32_e32 v26, vcc, v12, v26, vcc
	v_lshlrev_b64 v[18:19], 2, v[6:7]
	v_add_co_u32_e32 v16, vcc, s14, v16
	v_addc_co_u32_e32 v17, vcc, v13, v17, vcc
	v_add_co_u32_e32 v18, vcc, s12, v18
	v_add_u32_e32 v6, -14, v4
	v_addc_co_u32_e32 v19, vcc, v12, v19, vcc
	global_load_dword v29, v[23:24], off
	global_load_dword v30, v[25:26], off
	;; [unrolled: 1-line block ×3, first 2 shown]
	v_lshlrev_b64 v[23:24], 2, v[6:7]
	v_add_u32_e32 v6, 3, v15
	v_lshlrev_b64 v[25:26], 2, v[6:7]
	global_load_dword v31, v[16:17], off
	v_add_co_u32_e32 v16, vcc, s12, v23
	v_add_u32_e32 v6, -5, v4
	v_addc_co_u32_e32 v17, vcc, v12, v24, vcc
	v_lshlrev_b64 v[23:24], 2, v[6:7]
	global_load_dword v33, v[16:17], off
	v_add_co_u32_e32 v18, vcc, s14, v25
	v_add_u32_e32 v6, -13, v4
	v_addc_co_u32_e32 v19, vcc, v13, v26, vcc
	v_lshlrev_b64 v[25:26], 2, v[6:7]
	v_add_co_u32_e32 v16, vcc, s12, v23
	v_add_u32_e32 v6, 4, v15
	v_addc_co_u32_e32 v17, vcc, v12, v24, vcc
	v_lshlrev_b64 v[23:24], 2, v[6:7]
	global_load_dword v34, v[18:19], off
	v_add_co_u32_e32 v18, vcc, s12, v25
	v_add_u32_e32 v6, -4, v4
	v_addc_co_u32_e32 v19, vcc, v12, v26, vcc
	v_lshlrev_b64 v[25:26], 2, v[6:7]
	global_load_dword v35, v[16:17], off
	v_add_co_u32_e32 v16, vcc, s14, v23
	v_add_u32_e32 v6, -12, v4
	v_addc_co_u32_e32 v17, vcc, v13, v24, vcc
	v_lshlrev_b64 v[23:24], 2, v[6:7]
	global_load_dword v36, v[18:19], off
	v_add_co_u32_e32 v18, vcc, s12, v25
	v_add_u32_e32 v6, 5, v15
	v_addc_co_u32_e32 v19, vcc, v12, v26, vcc
	v_lshlrev_b64 v[25:26], 2, v[6:7]
	global_load_dword v37, v[16:17], off
	v_add_co_u32_e32 v16, vcc, s12, v23
	v_add_u32_e32 v6, -3, v4
	v_addc_co_u32_e32 v17, vcc, v12, v24, vcc
	v_lshlrev_b64 v[23:24], 2, v[6:7]
	global_load_dword v38, v[18:19], off
	global_load_dword v39, v[16:17], off
	v_add_co_u32_e32 v18, vcc, s14, v25
	v_add_u32_e32 v6, -11, v4
	v_addc_co_u32_e32 v19, vcc, v13, v26, vcc
	v_lshlrev_b64 v[25:26], 2, v[6:7]
	v_add_co_u32_e32 v16, vcc, s12, v23
	v_add_u32_e32 v6, 6, v15
	v_addc_co_u32_e32 v17, vcc, v12, v24, vcc
	v_lshlrev_b64 v[23:24], 2, v[6:7]
	global_load_dword v40, v[18:19], off
	v_add_co_u32_e32 v18, vcc, s12, v25
	v_add_u32_e32 v6, -2, v4
	v_addc_co_u32_e32 v19, vcc, v12, v26, vcc
	v_lshlrev_b64 v[25:26], 2, v[6:7]
	global_load_dword v41, v[16:17], off
	v_add_co_u32_e32 v16, vcc, s14, v23
	v_add_u32_e32 v6, -10, v4
	v_addc_co_u32_e32 v17, vcc, v13, v24, vcc
	v_lshlrev_b64 v[23:24], 2, v[6:7]
	global_load_dword v42, v[18:19], off
	v_add_co_u32_e32 v18, vcc, s12, v25
	v_add_u32_e32 v6, 7, v15
	v_addc_co_u32_e32 v19, vcc, v12, v26, vcc
	v_lshlrev_b64 v[25:26], 2, v[6:7]
	global_load_dword v43, v[16:17], off
	v_add_co_u32_e32 v16, vcc, s12, v23
	v_add_u32_e32 v6, -1, v4
	v_addc_co_u32_e32 v17, vcc, v12, v24, vcc
	v_lshlrev_b64 v[23:24], 2, v[6:7]
	v_add_u32_e32 v6, -9, v4
	v_add_co_u32_e32 v14, vcc, s14, v25
	global_load_dword v44, v[18:19], off
	global_load_dword v25, v[16:17], off
	v_lshlrev_b64 v[18:19], 2, v[6:7]
	v_add_u32_e32 v6, 8, v15
	v_addc_co_u32_e32 v15, vcc, v13, v26, vcc
	v_add_co_u32_e32 v16, vcc, s12, v23
	v_addc_co_u32_e32 v17, vcc, v12, v24, vcc
	v_lshlrev_b64 v[5:6], 2, v[6:7]
	global_load_dword v23, v[14:15], off
	v_add_co_u32_e32 v14, vcc, s12, v18
	v_addc_co_u32_e32 v15, vcc, v12, v19, vcc
	global_load_dword v16, v[16:17], off
	v_add_co_u32_e32 v5, vcc, s14, v5
	v_addc_co_u32_e32 v6, vcc, v13, v6, vcc
	global_load_dword v17, v[14:15], off
	global_load_dword v18, v[5:6], off
	s_waitcnt vmcnt(22)
	v_fmac_f32_e32 v11, v27, v3
	v_fmac_f32_e32 v10, v21, v3
	s_waitcnt vmcnt(21)
	v_fmac_f32_e32 v10, v22, v20
	s_waitcnt vmcnt(20)
	;; [unrolled: 2-line block ×3, first 2 shown]
	v_fmac_f32_e32 v10, v30, v31
	v_fmac_f32_e32 v11, v32, v31
	s_waitcnt vmcnt(15)
	v_fmac_f32_e32 v10, v33, v34
	s_waitcnt vmcnt(14)
	;; [unrolled: 2-line block ×3, first 2 shown]
	v_fmac_f32_e32 v10, v36, v37
	v_cmp_ge_i32_e32 vcc, v2, v9
	s_or_b64 s[0:1], vcc, s[0:1]
	v_add_u32_e32 v4, 0x90, v4
	s_waitcnt vmcnt(11)
	v_fmac_f32_e32 v11, v38, v37
	s_waitcnt vmcnt(9)
	v_fmac_f32_e32 v10, v39, v40
	;; [unrolled: 2-line block ×8, first 2 shown]
	v_fmac_f32_e32 v11, v28, v18
	s_andn2_b64 exec, exec, s[0:1]
	s_cbranch_execnz .LBB36_15
; %bb.16:
	s_or_b64 exec, exec, s[0:1]
.LBB36_17:
	s_or_b64 exec, exec, s[6:7]
.LBB36_18:
	v_mov_b32_dpp v2, v10 row_shr:1 row_mask:0xf bank_mask:0xf
	v_mov_b32_dpp v4, v11 row_shr:1 row_mask:0xf bank_mask:0xf
	v_add_f32_e32 v2, v10, v2
	v_add_f32_e32 v4, v11, v4
	v_cmp_eq_u32_e32 vcc, 7, v0
	v_mov_b32_dpp v3, v2 row_shr:2 row_mask:0xf bank_mask:0xf
	v_mov_b32_dpp v5, v4 row_shr:2 row_mask:0xf bank_mask:0xf
	v_add_f32_e32 v2, v2, v3
	v_add_f32_e32 v4, v4, v5
	s_nop 0
	v_mov_b32_dpp v3, v2 row_shr:4 row_mask:0xf bank_mask:0xe
	v_mov_b32_dpp v5, v4 row_shr:4 row_mask:0xf bank_mask:0xe
	s_and_b64 exec, exec, vcc
	s_cbranch_execz .LBB36_22
; %bb.19:
	s_load_dwordx2 s[0:1], s[4:5], 0x38
	v_add_f32_e32 v0, v2, v3
	v_add_f32_e32 v3, v4, v5
	v_cmp_eq_f32_e64 s[4:5], s2, 0
	s_and_b64 vcc, exec, s[4:5]
	v_mul_f32_e32 v2, s16, v0
	v_mul_f32_e32 v3, s16, v3
	v_lshlrev_b32_e32 v0, 1, v1
	s_cbranch_vccz .LBB36_23
; %bb.20:
	v_ashrrev_i32_e32 v1, 31, v0
	v_lshlrev_b64 v[4:5], 2, v[0:1]
	s_waitcnt lgkmcnt(0)
	v_mov_b32_e32 v1, s1
	v_add_co_u32_e32 v4, vcc, s0, v4
	v_addc_co_u32_e32 v5, vcc, v1, v5, vcc
	global_store_dwordx2 v[4:5], v[2:3], off
	s_cbranch_execnz .LBB36_22
.LBB36_21:
	v_ashrrev_i32_e32 v1, 31, v0
	v_lshlrev_b64 v[0:1], 2, v[0:1]
	s_waitcnt lgkmcnt(0)
	v_mov_b32_e32 v4, s1
	v_add_co_u32_e32 v0, vcc, s0, v0
	v_addc_co_u32_e32 v1, vcc, v4, v1, vcc
	global_load_dwordx2 v[4:5], v[0:1], off
	s_waitcnt vmcnt(0)
	v_fmac_f32_e32 v2, s2, v4
	v_fmac_f32_e32 v3, s2, v5
	global_store_dwordx2 v[0:1], v[2:3], off
.LBB36_22:
	s_endpgm
.LBB36_23:
	s_branch .LBB36_21
	.section	.rodata,"a",@progbits
	.p2align	6, 0x0
	.amdhsa_kernel _ZN9rocsparseL19gebsrmvn_2xn_kernelILj128ELj9ELj8EfEEvi20rocsparse_direction_NS_24const_host_device_scalarIT2_EEPKiS6_PKS3_S8_S4_PS3_21rocsparse_index_base_b
		.amdhsa_group_segment_fixed_size 0
		.amdhsa_private_segment_fixed_size 0
		.amdhsa_kernarg_size 72
		.amdhsa_user_sgpr_count 6
		.amdhsa_user_sgpr_private_segment_buffer 1
		.amdhsa_user_sgpr_dispatch_ptr 0
		.amdhsa_user_sgpr_queue_ptr 0
		.amdhsa_user_sgpr_kernarg_segment_ptr 1
		.amdhsa_user_sgpr_dispatch_id 0
		.amdhsa_user_sgpr_flat_scratch_init 0
		.amdhsa_user_sgpr_private_segment_size 0
		.amdhsa_uses_dynamic_stack 0
		.amdhsa_system_sgpr_private_segment_wavefront_offset 0
		.amdhsa_system_sgpr_workgroup_id_x 1
		.amdhsa_system_sgpr_workgroup_id_y 0
		.amdhsa_system_sgpr_workgroup_id_z 0
		.amdhsa_system_sgpr_workgroup_info 0
		.amdhsa_system_vgpr_workitem_id 0
		.amdhsa_next_free_vgpr 45
		.amdhsa_next_free_sgpr 20
		.amdhsa_reserve_vcc 1
		.amdhsa_reserve_flat_scratch 0
		.amdhsa_float_round_mode_32 0
		.amdhsa_float_round_mode_16_64 0
		.amdhsa_float_denorm_mode_32 3
		.amdhsa_float_denorm_mode_16_64 3
		.amdhsa_dx10_clamp 1
		.amdhsa_ieee_mode 1
		.amdhsa_fp16_overflow 0
		.amdhsa_exception_fp_ieee_invalid_op 0
		.amdhsa_exception_fp_denorm_src 0
		.amdhsa_exception_fp_ieee_div_zero 0
		.amdhsa_exception_fp_ieee_overflow 0
		.amdhsa_exception_fp_ieee_underflow 0
		.amdhsa_exception_fp_ieee_inexact 0
		.amdhsa_exception_int_div_zero 0
	.end_amdhsa_kernel
	.section	.text._ZN9rocsparseL19gebsrmvn_2xn_kernelILj128ELj9ELj8EfEEvi20rocsparse_direction_NS_24const_host_device_scalarIT2_EEPKiS6_PKS3_S8_S4_PS3_21rocsparse_index_base_b,"axG",@progbits,_ZN9rocsparseL19gebsrmvn_2xn_kernelILj128ELj9ELj8EfEEvi20rocsparse_direction_NS_24const_host_device_scalarIT2_EEPKiS6_PKS3_S8_S4_PS3_21rocsparse_index_base_b,comdat
.Lfunc_end36:
	.size	_ZN9rocsparseL19gebsrmvn_2xn_kernelILj128ELj9ELj8EfEEvi20rocsparse_direction_NS_24const_host_device_scalarIT2_EEPKiS6_PKS3_S8_S4_PS3_21rocsparse_index_base_b, .Lfunc_end36-_ZN9rocsparseL19gebsrmvn_2xn_kernelILj128ELj9ELj8EfEEvi20rocsparse_direction_NS_24const_host_device_scalarIT2_EEPKiS6_PKS3_S8_S4_PS3_21rocsparse_index_base_b
                                        ; -- End function
	.set _ZN9rocsparseL19gebsrmvn_2xn_kernelILj128ELj9ELj8EfEEvi20rocsparse_direction_NS_24const_host_device_scalarIT2_EEPKiS6_PKS3_S8_S4_PS3_21rocsparse_index_base_b.num_vgpr, 45
	.set _ZN9rocsparseL19gebsrmvn_2xn_kernelILj128ELj9ELj8EfEEvi20rocsparse_direction_NS_24const_host_device_scalarIT2_EEPKiS6_PKS3_S8_S4_PS3_21rocsparse_index_base_b.num_agpr, 0
	.set _ZN9rocsparseL19gebsrmvn_2xn_kernelILj128ELj9ELj8EfEEvi20rocsparse_direction_NS_24const_host_device_scalarIT2_EEPKiS6_PKS3_S8_S4_PS3_21rocsparse_index_base_b.numbered_sgpr, 20
	.set _ZN9rocsparseL19gebsrmvn_2xn_kernelILj128ELj9ELj8EfEEvi20rocsparse_direction_NS_24const_host_device_scalarIT2_EEPKiS6_PKS3_S8_S4_PS3_21rocsparse_index_base_b.num_named_barrier, 0
	.set _ZN9rocsparseL19gebsrmvn_2xn_kernelILj128ELj9ELj8EfEEvi20rocsparse_direction_NS_24const_host_device_scalarIT2_EEPKiS6_PKS3_S8_S4_PS3_21rocsparse_index_base_b.private_seg_size, 0
	.set _ZN9rocsparseL19gebsrmvn_2xn_kernelILj128ELj9ELj8EfEEvi20rocsparse_direction_NS_24const_host_device_scalarIT2_EEPKiS6_PKS3_S8_S4_PS3_21rocsparse_index_base_b.uses_vcc, 1
	.set _ZN9rocsparseL19gebsrmvn_2xn_kernelILj128ELj9ELj8EfEEvi20rocsparse_direction_NS_24const_host_device_scalarIT2_EEPKiS6_PKS3_S8_S4_PS3_21rocsparse_index_base_b.uses_flat_scratch, 0
	.set _ZN9rocsparseL19gebsrmvn_2xn_kernelILj128ELj9ELj8EfEEvi20rocsparse_direction_NS_24const_host_device_scalarIT2_EEPKiS6_PKS3_S8_S4_PS3_21rocsparse_index_base_b.has_dyn_sized_stack, 0
	.set _ZN9rocsparseL19gebsrmvn_2xn_kernelILj128ELj9ELj8EfEEvi20rocsparse_direction_NS_24const_host_device_scalarIT2_EEPKiS6_PKS3_S8_S4_PS3_21rocsparse_index_base_b.has_recursion, 0
	.set _ZN9rocsparseL19gebsrmvn_2xn_kernelILj128ELj9ELj8EfEEvi20rocsparse_direction_NS_24const_host_device_scalarIT2_EEPKiS6_PKS3_S8_S4_PS3_21rocsparse_index_base_b.has_indirect_call, 0
	.section	.AMDGPU.csdata,"",@progbits
; Kernel info:
; codeLenInByte = 2200
; TotalNumSgprs: 24
; NumVgprs: 45
; ScratchSize: 0
; MemoryBound: 0
; FloatMode: 240
; IeeeMode: 1
; LDSByteSize: 0 bytes/workgroup (compile time only)
; SGPRBlocks: 2
; VGPRBlocks: 11
; NumSGPRsForWavesPerEU: 24
; NumVGPRsForWavesPerEU: 45
; Occupancy: 5
; WaveLimiterHint : 1
; COMPUTE_PGM_RSRC2:SCRATCH_EN: 0
; COMPUTE_PGM_RSRC2:USER_SGPR: 6
; COMPUTE_PGM_RSRC2:TRAP_HANDLER: 0
; COMPUTE_PGM_RSRC2:TGID_X_EN: 1
; COMPUTE_PGM_RSRC2:TGID_Y_EN: 0
; COMPUTE_PGM_RSRC2:TGID_Z_EN: 0
; COMPUTE_PGM_RSRC2:TIDIG_COMP_CNT: 0
	.section	.text._ZN9rocsparseL19gebsrmvn_2xn_kernelILj128ELj9ELj16EfEEvi20rocsparse_direction_NS_24const_host_device_scalarIT2_EEPKiS6_PKS3_S8_S4_PS3_21rocsparse_index_base_b,"axG",@progbits,_ZN9rocsparseL19gebsrmvn_2xn_kernelILj128ELj9ELj16EfEEvi20rocsparse_direction_NS_24const_host_device_scalarIT2_EEPKiS6_PKS3_S8_S4_PS3_21rocsparse_index_base_b,comdat
	.globl	_ZN9rocsparseL19gebsrmvn_2xn_kernelILj128ELj9ELj16EfEEvi20rocsparse_direction_NS_24const_host_device_scalarIT2_EEPKiS6_PKS3_S8_S4_PS3_21rocsparse_index_base_b ; -- Begin function _ZN9rocsparseL19gebsrmvn_2xn_kernelILj128ELj9ELj16EfEEvi20rocsparse_direction_NS_24const_host_device_scalarIT2_EEPKiS6_PKS3_S8_S4_PS3_21rocsparse_index_base_b
	.p2align	8
	.type	_ZN9rocsparseL19gebsrmvn_2xn_kernelILj128ELj9ELj16EfEEvi20rocsparse_direction_NS_24const_host_device_scalarIT2_EEPKiS6_PKS3_S8_S4_PS3_21rocsparse_index_base_b,@function
_ZN9rocsparseL19gebsrmvn_2xn_kernelILj128ELj9ELj16EfEEvi20rocsparse_direction_NS_24const_host_device_scalarIT2_EEPKiS6_PKS3_S8_S4_PS3_21rocsparse_index_base_b: ; @_ZN9rocsparseL19gebsrmvn_2xn_kernelILj128ELj9ELj16EfEEvi20rocsparse_direction_NS_24const_host_device_scalarIT2_EEPKiS6_PKS3_S8_S4_PS3_21rocsparse_index_base_b
; %bb.0:
	s_load_dwordx2 s[18:19], s[4:5], 0x40
	s_load_dwordx2 s[16:17], s[4:5], 0x8
	;; [unrolled: 1-line block ×3, first 2 shown]
	s_waitcnt lgkmcnt(0)
	s_bitcmp1_b32 s19, 0
	s_cselect_b64 s[8:9], -1, 0
	s_xor_b64 s[0:1], s[8:9], -1
	s_and_b64 vcc, exec, s[8:9]
	s_cbranch_vccnz .LBB37_2
; %bb.1:
	s_load_dword s16, s[16:17], 0x0
.LBB37_2:
	s_andn2_b64 vcc, exec, s[0:1]
	s_cbranch_vccnz .LBB37_4
; %bb.3:
	s_load_dword s2, s[2:3], 0x0
.LBB37_4:
	s_waitcnt lgkmcnt(0)
	v_cmp_eq_f32_e64 s[0:1], s16, 0
	v_cmp_eq_f32_e64 s[8:9], s2, 1.0
	s_and_b64 s[0:1], s[0:1], s[8:9]
	s_and_b64 vcc, exec, s[0:1]
	s_cbranch_vccnz .LBB37_22
; %bb.5:
	s_load_dwordx2 s[0:1], s[4:5], 0x0
	v_lshrrev_b32_e32 v1, 4, v0
	v_lshl_or_b32 v1, s6, 3, v1
	s_waitcnt lgkmcnt(0)
	v_cmp_gt_i32_e32 vcc, s0, v1
	s_and_saveexec_b64 s[6:7], vcc
	s_cbranch_execz .LBB37_22
; %bb.6:
	s_load_dwordx8 s[8:15], s[4:5], 0x10
	v_ashrrev_i32_e32 v2, 31, v1
	v_lshlrev_b64 v[2:3], 2, v[1:2]
	v_and_b32_e32 v0, 15, v0
	s_cmp_lg_u32 s1, 0
	s_waitcnt lgkmcnt(0)
	v_mov_b32_e32 v4, s9
	v_add_co_u32_e32 v2, vcc, s8, v2
	v_addc_co_u32_e32 v3, vcc, v4, v3, vcc
	global_load_dwordx2 v[2:3], v[2:3], off
	s_waitcnt vmcnt(0)
	v_subrev_u32_e32 v2, s18, v2
	v_subrev_u32_e32 v9, s18, v3
	v_add_u32_e32 v2, v2, v0
	v_cmp_lt_i32_e64 s[0:1], v2, v9
	s_cbranch_scc0 .LBB37_12
; %bb.7:
	v_mov_b32_e32 v10, 0
	v_mov_b32_e32 v11, 0
	s_and_saveexec_b64 s[6:7], s[0:1]
	s_cbranch_execz .LBB37_11
; %bb.8:
	v_mad_u64_u32 v[3:4], s[8:9], v2, 18, 16
	v_mov_b32_e32 v6, 0
	s_mov_b64 s[8:9], 0
	v_mov_b32_e32 v12, s11
	v_mov_b32_e32 v13, s13
	v_mov_b32_e32 v14, s15
	v_mov_b32_e32 v7, v2
	v_mov_b32_e32 v10, 0
	v_mov_b32_e32 v11, 0
.LBB37_9:                               ; =>This Inner Loop Header: Depth=1
	v_ashrrev_i32_e32 v8, 31, v7
	v_lshlrev_b64 v[17:18], 2, v[7:8]
	v_add_u32_e32 v5, -16, v3
	v_lshlrev_b64 v[19:20], 2, v[5:6]
	v_add_co_u32_e32 v17, vcc, s10, v17
	v_addc_co_u32_e32 v18, vcc, v12, v18, vcc
	v_add_co_u32_e32 v19, vcc, s12, v19
	v_addc_co_u32_e32 v20, vcc, v13, v20, vcc
	global_load_dword v8, v[17:18], off
	global_load_dwordx2 v[23:24], v[19:20], off
	v_mov_b32_e32 v4, v6
	v_lshlrev_b64 v[21:22], 2, v[3:4]
	v_add_u32_e32 v5, -14, v3
	v_lshlrev_b64 v[4:5], 2, v[5:6]
	v_add_co_u32_e32 v21, vcc, s12, v21
	v_addc_co_u32_e32 v22, vcc, v13, v22, vcc
	v_add_co_u32_e32 v4, vcc, s12, v4
	v_addc_co_u32_e32 v5, vcc, v13, v5, vcc
	global_load_dwordx2 v[17:18], v[21:22], off
	global_load_dwordx2 v[19:20], v[4:5], off
	v_mov_b32_e32 v16, v6
	v_add_u32_e32 v7, 16, v7
	s_waitcnt vmcnt(3)
	v_subrev_u32_e32 v4, s18, v8
	v_lshl_add_u32 v15, v4, 3, v4
	v_lshlrev_b64 v[21:22], 2, v[15:16]
	v_add_u32_e32 v5, 1, v15
	v_lshlrev_b64 v[25:26], 2, v[5:6]
	v_add_co_u32_e32 v21, vcc, s14, v21
	v_add_u32_e32 v5, -12, v3
	v_addc_co_u32_e32 v22, vcc, v14, v22, vcc
	v_lshlrev_b64 v[27:28], 2, v[5:6]
	global_load_dword v8, v[21:22], off
	v_add_co_u32_e32 v21, vcc, s14, v25
	v_add_u32_e32 v5, 2, v15
	v_addc_co_u32_e32 v22, vcc, v14, v26, vcc
	v_lshlrev_b64 v[25:26], 2, v[5:6]
	global_load_dword v39, v[21:22], off
	v_add_co_u32_e32 v21, vcc, s12, v27
	v_add_u32_e32 v5, -10, v3
	v_addc_co_u32_e32 v22, vcc, v13, v28, vcc
	v_lshlrev_b64 v[27:28], 2, v[5:6]
	v_add_co_u32_e32 v25, vcc, s14, v25
	v_add_u32_e32 v5, 3, v15
	v_addc_co_u32_e32 v26, vcc, v14, v26, vcc
	v_lshlrev_b64 v[29:30], 2, v[5:6]
	global_load_dword v40, v[25:26], off
	v_add_co_u32_e32 v25, vcc, s12, v27
	v_add_u32_e32 v5, -8, v3
	v_addc_co_u32_e32 v26, vcc, v13, v28, vcc
	v_lshlrev_b64 v[27:28], 2, v[5:6]
	v_add_co_u32_e32 v29, vcc, s14, v29
	v_add_u32_e32 v5, 4, v15
	v_addc_co_u32_e32 v30, vcc, v14, v30, vcc
	v_lshlrev_b64 v[31:32], 2, v[5:6]
	v_add_co_u32_e32 v27, vcc, s12, v27
	v_addc_co_u32_e32 v28, vcc, v13, v28, vcc
	v_add_co_u32_e32 v31, vcc, s14, v31
	v_add_u32_e32 v5, -6, v3
	v_addc_co_u32_e32 v32, vcc, v14, v32, vcc
	global_load_dword v41, v[29:30], off
	global_load_dword v42, v[31:32], off
	v_lshlrev_b64 v[29:30], 2, v[5:6]
	v_add_u32_e32 v5, 5, v15
	v_lshlrev_b64 v[33:34], 2, v[5:6]
	v_add_co_u32_e32 v29, vcc, s12, v29
	v_add_u32_e32 v5, -4, v3
	v_addc_co_u32_e32 v30, vcc, v13, v30, vcc
	v_lshlrev_b64 v[31:32], 2, v[5:6]
	v_add_co_u32_e32 v33, vcc, s14, v33
	v_add_u32_e32 v5, 6, v15
	v_addc_co_u32_e32 v34, vcc, v14, v34, vcc
	v_lshlrev_b64 v[35:36], 2, v[5:6]
	v_add_co_u32_e32 v31, vcc, s12, v31
	v_addc_co_u32_e32 v32, vcc, v13, v32, vcc
	v_add_co_u32_e32 v35, vcc, s14, v35
	v_add_u32_e32 v5, -2, v3
	v_addc_co_u32_e32 v36, vcc, v14, v36, vcc
	global_load_dword v43, v[33:34], off
	v_add_u32_e32 v3, 0x120, v3
	global_load_dword v35, v[35:36], off
	v_lshlrev_b64 v[33:34], 2, v[5:6]
	v_add_u32_e32 v5, 7, v15
	global_load_dwordx2 v[21:22], v[21:22], off
	v_lshlrev_b64 v[37:38], 2, v[5:6]
	v_add_u32_e32 v5, 8, v15
	v_add_co_u32_e32 v15, vcc, s12, v33
	global_load_dwordx2 v[25:26], v[25:26], off
	v_addc_co_u32_e32 v16, vcc, v13, v34, vcc
	global_load_dwordx2 v[27:28], v[27:28], off
	v_lshlrev_b64 v[4:5], 2, v[5:6]
	v_add_co_u32_e32 v33, vcc, s14, v37
	global_load_dwordx2 v[29:30], v[29:30], off
	v_addc_co_u32_e32 v34, vcc, v14, v38, vcc
	global_load_dwordx2 v[31:32], v[31:32], off
	v_add_co_u32_e32 v4, vcc, s14, v4
	global_load_dwordx2 v[15:16], v[15:16], off
	v_addc_co_u32_e32 v5, vcc, v14, v5, vcc
	global_load_dword v33, v[33:34], off
	s_waitcnt vmcnt(13)
	v_fmac_f32_e32 v10, v23, v8
	global_load_dword v4, v[4:5], off
	v_fmac_f32_e32 v11, v24, v8
	s_waitcnt vmcnt(13)
	v_fmac_f32_e32 v10, v19, v39
	v_fmac_f32_e32 v11, v20, v39
	v_cmp_ge_i32_e32 vcc, v7, v9
	s_or_b64 s[8:9], vcc, s[8:9]
	s_waitcnt vmcnt(7)
	v_fmac_f32_e32 v10, v21, v40
	v_fmac_f32_e32 v11, v22, v40
	s_waitcnt vmcnt(6)
	v_fmac_f32_e32 v10, v25, v41
	v_fmac_f32_e32 v11, v26, v41
	;; [unrolled: 3-line block ×7, first 2 shown]
	s_andn2_b64 exec, exec, s[8:9]
	s_cbranch_execnz .LBB37_9
; %bb.10:
	s_or_b64 exec, exec, s[8:9]
.LBB37_11:
	s_or_b64 exec, exec, s[6:7]
	s_cbranch_execz .LBB37_13
	s_branch .LBB37_18
.LBB37_12:
                                        ; implicit-def: $vgpr10
                                        ; implicit-def: $vgpr11
.LBB37_13:
	v_mov_b32_e32 v10, 0
	v_mov_b32_e32 v11, 0
	s_and_saveexec_b64 s[6:7], s[0:1]
	s_cbranch_execz .LBB37_17
; %bb.14:
	v_mad_u64_u32 v[4:5], s[0:1], v2, 18, 17
	v_mov_b32_e32 v7, 0
	s_mov_b64 s[0:1], 0
	v_mov_b32_e32 v8, s11
	v_mov_b32_e32 v12, s13
	;; [unrolled: 1-line block ×5, first 2 shown]
.LBB37_15:                              ; =>This Inner Loop Header: Depth=1
	v_ashrrev_i32_e32 v3, 31, v2
	v_lshlrev_b64 v[17:18], 2, v[2:3]
	v_subrev_u32_e32 v6, 17, v4
	v_lshlrev_b64 v[19:20], 2, v[6:7]
	v_add_co_u32_e32 v17, vcc, s10, v17
	v_add_u32_e32 v14, -8, v4
	v_mov_b32_e32 v15, v7
	v_addc_co_u32_e32 v18, vcc, v8, v18, vcc
	v_lshlrev_b64 v[14:15], 2, v[14:15]
	v_add_co_u32_e32 v19, vcc, s12, v19
	v_mov_b32_e32 v5, v7
	v_addc_co_u32_e32 v20, vcc, v12, v20, vcc
	v_lshlrev_b64 v[5:6], 2, v[4:5]
	v_add_co_u32_e32 v14, vcc, s12, v14
	v_addc_co_u32_e32 v15, vcc, v12, v15, vcc
	v_add_co_u32_e32 v5, vcc, s12, v5
	v_addc_co_u32_e32 v6, vcc, v12, v6, vcc
	global_load_dword v3, v[17:18], off
	global_load_dword v27, v[14:15], off
	;; [unrolled: 1-line block ×3, first 2 shown]
	global_load_dwordx2 v[21:22], v[19:20], off
	v_mov_b32_e32 v16, v7
	v_add_u32_e32 v2, 16, v2
	s_waitcnt vmcnt(3)
	v_subrev_u32_e32 v3, s18, v3
	v_lshl_add_u32 v15, v3, 3, v3
	v_lshlrev_b64 v[16:17], 2, v[15:16]
	v_add_u32_e32 v6, 1, v15
	v_lshlrev_b64 v[18:19], 2, v[6:7]
	v_add_co_u32_e32 v16, vcc, s14, v16
	v_add_u32_e32 v6, -7, v4
	v_addc_co_u32_e32 v17, vcc, v13, v17, vcc
	v_lshlrev_b64 v[23:24], 2, v[6:7]
	v_add_co_u32_e32 v18, vcc, s14, v18
	v_add_u32_e32 v6, -15, v4
	v_addc_co_u32_e32 v19, vcc, v13, v19, vcc
	v_lshlrev_b64 v[25:26], 2, v[6:7]
	v_add_co_u32_e32 v23, vcc, s12, v23
	v_add_u32_e32 v6, 2, v15
	v_addc_co_u32_e32 v24, vcc, v12, v24, vcc
	global_load_dword v3, v[16:17], off
	global_load_dword v20, v[18:19], off
	v_lshlrev_b64 v[16:17], 2, v[6:7]
	v_add_co_u32_e32 v25, vcc, s12, v25
	v_add_u32_e32 v6, -6, v4
	v_addc_co_u32_e32 v26, vcc, v12, v26, vcc
	v_lshlrev_b64 v[18:19], 2, v[6:7]
	v_add_co_u32_e32 v16, vcc, s14, v16
	v_addc_co_u32_e32 v17, vcc, v13, v17, vcc
	v_add_co_u32_e32 v18, vcc, s12, v18
	v_add_u32_e32 v6, -14, v4
	v_addc_co_u32_e32 v19, vcc, v12, v19, vcc
	global_load_dword v29, v[23:24], off
	global_load_dword v30, v[25:26], off
	;; [unrolled: 1-line block ×3, first 2 shown]
	v_lshlrev_b64 v[23:24], 2, v[6:7]
	v_add_u32_e32 v6, 3, v15
	v_lshlrev_b64 v[25:26], 2, v[6:7]
	global_load_dword v31, v[16:17], off
	v_add_co_u32_e32 v16, vcc, s12, v23
	v_add_u32_e32 v6, -5, v4
	v_addc_co_u32_e32 v17, vcc, v12, v24, vcc
	v_lshlrev_b64 v[23:24], 2, v[6:7]
	global_load_dword v33, v[16:17], off
	v_add_co_u32_e32 v18, vcc, s14, v25
	v_add_u32_e32 v6, -13, v4
	v_addc_co_u32_e32 v19, vcc, v13, v26, vcc
	v_lshlrev_b64 v[25:26], 2, v[6:7]
	v_add_co_u32_e32 v16, vcc, s12, v23
	v_add_u32_e32 v6, 4, v15
	v_addc_co_u32_e32 v17, vcc, v12, v24, vcc
	v_lshlrev_b64 v[23:24], 2, v[6:7]
	global_load_dword v34, v[18:19], off
	v_add_co_u32_e32 v18, vcc, s12, v25
	v_add_u32_e32 v6, -4, v4
	v_addc_co_u32_e32 v19, vcc, v12, v26, vcc
	v_lshlrev_b64 v[25:26], 2, v[6:7]
	global_load_dword v35, v[16:17], off
	v_add_co_u32_e32 v16, vcc, s14, v23
	v_add_u32_e32 v6, -12, v4
	v_addc_co_u32_e32 v17, vcc, v13, v24, vcc
	v_lshlrev_b64 v[23:24], 2, v[6:7]
	global_load_dword v36, v[18:19], off
	v_add_co_u32_e32 v18, vcc, s12, v25
	v_add_u32_e32 v6, 5, v15
	v_addc_co_u32_e32 v19, vcc, v12, v26, vcc
	v_lshlrev_b64 v[25:26], 2, v[6:7]
	global_load_dword v37, v[16:17], off
	v_add_co_u32_e32 v16, vcc, s12, v23
	v_add_u32_e32 v6, -3, v4
	v_addc_co_u32_e32 v17, vcc, v12, v24, vcc
	v_lshlrev_b64 v[23:24], 2, v[6:7]
	global_load_dword v38, v[18:19], off
	global_load_dword v39, v[16:17], off
	v_add_co_u32_e32 v18, vcc, s14, v25
	v_add_u32_e32 v6, -11, v4
	v_addc_co_u32_e32 v19, vcc, v13, v26, vcc
	v_lshlrev_b64 v[25:26], 2, v[6:7]
	v_add_co_u32_e32 v16, vcc, s12, v23
	v_add_u32_e32 v6, 6, v15
	v_addc_co_u32_e32 v17, vcc, v12, v24, vcc
	v_lshlrev_b64 v[23:24], 2, v[6:7]
	global_load_dword v40, v[18:19], off
	v_add_co_u32_e32 v18, vcc, s12, v25
	v_add_u32_e32 v6, -2, v4
	v_addc_co_u32_e32 v19, vcc, v12, v26, vcc
	v_lshlrev_b64 v[25:26], 2, v[6:7]
	global_load_dword v41, v[16:17], off
	v_add_co_u32_e32 v16, vcc, s14, v23
	v_add_u32_e32 v6, -10, v4
	v_addc_co_u32_e32 v17, vcc, v13, v24, vcc
	v_lshlrev_b64 v[23:24], 2, v[6:7]
	global_load_dword v42, v[18:19], off
	v_add_co_u32_e32 v18, vcc, s12, v25
	v_add_u32_e32 v6, 7, v15
	v_addc_co_u32_e32 v19, vcc, v12, v26, vcc
	v_lshlrev_b64 v[25:26], 2, v[6:7]
	global_load_dword v43, v[16:17], off
	v_add_co_u32_e32 v16, vcc, s12, v23
	v_add_u32_e32 v6, -1, v4
	v_addc_co_u32_e32 v17, vcc, v12, v24, vcc
	v_lshlrev_b64 v[23:24], 2, v[6:7]
	v_add_u32_e32 v6, -9, v4
	v_add_co_u32_e32 v14, vcc, s14, v25
	global_load_dword v44, v[18:19], off
	global_load_dword v25, v[16:17], off
	v_lshlrev_b64 v[18:19], 2, v[6:7]
	v_add_u32_e32 v6, 8, v15
	v_addc_co_u32_e32 v15, vcc, v13, v26, vcc
	v_add_co_u32_e32 v16, vcc, s12, v23
	v_addc_co_u32_e32 v17, vcc, v12, v24, vcc
	v_lshlrev_b64 v[5:6], 2, v[6:7]
	global_load_dword v23, v[14:15], off
	v_add_co_u32_e32 v14, vcc, s12, v18
	v_addc_co_u32_e32 v15, vcc, v12, v19, vcc
	global_load_dword v16, v[16:17], off
	v_add_co_u32_e32 v5, vcc, s14, v5
	v_addc_co_u32_e32 v6, vcc, v13, v6, vcc
	global_load_dword v17, v[14:15], off
	global_load_dword v18, v[5:6], off
	s_waitcnt vmcnt(22)
	v_fmac_f32_e32 v11, v27, v3
	v_fmac_f32_e32 v10, v21, v3
	s_waitcnt vmcnt(21)
	v_fmac_f32_e32 v10, v22, v20
	s_waitcnt vmcnt(20)
	;; [unrolled: 2-line block ×3, first 2 shown]
	v_fmac_f32_e32 v10, v30, v31
	v_fmac_f32_e32 v11, v32, v31
	s_waitcnt vmcnt(15)
	v_fmac_f32_e32 v10, v33, v34
	s_waitcnt vmcnt(14)
	;; [unrolled: 2-line block ×3, first 2 shown]
	v_fmac_f32_e32 v10, v36, v37
	v_cmp_ge_i32_e32 vcc, v2, v9
	s_or_b64 s[0:1], vcc, s[0:1]
	v_add_u32_e32 v4, 0x120, v4
	s_waitcnt vmcnt(11)
	v_fmac_f32_e32 v11, v38, v37
	s_waitcnt vmcnt(9)
	v_fmac_f32_e32 v10, v39, v40
	;; [unrolled: 2-line block ×8, first 2 shown]
	v_fmac_f32_e32 v11, v28, v18
	s_andn2_b64 exec, exec, s[0:1]
	s_cbranch_execnz .LBB37_15
; %bb.16:
	s_or_b64 exec, exec, s[0:1]
.LBB37_17:
	s_or_b64 exec, exec, s[6:7]
.LBB37_18:
	v_mov_b32_dpp v2, v10 row_shr:1 row_mask:0xf bank_mask:0xf
	v_mov_b32_dpp v4, v11 row_shr:1 row_mask:0xf bank_mask:0xf
	v_add_f32_e32 v2, v10, v2
	v_add_f32_e32 v4, v11, v4
	v_cmp_eq_u32_e32 vcc, 15, v0
	v_mov_b32_dpp v3, v2 row_shr:2 row_mask:0xf bank_mask:0xf
	v_mov_b32_dpp v5, v4 row_shr:2 row_mask:0xf bank_mask:0xf
	v_add_f32_e32 v2, v2, v3
	v_add_f32_e32 v4, v4, v5
	s_nop 0
	v_mov_b32_dpp v3, v2 row_shr:4 row_mask:0xf bank_mask:0xe
	v_mov_b32_dpp v5, v4 row_shr:4 row_mask:0xf bank_mask:0xe
	v_add_f32_e32 v2, v2, v3
	v_add_f32_e32 v4, v4, v5
	s_nop 0
	v_mov_b32_dpp v3, v2 row_shr:8 row_mask:0xf bank_mask:0xc
	v_mov_b32_dpp v5, v4 row_shr:8 row_mask:0xf bank_mask:0xc
	s_and_b64 exec, exec, vcc
	s_cbranch_execz .LBB37_22
; %bb.19:
	s_load_dwordx2 s[0:1], s[4:5], 0x38
	v_add_f32_e32 v0, v2, v3
	v_add_f32_e32 v3, v4, v5
	v_cmp_eq_f32_e64 s[4:5], s2, 0
	s_and_b64 vcc, exec, s[4:5]
	v_mul_f32_e32 v2, s16, v0
	v_mul_f32_e32 v3, s16, v3
	v_lshlrev_b32_e32 v0, 1, v1
	s_cbranch_vccz .LBB37_23
; %bb.20:
	v_ashrrev_i32_e32 v1, 31, v0
	v_lshlrev_b64 v[4:5], 2, v[0:1]
	s_waitcnt lgkmcnt(0)
	v_mov_b32_e32 v1, s1
	v_add_co_u32_e32 v4, vcc, s0, v4
	v_addc_co_u32_e32 v5, vcc, v1, v5, vcc
	global_store_dwordx2 v[4:5], v[2:3], off
	s_cbranch_execnz .LBB37_22
.LBB37_21:
	v_ashrrev_i32_e32 v1, 31, v0
	v_lshlrev_b64 v[0:1], 2, v[0:1]
	s_waitcnt lgkmcnt(0)
	v_mov_b32_e32 v4, s1
	v_add_co_u32_e32 v0, vcc, s0, v0
	v_addc_co_u32_e32 v1, vcc, v4, v1, vcc
	global_load_dwordx2 v[4:5], v[0:1], off
	s_waitcnt vmcnt(0)
	v_fmac_f32_e32 v2, s2, v4
	v_fmac_f32_e32 v3, s2, v5
	global_store_dwordx2 v[0:1], v[2:3], off
.LBB37_22:
	s_endpgm
.LBB37_23:
	s_branch .LBB37_21
	.section	.rodata,"a",@progbits
	.p2align	6, 0x0
	.amdhsa_kernel _ZN9rocsparseL19gebsrmvn_2xn_kernelILj128ELj9ELj16EfEEvi20rocsparse_direction_NS_24const_host_device_scalarIT2_EEPKiS6_PKS3_S8_S4_PS3_21rocsparse_index_base_b
		.amdhsa_group_segment_fixed_size 0
		.amdhsa_private_segment_fixed_size 0
		.amdhsa_kernarg_size 72
		.amdhsa_user_sgpr_count 6
		.amdhsa_user_sgpr_private_segment_buffer 1
		.amdhsa_user_sgpr_dispatch_ptr 0
		.amdhsa_user_sgpr_queue_ptr 0
		.amdhsa_user_sgpr_kernarg_segment_ptr 1
		.amdhsa_user_sgpr_dispatch_id 0
		.amdhsa_user_sgpr_flat_scratch_init 0
		.amdhsa_user_sgpr_private_segment_size 0
		.amdhsa_uses_dynamic_stack 0
		.amdhsa_system_sgpr_private_segment_wavefront_offset 0
		.amdhsa_system_sgpr_workgroup_id_x 1
		.amdhsa_system_sgpr_workgroup_id_y 0
		.amdhsa_system_sgpr_workgroup_id_z 0
		.amdhsa_system_sgpr_workgroup_info 0
		.amdhsa_system_vgpr_workitem_id 0
		.amdhsa_next_free_vgpr 45
		.amdhsa_next_free_sgpr 20
		.amdhsa_reserve_vcc 1
		.amdhsa_reserve_flat_scratch 0
		.amdhsa_float_round_mode_32 0
		.amdhsa_float_round_mode_16_64 0
		.amdhsa_float_denorm_mode_32 3
		.amdhsa_float_denorm_mode_16_64 3
		.amdhsa_dx10_clamp 1
		.amdhsa_ieee_mode 1
		.amdhsa_fp16_overflow 0
		.amdhsa_exception_fp_ieee_invalid_op 0
		.amdhsa_exception_fp_denorm_src 0
		.amdhsa_exception_fp_ieee_div_zero 0
		.amdhsa_exception_fp_ieee_overflow 0
		.amdhsa_exception_fp_ieee_underflow 0
		.amdhsa_exception_fp_ieee_inexact 0
		.amdhsa_exception_int_div_zero 0
	.end_amdhsa_kernel
	.section	.text._ZN9rocsparseL19gebsrmvn_2xn_kernelILj128ELj9ELj16EfEEvi20rocsparse_direction_NS_24const_host_device_scalarIT2_EEPKiS6_PKS3_S8_S4_PS3_21rocsparse_index_base_b,"axG",@progbits,_ZN9rocsparseL19gebsrmvn_2xn_kernelILj128ELj9ELj16EfEEvi20rocsparse_direction_NS_24const_host_device_scalarIT2_EEPKiS6_PKS3_S8_S4_PS3_21rocsparse_index_base_b,comdat
.Lfunc_end37:
	.size	_ZN9rocsparseL19gebsrmvn_2xn_kernelILj128ELj9ELj16EfEEvi20rocsparse_direction_NS_24const_host_device_scalarIT2_EEPKiS6_PKS3_S8_S4_PS3_21rocsparse_index_base_b, .Lfunc_end37-_ZN9rocsparseL19gebsrmvn_2xn_kernelILj128ELj9ELj16EfEEvi20rocsparse_direction_NS_24const_host_device_scalarIT2_EEPKiS6_PKS3_S8_S4_PS3_21rocsparse_index_base_b
                                        ; -- End function
	.set _ZN9rocsparseL19gebsrmvn_2xn_kernelILj128ELj9ELj16EfEEvi20rocsparse_direction_NS_24const_host_device_scalarIT2_EEPKiS6_PKS3_S8_S4_PS3_21rocsparse_index_base_b.num_vgpr, 45
	.set _ZN9rocsparseL19gebsrmvn_2xn_kernelILj128ELj9ELj16EfEEvi20rocsparse_direction_NS_24const_host_device_scalarIT2_EEPKiS6_PKS3_S8_S4_PS3_21rocsparse_index_base_b.num_agpr, 0
	.set _ZN9rocsparseL19gebsrmvn_2xn_kernelILj128ELj9ELj16EfEEvi20rocsparse_direction_NS_24const_host_device_scalarIT2_EEPKiS6_PKS3_S8_S4_PS3_21rocsparse_index_base_b.numbered_sgpr, 20
	.set _ZN9rocsparseL19gebsrmvn_2xn_kernelILj128ELj9ELj16EfEEvi20rocsparse_direction_NS_24const_host_device_scalarIT2_EEPKiS6_PKS3_S8_S4_PS3_21rocsparse_index_base_b.num_named_barrier, 0
	.set _ZN9rocsparseL19gebsrmvn_2xn_kernelILj128ELj9ELj16EfEEvi20rocsparse_direction_NS_24const_host_device_scalarIT2_EEPKiS6_PKS3_S8_S4_PS3_21rocsparse_index_base_b.private_seg_size, 0
	.set _ZN9rocsparseL19gebsrmvn_2xn_kernelILj128ELj9ELj16EfEEvi20rocsparse_direction_NS_24const_host_device_scalarIT2_EEPKiS6_PKS3_S8_S4_PS3_21rocsparse_index_base_b.uses_vcc, 1
	.set _ZN9rocsparseL19gebsrmvn_2xn_kernelILj128ELj9ELj16EfEEvi20rocsparse_direction_NS_24const_host_device_scalarIT2_EEPKiS6_PKS3_S8_S4_PS3_21rocsparse_index_base_b.uses_flat_scratch, 0
	.set _ZN9rocsparseL19gebsrmvn_2xn_kernelILj128ELj9ELj16EfEEvi20rocsparse_direction_NS_24const_host_device_scalarIT2_EEPKiS6_PKS3_S8_S4_PS3_21rocsparse_index_base_b.has_dyn_sized_stack, 0
	.set _ZN9rocsparseL19gebsrmvn_2xn_kernelILj128ELj9ELj16EfEEvi20rocsparse_direction_NS_24const_host_device_scalarIT2_EEPKiS6_PKS3_S8_S4_PS3_21rocsparse_index_base_b.has_recursion, 0
	.set _ZN9rocsparseL19gebsrmvn_2xn_kernelILj128ELj9ELj16EfEEvi20rocsparse_direction_NS_24const_host_device_scalarIT2_EEPKiS6_PKS3_S8_S4_PS3_21rocsparse_index_base_b.has_indirect_call, 0
	.section	.AMDGPU.csdata,"",@progbits
; Kernel info:
; codeLenInByte = 2228
; TotalNumSgprs: 24
; NumVgprs: 45
; ScratchSize: 0
; MemoryBound: 0
; FloatMode: 240
; IeeeMode: 1
; LDSByteSize: 0 bytes/workgroup (compile time only)
; SGPRBlocks: 2
; VGPRBlocks: 11
; NumSGPRsForWavesPerEU: 24
; NumVGPRsForWavesPerEU: 45
; Occupancy: 5
; WaveLimiterHint : 1
; COMPUTE_PGM_RSRC2:SCRATCH_EN: 0
; COMPUTE_PGM_RSRC2:USER_SGPR: 6
; COMPUTE_PGM_RSRC2:TRAP_HANDLER: 0
; COMPUTE_PGM_RSRC2:TGID_X_EN: 1
; COMPUTE_PGM_RSRC2:TGID_Y_EN: 0
; COMPUTE_PGM_RSRC2:TGID_Z_EN: 0
; COMPUTE_PGM_RSRC2:TIDIG_COMP_CNT: 0
	.section	.text._ZN9rocsparseL19gebsrmvn_2xn_kernelILj128ELj9ELj32EfEEvi20rocsparse_direction_NS_24const_host_device_scalarIT2_EEPKiS6_PKS3_S8_S4_PS3_21rocsparse_index_base_b,"axG",@progbits,_ZN9rocsparseL19gebsrmvn_2xn_kernelILj128ELj9ELj32EfEEvi20rocsparse_direction_NS_24const_host_device_scalarIT2_EEPKiS6_PKS3_S8_S4_PS3_21rocsparse_index_base_b,comdat
	.globl	_ZN9rocsparseL19gebsrmvn_2xn_kernelILj128ELj9ELj32EfEEvi20rocsparse_direction_NS_24const_host_device_scalarIT2_EEPKiS6_PKS3_S8_S4_PS3_21rocsparse_index_base_b ; -- Begin function _ZN9rocsparseL19gebsrmvn_2xn_kernelILj128ELj9ELj32EfEEvi20rocsparse_direction_NS_24const_host_device_scalarIT2_EEPKiS6_PKS3_S8_S4_PS3_21rocsparse_index_base_b
	.p2align	8
	.type	_ZN9rocsparseL19gebsrmvn_2xn_kernelILj128ELj9ELj32EfEEvi20rocsparse_direction_NS_24const_host_device_scalarIT2_EEPKiS6_PKS3_S8_S4_PS3_21rocsparse_index_base_b,@function
_ZN9rocsparseL19gebsrmvn_2xn_kernelILj128ELj9ELj32EfEEvi20rocsparse_direction_NS_24const_host_device_scalarIT2_EEPKiS6_PKS3_S8_S4_PS3_21rocsparse_index_base_b: ; @_ZN9rocsparseL19gebsrmvn_2xn_kernelILj128ELj9ELj32EfEEvi20rocsparse_direction_NS_24const_host_device_scalarIT2_EEPKiS6_PKS3_S8_S4_PS3_21rocsparse_index_base_b
; %bb.0:
	s_load_dwordx2 s[18:19], s[4:5], 0x40
	s_load_dwordx2 s[16:17], s[4:5], 0x8
	;; [unrolled: 1-line block ×3, first 2 shown]
	s_waitcnt lgkmcnt(0)
	s_bitcmp1_b32 s19, 0
	s_cselect_b64 s[8:9], -1, 0
	s_xor_b64 s[0:1], s[8:9], -1
	s_and_b64 vcc, exec, s[8:9]
	s_cbranch_vccnz .LBB38_2
; %bb.1:
	s_load_dword s16, s[16:17], 0x0
.LBB38_2:
	s_andn2_b64 vcc, exec, s[0:1]
	s_cbranch_vccnz .LBB38_4
; %bb.3:
	s_load_dword s2, s[2:3], 0x0
.LBB38_4:
	s_waitcnt lgkmcnt(0)
	v_cmp_eq_f32_e64 s[0:1], s16, 0
	v_cmp_eq_f32_e64 s[8:9], s2, 1.0
	s_and_b64 s[0:1], s[0:1], s[8:9]
	s_and_b64 vcc, exec, s[0:1]
	s_cbranch_vccnz .LBB38_22
; %bb.5:
	s_load_dwordx2 s[0:1], s[4:5], 0x0
	v_lshrrev_b32_e32 v1, 5, v0
	v_lshl_or_b32 v1, s6, 2, v1
	s_waitcnt lgkmcnt(0)
	v_cmp_gt_i32_e32 vcc, s0, v1
	s_and_saveexec_b64 s[6:7], vcc
	s_cbranch_execz .LBB38_22
; %bb.6:
	s_load_dwordx8 s[8:15], s[4:5], 0x10
	v_ashrrev_i32_e32 v2, 31, v1
	v_lshlrev_b64 v[2:3], 2, v[1:2]
	v_and_b32_e32 v0, 31, v0
	s_cmp_lg_u32 s1, 0
	s_waitcnt lgkmcnt(0)
	v_mov_b32_e32 v4, s9
	v_add_co_u32_e32 v2, vcc, s8, v2
	v_addc_co_u32_e32 v3, vcc, v4, v3, vcc
	global_load_dwordx2 v[2:3], v[2:3], off
	s_waitcnt vmcnt(0)
	v_subrev_u32_e32 v2, s18, v2
	v_subrev_u32_e32 v9, s18, v3
	v_add_u32_e32 v2, v2, v0
	v_cmp_lt_i32_e64 s[0:1], v2, v9
	s_cbranch_scc0 .LBB38_12
; %bb.7:
	v_mov_b32_e32 v11, 0
	v_mov_b32_e32 v10, 0
	s_and_saveexec_b64 s[6:7], s[0:1]
	s_cbranch_execz .LBB38_11
; %bb.8:
	v_mad_u64_u32 v[3:4], s[8:9], v2, 18, 16
	v_mov_b32_e32 v6, 0
	s_mov_b64 s[8:9], 0
	v_mov_b32_e32 v12, s11
	v_mov_b32_e32 v13, s13
	;; [unrolled: 1-line block ×6, first 2 shown]
.LBB38_9:                               ; =>This Inner Loop Header: Depth=1
	v_ashrrev_i32_e32 v8, 31, v7
	v_lshlrev_b64 v[17:18], 2, v[7:8]
	v_add_u32_e32 v5, -16, v3
	v_lshlrev_b64 v[19:20], 2, v[5:6]
	v_add_co_u32_e32 v17, vcc, s10, v17
	v_addc_co_u32_e32 v18, vcc, v12, v18, vcc
	v_add_co_u32_e32 v19, vcc, s12, v19
	v_addc_co_u32_e32 v20, vcc, v13, v20, vcc
	global_load_dword v8, v[17:18], off
	global_load_dwordx2 v[23:24], v[19:20], off
	v_mov_b32_e32 v4, v6
	v_lshlrev_b64 v[21:22], 2, v[3:4]
	v_add_u32_e32 v5, -14, v3
	v_lshlrev_b64 v[4:5], 2, v[5:6]
	v_add_co_u32_e32 v21, vcc, s12, v21
	v_addc_co_u32_e32 v22, vcc, v13, v22, vcc
	v_add_co_u32_e32 v4, vcc, s12, v4
	v_addc_co_u32_e32 v5, vcc, v13, v5, vcc
	global_load_dwordx2 v[17:18], v[21:22], off
	global_load_dwordx2 v[19:20], v[4:5], off
	v_mov_b32_e32 v16, v6
	v_add_u32_e32 v7, 32, v7
	s_waitcnt vmcnt(3)
	v_subrev_u32_e32 v4, s18, v8
	v_lshl_add_u32 v15, v4, 3, v4
	v_lshlrev_b64 v[21:22], 2, v[15:16]
	v_add_u32_e32 v5, 1, v15
	v_lshlrev_b64 v[25:26], 2, v[5:6]
	v_add_co_u32_e32 v21, vcc, s14, v21
	v_add_u32_e32 v5, -12, v3
	v_addc_co_u32_e32 v22, vcc, v14, v22, vcc
	v_lshlrev_b64 v[27:28], 2, v[5:6]
	global_load_dword v8, v[21:22], off
	v_add_co_u32_e32 v21, vcc, s14, v25
	v_add_u32_e32 v5, 2, v15
	v_addc_co_u32_e32 v22, vcc, v14, v26, vcc
	v_lshlrev_b64 v[25:26], 2, v[5:6]
	global_load_dword v39, v[21:22], off
	v_add_co_u32_e32 v21, vcc, s12, v27
	v_add_u32_e32 v5, -10, v3
	v_addc_co_u32_e32 v22, vcc, v13, v28, vcc
	v_lshlrev_b64 v[27:28], 2, v[5:6]
	v_add_co_u32_e32 v25, vcc, s14, v25
	v_add_u32_e32 v5, 3, v15
	v_addc_co_u32_e32 v26, vcc, v14, v26, vcc
	v_lshlrev_b64 v[29:30], 2, v[5:6]
	global_load_dword v40, v[25:26], off
	v_add_co_u32_e32 v25, vcc, s12, v27
	v_add_u32_e32 v5, -8, v3
	v_addc_co_u32_e32 v26, vcc, v13, v28, vcc
	v_lshlrev_b64 v[27:28], 2, v[5:6]
	v_add_co_u32_e32 v29, vcc, s14, v29
	v_add_u32_e32 v5, 4, v15
	v_addc_co_u32_e32 v30, vcc, v14, v30, vcc
	v_lshlrev_b64 v[31:32], 2, v[5:6]
	v_add_co_u32_e32 v27, vcc, s12, v27
	v_addc_co_u32_e32 v28, vcc, v13, v28, vcc
	v_add_co_u32_e32 v31, vcc, s14, v31
	v_add_u32_e32 v5, -6, v3
	v_addc_co_u32_e32 v32, vcc, v14, v32, vcc
	global_load_dword v41, v[29:30], off
	global_load_dword v42, v[31:32], off
	v_lshlrev_b64 v[29:30], 2, v[5:6]
	v_add_u32_e32 v5, 5, v15
	v_lshlrev_b64 v[33:34], 2, v[5:6]
	v_add_co_u32_e32 v29, vcc, s12, v29
	v_add_u32_e32 v5, -4, v3
	v_addc_co_u32_e32 v30, vcc, v13, v30, vcc
	v_lshlrev_b64 v[31:32], 2, v[5:6]
	v_add_co_u32_e32 v33, vcc, s14, v33
	v_add_u32_e32 v5, 6, v15
	v_addc_co_u32_e32 v34, vcc, v14, v34, vcc
	v_lshlrev_b64 v[35:36], 2, v[5:6]
	v_add_co_u32_e32 v31, vcc, s12, v31
	v_addc_co_u32_e32 v32, vcc, v13, v32, vcc
	v_add_co_u32_e32 v35, vcc, s14, v35
	v_add_u32_e32 v5, -2, v3
	v_addc_co_u32_e32 v36, vcc, v14, v36, vcc
	global_load_dword v43, v[33:34], off
	v_add_u32_e32 v3, 0x240, v3
	global_load_dword v35, v[35:36], off
	v_lshlrev_b64 v[33:34], 2, v[5:6]
	v_add_u32_e32 v5, 7, v15
	global_load_dwordx2 v[21:22], v[21:22], off
	v_lshlrev_b64 v[37:38], 2, v[5:6]
	v_add_u32_e32 v5, 8, v15
	v_add_co_u32_e32 v15, vcc, s12, v33
	global_load_dwordx2 v[25:26], v[25:26], off
	v_addc_co_u32_e32 v16, vcc, v13, v34, vcc
	global_load_dwordx2 v[27:28], v[27:28], off
	v_lshlrev_b64 v[4:5], 2, v[5:6]
	v_add_co_u32_e32 v33, vcc, s14, v37
	global_load_dwordx2 v[29:30], v[29:30], off
	v_addc_co_u32_e32 v34, vcc, v14, v38, vcc
	global_load_dwordx2 v[31:32], v[31:32], off
	v_add_co_u32_e32 v4, vcc, s14, v4
	global_load_dwordx2 v[15:16], v[15:16], off
	v_addc_co_u32_e32 v5, vcc, v14, v5, vcc
	global_load_dword v33, v[33:34], off
	s_waitcnt vmcnt(13)
	v_fmac_f32_e32 v11, v23, v8
	global_load_dword v4, v[4:5], off
	v_fmac_f32_e32 v10, v24, v8
	s_waitcnt vmcnt(13)
	v_fmac_f32_e32 v11, v19, v39
	v_fmac_f32_e32 v10, v20, v39
	v_cmp_ge_i32_e32 vcc, v7, v9
	s_or_b64 s[8:9], vcc, s[8:9]
	s_waitcnt vmcnt(7)
	v_fmac_f32_e32 v11, v21, v40
	v_fmac_f32_e32 v10, v22, v40
	s_waitcnt vmcnt(6)
	v_fmac_f32_e32 v11, v25, v41
	v_fmac_f32_e32 v10, v26, v41
	;; [unrolled: 3-line block ×7, first 2 shown]
	s_andn2_b64 exec, exec, s[8:9]
	s_cbranch_execnz .LBB38_9
; %bb.10:
	s_or_b64 exec, exec, s[8:9]
.LBB38_11:
	s_or_b64 exec, exec, s[6:7]
	s_cbranch_execz .LBB38_13
	s_branch .LBB38_18
.LBB38_12:
                                        ; implicit-def: $vgpr11
                                        ; implicit-def: $vgpr10
.LBB38_13:
	v_mov_b32_e32 v11, 0
	v_mov_b32_e32 v10, 0
	s_and_saveexec_b64 s[6:7], s[0:1]
	s_cbranch_execz .LBB38_17
; %bb.14:
	v_mad_u64_u32 v[4:5], s[0:1], v2, 18, 17
	v_mov_b32_e32 v7, 0
	s_mov_b64 s[0:1], 0
	v_mov_b32_e32 v8, s11
	v_mov_b32_e32 v12, s13
	v_mov_b32_e32 v13, s15
	v_mov_b32_e32 v11, 0
	v_mov_b32_e32 v10, 0
.LBB38_15:                              ; =>This Inner Loop Header: Depth=1
	v_ashrrev_i32_e32 v3, 31, v2
	v_lshlrev_b64 v[17:18], 2, v[2:3]
	v_subrev_u32_e32 v6, 17, v4
	v_lshlrev_b64 v[19:20], 2, v[6:7]
	v_add_co_u32_e32 v17, vcc, s10, v17
	v_add_u32_e32 v14, -8, v4
	v_mov_b32_e32 v15, v7
	v_addc_co_u32_e32 v18, vcc, v8, v18, vcc
	v_lshlrev_b64 v[14:15], 2, v[14:15]
	v_add_co_u32_e32 v19, vcc, s12, v19
	v_mov_b32_e32 v5, v7
	v_addc_co_u32_e32 v20, vcc, v12, v20, vcc
	v_lshlrev_b64 v[5:6], 2, v[4:5]
	v_add_co_u32_e32 v14, vcc, s12, v14
	v_addc_co_u32_e32 v15, vcc, v12, v15, vcc
	v_add_co_u32_e32 v5, vcc, s12, v5
	v_addc_co_u32_e32 v6, vcc, v12, v6, vcc
	global_load_dword v3, v[17:18], off
	global_load_dword v27, v[14:15], off
	;; [unrolled: 1-line block ×3, first 2 shown]
	global_load_dwordx2 v[21:22], v[19:20], off
	v_mov_b32_e32 v16, v7
	v_add_u32_e32 v2, 32, v2
	s_waitcnt vmcnt(3)
	v_subrev_u32_e32 v3, s18, v3
	v_lshl_add_u32 v15, v3, 3, v3
	v_lshlrev_b64 v[16:17], 2, v[15:16]
	v_add_u32_e32 v6, 1, v15
	v_lshlrev_b64 v[18:19], 2, v[6:7]
	v_add_co_u32_e32 v16, vcc, s14, v16
	v_add_u32_e32 v6, -7, v4
	v_addc_co_u32_e32 v17, vcc, v13, v17, vcc
	v_lshlrev_b64 v[23:24], 2, v[6:7]
	v_add_co_u32_e32 v18, vcc, s14, v18
	v_add_u32_e32 v6, -15, v4
	v_addc_co_u32_e32 v19, vcc, v13, v19, vcc
	v_lshlrev_b64 v[25:26], 2, v[6:7]
	v_add_co_u32_e32 v23, vcc, s12, v23
	v_add_u32_e32 v6, 2, v15
	v_addc_co_u32_e32 v24, vcc, v12, v24, vcc
	global_load_dword v3, v[16:17], off
	global_load_dword v20, v[18:19], off
	v_lshlrev_b64 v[16:17], 2, v[6:7]
	v_add_co_u32_e32 v25, vcc, s12, v25
	v_add_u32_e32 v6, -6, v4
	v_addc_co_u32_e32 v26, vcc, v12, v26, vcc
	v_lshlrev_b64 v[18:19], 2, v[6:7]
	v_add_co_u32_e32 v16, vcc, s14, v16
	v_addc_co_u32_e32 v17, vcc, v13, v17, vcc
	v_add_co_u32_e32 v18, vcc, s12, v18
	v_add_u32_e32 v6, -14, v4
	v_addc_co_u32_e32 v19, vcc, v12, v19, vcc
	global_load_dword v29, v[23:24], off
	global_load_dword v30, v[25:26], off
	global_load_dword v32, v[18:19], off
	v_lshlrev_b64 v[23:24], 2, v[6:7]
	v_add_u32_e32 v6, 3, v15
	v_lshlrev_b64 v[25:26], 2, v[6:7]
	global_load_dword v31, v[16:17], off
	v_add_co_u32_e32 v16, vcc, s12, v23
	v_add_u32_e32 v6, -5, v4
	v_addc_co_u32_e32 v17, vcc, v12, v24, vcc
	v_lshlrev_b64 v[23:24], 2, v[6:7]
	global_load_dword v33, v[16:17], off
	v_add_co_u32_e32 v18, vcc, s14, v25
	v_add_u32_e32 v6, -13, v4
	v_addc_co_u32_e32 v19, vcc, v13, v26, vcc
	v_lshlrev_b64 v[25:26], 2, v[6:7]
	v_add_co_u32_e32 v16, vcc, s12, v23
	v_add_u32_e32 v6, 4, v15
	v_addc_co_u32_e32 v17, vcc, v12, v24, vcc
	v_lshlrev_b64 v[23:24], 2, v[6:7]
	global_load_dword v34, v[18:19], off
	v_add_co_u32_e32 v18, vcc, s12, v25
	v_add_u32_e32 v6, -4, v4
	v_addc_co_u32_e32 v19, vcc, v12, v26, vcc
	v_lshlrev_b64 v[25:26], 2, v[6:7]
	global_load_dword v35, v[16:17], off
	v_add_co_u32_e32 v16, vcc, s14, v23
	v_add_u32_e32 v6, -12, v4
	v_addc_co_u32_e32 v17, vcc, v13, v24, vcc
	v_lshlrev_b64 v[23:24], 2, v[6:7]
	global_load_dword v36, v[18:19], off
	v_add_co_u32_e32 v18, vcc, s12, v25
	v_add_u32_e32 v6, 5, v15
	v_addc_co_u32_e32 v19, vcc, v12, v26, vcc
	v_lshlrev_b64 v[25:26], 2, v[6:7]
	global_load_dword v37, v[16:17], off
	v_add_co_u32_e32 v16, vcc, s12, v23
	v_add_u32_e32 v6, -3, v4
	v_addc_co_u32_e32 v17, vcc, v12, v24, vcc
	v_lshlrev_b64 v[23:24], 2, v[6:7]
	global_load_dword v38, v[18:19], off
	global_load_dword v39, v[16:17], off
	v_add_co_u32_e32 v18, vcc, s14, v25
	v_add_u32_e32 v6, -11, v4
	v_addc_co_u32_e32 v19, vcc, v13, v26, vcc
	v_lshlrev_b64 v[25:26], 2, v[6:7]
	v_add_co_u32_e32 v16, vcc, s12, v23
	v_add_u32_e32 v6, 6, v15
	v_addc_co_u32_e32 v17, vcc, v12, v24, vcc
	v_lshlrev_b64 v[23:24], 2, v[6:7]
	global_load_dword v40, v[18:19], off
	v_add_co_u32_e32 v18, vcc, s12, v25
	v_add_u32_e32 v6, -2, v4
	v_addc_co_u32_e32 v19, vcc, v12, v26, vcc
	v_lshlrev_b64 v[25:26], 2, v[6:7]
	global_load_dword v41, v[16:17], off
	v_add_co_u32_e32 v16, vcc, s14, v23
	v_add_u32_e32 v6, -10, v4
	v_addc_co_u32_e32 v17, vcc, v13, v24, vcc
	v_lshlrev_b64 v[23:24], 2, v[6:7]
	global_load_dword v42, v[18:19], off
	v_add_co_u32_e32 v18, vcc, s12, v25
	v_add_u32_e32 v6, 7, v15
	v_addc_co_u32_e32 v19, vcc, v12, v26, vcc
	v_lshlrev_b64 v[25:26], 2, v[6:7]
	global_load_dword v43, v[16:17], off
	v_add_co_u32_e32 v16, vcc, s12, v23
	v_add_u32_e32 v6, -1, v4
	v_addc_co_u32_e32 v17, vcc, v12, v24, vcc
	v_lshlrev_b64 v[23:24], 2, v[6:7]
	v_add_u32_e32 v6, -9, v4
	v_add_co_u32_e32 v14, vcc, s14, v25
	global_load_dword v44, v[18:19], off
	global_load_dword v25, v[16:17], off
	v_lshlrev_b64 v[18:19], 2, v[6:7]
	v_add_u32_e32 v6, 8, v15
	v_addc_co_u32_e32 v15, vcc, v13, v26, vcc
	v_add_co_u32_e32 v16, vcc, s12, v23
	v_addc_co_u32_e32 v17, vcc, v12, v24, vcc
	v_lshlrev_b64 v[5:6], 2, v[6:7]
	global_load_dword v23, v[14:15], off
	v_add_co_u32_e32 v14, vcc, s12, v18
	v_addc_co_u32_e32 v15, vcc, v12, v19, vcc
	global_load_dword v16, v[16:17], off
	v_add_co_u32_e32 v5, vcc, s14, v5
	v_addc_co_u32_e32 v6, vcc, v13, v6, vcc
	global_load_dword v17, v[14:15], off
	global_load_dword v18, v[5:6], off
	s_waitcnt vmcnt(22)
	v_fmac_f32_e32 v10, v27, v3
	v_fmac_f32_e32 v11, v21, v3
	s_waitcnt vmcnt(21)
	v_fmac_f32_e32 v11, v22, v20
	s_waitcnt vmcnt(20)
	;; [unrolled: 2-line block ×3, first 2 shown]
	v_fmac_f32_e32 v11, v30, v31
	v_fmac_f32_e32 v10, v32, v31
	s_waitcnt vmcnt(15)
	v_fmac_f32_e32 v11, v33, v34
	s_waitcnt vmcnt(14)
	;; [unrolled: 2-line block ×3, first 2 shown]
	v_fmac_f32_e32 v11, v36, v37
	v_cmp_ge_i32_e32 vcc, v2, v9
	s_or_b64 s[0:1], vcc, s[0:1]
	v_add_u32_e32 v4, 0x240, v4
	s_waitcnt vmcnt(11)
	v_fmac_f32_e32 v10, v38, v37
	s_waitcnt vmcnt(9)
	v_fmac_f32_e32 v11, v39, v40
	;; [unrolled: 2-line block ×8, first 2 shown]
	v_fmac_f32_e32 v10, v28, v18
	s_andn2_b64 exec, exec, s[0:1]
	s_cbranch_execnz .LBB38_15
; %bb.16:
	s_or_b64 exec, exec, s[0:1]
.LBB38_17:
	s_or_b64 exec, exec, s[6:7]
.LBB38_18:
	v_mov_b32_dpp v2, v11 row_shr:1 row_mask:0xf bank_mask:0xf
	v_mov_b32_dpp v4, v10 row_shr:1 row_mask:0xf bank_mask:0xf
	v_add_f32_e32 v2, v11, v2
	v_add_f32_e32 v4, v10, v4
	v_cmp_eq_u32_e32 vcc, 31, v0
	v_mov_b32_dpp v3, v2 row_shr:2 row_mask:0xf bank_mask:0xf
	v_mov_b32_dpp v5, v4 row_shr:2 row_mask:0xf bank_mask:0xf
	v_add_f32_e32 v2, v2, v3
	v_add_f32_e32 v4, v4, v5
	s_nop 0
	v_mov_b32_dpp v3, v2 row_shr:4 row_mask:0xf bank_mask:0xe
	v_mov_b32_dpp v5, v4 row_shr:4 row_mask:0xf bank_mask:0xe
	v_add_f32_e32 v2, v2, v3
	v_add_f32_e32 v4, v4, v5
	s_nop 0
	;; [unrolled: 5-line block ×3, first 2 shown]
	v_mov_b32_dpp v3, v2 row_bcast:15 row_mask:0xa bank_mask:0xf
	v_mov_b32_dpp v5, v4 row_bcast:15 row_mask:0xa bank_mask:0xf
	s_and_b64 exec, exec, vcc
	s_cbranch_execz .LBB38_22
; %bb.19:
	s_load_dwordx2 s[0:1], s[4:5], 0x38
	v_add_f32_e32 v0, v2, v3
	v_add_f32_e32 v3, v4, v5
	v_cmp_eq_f32_e64 s[4:5], s2, 0
	s_and_b64 vcc, exec, s[4:5]
	v_mul_f32_e32 v2, s16, v0
	v_mul_f32_e32 v3, s16, v3
	v_lshlrev_b32_e32 v0, 1, v1
	s_cbranch_vccz .LBB38_23
; %bb.20:
	v_ashrrev_i32_e32 v1, 31, v0
	v_lshlrev_b64 v[4:5], 2, v[0:1]
	s_waitcnt lgkmcnt(0)
	v_mov_b32_e32 v1, s1
	v_add_co_u32_e32 v4, vcc, s0, v4
	v_addc_co_u32_e32 v5, vcc, v1, v5, vcc
	global_store_dwordx2 v[4:5], v[2:3], off
	s_cbranch_execnz .LBB38_22
.LBB38_21:
	v_ashrrev_i32_e32 v1, 31, v0
	v_lshlrev_b64 v[0:1], 2, v[0:1]
	s_waitcnt lgkmcnt(0)
	v_mov_b32_e32 v4, s1
	v_add_co_u32_e32 v0, vcc, s0, v0
	v_addc_co_u32_e32 v1, vcc, v4, v1, vcc
	global_load_dwordx2 v[4:5], v[0:1], off
	s_waitcnt vmcnt(0)
	v_fmac_f32_e32 v2, s2, v4
	v_fmac_f32_e32 v3, s2, v5
	global_store_dwordx2 v[0:1], v[2:3], off
.LBB38_22:
	s_endpgm
.LBB38_23:
	s_branch .LBB38_21
	.section	.rodata,"a",@progbits
	.p2align	6, 0x0
	.amdhsa_kernel _ZN9rocsparseL19gebsrmvn_2xn_kernelILj128ELj9ELj32EfEEvi20rocsparse_direction_NS_24const_host_device_scalarIT2_EEPKiS6_PKS3_S8_S4_PS3_21rocsparse_index_base_b
		.amdhsa_group_segment_fixed_size 0
		.amdhsa_private_segment_fixed_size 0
		.amdhsa_kernarg_size 72
		.amdhsa_user_sgpr_count 6
		.amdhsa_user_sgpr_private_segment_buffer 1
		.amdhsa_user_sgpr_dispatch_ptr 0
		.amdhsa_user_sgpr_queue_ptr 0
		.amdhsa_user_sgpr_kernarg_segment_ptr 1
		.amdhsa_user_sgpr_dispatch_id 0
		.amdhsa_user_sgpr_flat_scratch_init 0
		.amdhsa_user_sgpr_private_segment_size 0
		.amdhsa_uses_dynamic_stack 0
		.amdhsa_system_sgpr_private_segment_wavefront_offset 0
		.amdhsa_system_sgpr_workgroup_id_x 1
		.amdhsa_system_sgpr_workgroup_id_y 0
		.amdhsa_system_sgpr_workgroup_id_z 0
		.amdhsa_system_sgpr_workgroup_info 0
		.amdhsa_system_vgpr_workitem_id 0
		.amdhsa_next_free_vgpr 45
		.amdhsa_next_free_sgpr 20
		.amdhsa_reserve_vcc 1
		.amdhsa_reserve_flat_scratch 0
		.amdhsa_float_round_mode_32 0
		.amdhsa_float_round_mode_16_64 0
		.amdhsa_float_denorm_mode_32 3
		.amdhsa_float_denorm_mode_16_64 3
		.amdhsa_dx10_clamp 1
		.amdhsa_ieee_mode 1
		.amdhsa_fp16_overflow 0
		.amdhsa_exception_fp_ieee_invalid_op 0
		.amdhsa_exception_fp_denorm_src 0
		.amdhsa_exception_fp_ieee_div_zero 0
		.amdhsa_exception_fp_ieee_overflow 0
		.amdhsa_exception_fp_ieee_underflow 0
		.amdhsa_exception_fp_ieee_inexact 0
		.amdhsa_exception_int_div_zero 0
	.end_amdhsa_kernel
	.section	.text._ZN9rocsparseL19gebsrmvn_2xn_kernelILj128ELj9ELj32EfEEvi20rocsparse_direction_NS_24const_host_device_scalarIT2_EEPKiS6_PKS3_S8_S4_PS3_21rocsparse_index_base_b,"axG",@progbits,_ZN9rocsparseL19gebsrmvn_2xn_kernelILj128ELj9ELj32EfEEvi20rocsparse_direction_NS_24const_host_device_scalarIT2_EEPKiS6_PKS3_S8_S4_PS3_21rocsparse_index_base_b,comdat
.Lfunc_end38:
	.size	_ZN9rocsparseL19gebsrmvn_2xn_kernelILj128ELj9ELj32EfEEvi20rocsparse_direction_NS_24const_host_device_scalarIT2_EEPKiS6_PKS3_S8_S4_PS3_21rocsparse_index_base_b, .Lfunc_end38-_ZN9rocsparseL19gebsrmvn_2xn_kernelILj128ELj9ELj32EfEEvi20rocsparse_direction_NS_24const_host_device_scalarIT2_EEPKiS6_PKS3_S8_S4_PS3_21rocsparse_index_base_b
                                        ; -- End function
	.set _ZN9rocsparseL19gebsrmvn_2xn_kernelILj128ELj9ELj32EfEEvi20rocsparse_direction_NS_24const_host_device_scalarIT2_EEPKiS6_PKS3_S8_S4_PS3_21rocsparse_index_base_b.num_vgpr, 45
	.set _ZN9rocsparseL19gebsrmvn_2xn_kernelILj128ELj9ELj32EfEEvi20rocsparse_direction_NS_24const_host_device_scalarIT2_EEPKiS6_PKS3_S8_S4_PS3_21rocsparse_index_base_b.num_agpr, 0
	.set _ZN9rocsparseL19gebsrmvn_2xn_kernelILj128ELj9ELj32EfEEvi20rocsparse_direction_NS_24const_host_device_scalarIT2_EEPKiS6_PKS3_S8_S4_PS3_21rocsparse_index_base_b.numbered_sgpr, 20
	.set _ZN9rocsparseL19gebsrmvn_2xn_kernelILj128ELj9ELj32EfEEvi20rocsparse_direction_NS_24const_host_device_scalarIT2_EEPKiS6_PKS3_S8_S4_PS3_21rocsparse_index_base_b.num_named_barrier, 0
	.set _ZN9rocsparseL19gebsrmvn_2xn_kernelILj128ELj9ELj32EfEEvi20rocsparse_direction_NS_24const_host_device_scalarIT2_EEPKiS6_PKS3_S8_S4_PS3_21rocsparse_index_base_b.private_seg_size, 0
	.set _ZN9rocsparseL19gebsrmvn_2xn_kernelILj128ELj9ELj32EfEEvi20rocsparse_direction_NS_24const_host_device_scalarIT2_EEPKiS6_PKS3_S8_S4_PS3_21rocsparse_index_base_b.uses_vcc, 1
	.set _ZN9rocsparseL19gebsrmvn_2xn_kernelILj128ELj9ELj32EfEEvi20rocsparse_direction_NS_24const_host_device_scalarIT2_EEPKiS6_PKS3_S8_S4_PS3_21rocsparse_index_base_b.uses_flat_scratch, 0
	.set _ZN9rocsparseL19gebsrmvn_2xn_kernelILj128ELj9ELj32EfEEvi20rocsparse_direction_NS_24const_host_device_scalarIT2_EEPKiS6_PKS3_S8_S4_PS3_21rocsparse_index_base_b.has_dyn_sized_stack, 0
	.set _ZN9rocsparseL19gebsrmvn_2xn_kernelILj128ELj9ELj32EfEEvi20rocsparse_direction_NS_24const_host_device_scalarIT2_EEPKiS6_PKS3_S8_S4_PS3_21rocsparse_index_base_b.has_recursion, 0
	.set _ZN9rocsparseL19gebsrmvn_2xn_kernelILj128ELj9ELj32EfEEvi20rocsparse_direction_NS_24const_host_device_scalarIT2_EEPKiS6_PKS3_S8_S4_PS3_21rocsparse_index_base_b.has_indirect_call, 0
	.section	.AMDGPU.csdata,"",@progbits
; Kernel info:
; codeLenInByte = 2256
; TotalNumSgprs: 24
; NumVgprs: 45
; ScratchSize: 0
; MemoryBound: 0
; FloatMode: 240
; IeeeMode: 1
; LDSByteSize: 0 bytes/workgroup (compile time only)
; SGPRBlocks: 2
; VGPRBlocks: 11
; NumSGPRsForWavesPerEU: 24
; NumVGPRsForWavesPerEU: 45
; Occupancy: 5
; WaveLimiterHint : 1
; COMPUTE_PGM_RSRC2:SCRATCH_EN: 0
; COMPUTE_PGM_RSRC2:USER_SGPR: 6
; COMPUTE_PGM_RSRC2:TRAP_HANDLER: 0
; COMPUTE_PGM_RSRC2:TGID_X_EN: 1
; COMPUTE_PGM_RSRC2:TGID_Y_EN: 0
; COMPUTE_PGM_RSRC2:TGID_Z_EN: 0
; COMPUTE_PGM_RSRC2:TIDIG_COMP_CNT: 0
	.section	.text._ZN9rocsparseL19gebsrmvn_2xn_kernelILj128ELj9ELj64EfEEvi20rocsparse_direction_NS_24const_host_device_scalarIT2_EEPKiS6_PKS3_S8_S4_PS3_21rocsparse_index_base_b,"axG",@progbits,_ZN9rocsparseL19gebsrmvn_2xn_kernelILj128ELj9ELj64EfEEvi20rocsparse_direction_NS_24const_host_device_scalarIT2_EEPKiS6_PKS3_S8_S4_PS3_21rocsparse_index_base_b,comdat
	.globl	_ZN9rocsparseL19gebsrmvn_2xn_kernelILj128ELj9ELj64EfEEvi20rocsparse_direction_NS_24const_host_device_scalarIT2_EEPKiS6_PKS3_S8_S4_PS3_21rocsparse_index_base_b ; -- Begin function _ZN9rocsparseL19gebsrmvn_2xn_kernelILj128ELj9ELj64EfEEvi20rocsparse_direction_NS_24const_host_device_scalarIT2_EEPKiS6_PKS3_S8_S4_PS3_21rocsparse_index_base_b
	.p2align	8
	.type	_ZN9rocsparseL19gebsrmvn_2xn_kernelILj128ELj9ELj64EfEEvi20rocsparse_direction_NS_24const_host_device_scalarIT2_EEPKiS6_PKS3_S8_S4_PS3_21rocsparse_index_base_b,@function
_ZN9rocsparseL19gebsrmvn_2xn_kernelILj128ELj9ELj64EfEEvi20rocsparse_direction_NS_24const_host_device_scalarIT2_EEPKiS6_PKS3_S8_S4_PS3_21rocsparse_index_base_b: ; @_ZN9rocsparseL19gebsrmvn_2xn_kernelILj128ELj9ELj64EfEEvi20rocsparse_direction_NS_24const_host_device_scalarIT2_EEPKiS6_PKS3_S8_S4_PS3_21rocsparse_index_base_b
; %bb.0:
	s_load_dwordx2 s[18:19], s[4:5], 0x40
	s_load_dwordx2 s[16:17], s[4:5], 0x8
	;; [unrolled: 1-line block ×3, first 2 shown]
	s_waitcnt lgkmcnt(0)
	s_bitcmp1_b32 s19, 0
	s_cselect_b64 s[8:9], -1, 0
	s_xor_b64 s[0:1], s[8:9], -1
	s_and_b64 vcc, exec, s[8:9]
	s_cbranch_vccnz .LBB39_2
; %bb.1:
	s_load_dword s16, s[16:17], 0x0
.LBB39_2:
	s_andn2_b64 vcc, exec, s[0:1]
	s_cbranch_vccnz .LBB39_4
; %bb.3:
	s_load_dword s2, s[2:3], 0x0
.LBB39_4:
	s_waitcnt lgkmcnt(0)
	v_cmp_eq_f32_e64 s[0:1], s16, 0
	v_cmp_eq_f32_e64 s[8:9], s2, 1.0
	s_and_b64 s[0:1], s[0:1], s[8:9]
	s_and_b64 vcc, exec, s[0:1]
	s_cbranch_vccnz .LBB39_22
; %bb.5:
	s_load_dwordx2 s[0:1], s[4:5], 0x0
	v_lshrrev_b32_e32 v1, 6, v0
	v_lshl_or_b32 v1, s6, 1, v1
	s_waitcnt lgkmcnt(0)
	v_cmp_gt_i32_e32 vcc, s0, v1
	s_and_saveexec_b64 s[6:7], vcc
	s_cbranch_execz .LBB39_22
; %bb.6:
	s_load_dwordx8 s[8:15], s[4:5], 0x10
	v_ashrrev_i32_e32 v2, 31, v1
	v_lshlrev_b64 v[2:3], 2, v[1:2]
	v_and_b32_e32 v0, 63, v0
	s_cmp_lg_u32 s1, 0
	s_waitcnt lgkmcnt(0)
	v_mov_b32_e32 v4, s9
	v_add_co_u32_e32 v2, vcc, s8, v2
	v_addc_co_u32_e32 v3, vcc, v4, v3, vcc
	global_load_dwordx2 v[2:3], v[2:3], off
	s_waitcnt vmcnt(0)
	v_subrev_u32_e32 v2, s18, v2
	v_subrev_u32_e32 v9, s18, v3
	v_add_u32_e32 v2, v2, v0
	v_cmp_lt_i32_e64 s[0:1], v2, v9
	s_cbranch_scc0 .LBB39_12
; %bb.7:
	v_mov_b32_e32 v11, 0
	v_mov_b32_e32 v10, 0
	s_and_saveexec_b64 s[6:7], s[0:1]
	s_cbranch_execz .LBB39_11
; %bb.8:
	v_mad_u64_u32 v[3:4], s[8:9], v2, 18, 16
	v_mov_b32_e32 v6, 0
	s_mov_b64 s[8:9], 0
	v_mov_b32_e32 v12, s11
	v_mov_b32_e32 v13, s13
	v_mov_b32_e32 v14, s15
	v_mov_b32_e32 v7, v2
	v_mov_b32_e32 v11, 0
	v_mov_b32_e32 v10, 0
.LBB39_9:                               ; =>This Inner Loop Header: Depth=1
	v_ashrrev_i32_e32 v8, 31, v7
	v_lshlrev_b64 v[17:18], 2, v[7:8]
	v_add_u32_e32 v5, -16, v3
	v_lshlrev_b64 v[19:20], 2, v[5:6]
	v_add_co_u32_e32 v17, vcc, s10, v17
	v_addc_co_u32_e32 v18, vcc, v12, v18, vcc
	v_add_co_u32_e32 v19, vcc, s12, v19
	v_addc_co_u32_e32 v20, vcc, v13, v20, vcc
	global_load_dword v8, v[17:18], off
	global_load_dwordx2 v[23:24], v[19:20], off
	v_mov_b32_e32 v4, v6
	v_lshlrev_b64 v[21:22], 2, v[3:4]
	v_add_u32_e32 v5, -14, v3
	v_lshlrev_b64 v[4:5], 2, v[5:6]
	v_add_co_u32_e32 v21, vcc, s12, v21
	v_addc_co_u32_e32 v22, vcc, v13, v22, vcc
	v_add_co_u32_e32 v4, vcc, s12, v4
	v_addc_co_u32_e32 v5, vcc, v13, v5, vcc
	global_load_dwordx2 v[17:18], v[21:22], off
	global_load_dwordx2 v[19:20], v[4:5], off
	v_mov_b32_e32 v16, v6
	v_add_u32_e32 v7, 64, v7
	s_waitcnt vmcnt(3)
	v_subrev_u32_e32 v4, s18, v8
	v_lshl_add_u32 v15, v4, 3, v4
	v_lshlrev_b64 v[21:22], 2, v[15:16]
	v_add_u32_e32 v5, 1, v15
	v_lshlrev_b64 v[25:26], 2, v[5:6]
	v_add_co_u32_e32 v21, vcc, s14, v21
	v_add_u32_e32 v5, -12, v3
	v_addc_co_u32_e32 v22, vcc, v14, v22, vcc
	v_lshlrev_b64 v[27:28], 2, v[5:6]
	global_load_dword v8, v[21:22], off
	v_add_co_u32_e32 v21, vcc, s14, v25
	v_add_u32_e32 v5, 2, v15
	v_addc_co_u32_e32 v22, vcc, v14, v26, vcc
	v_lshlrev_b64 v[25:26], 2, v[5:6]
	global_load_dword v39, v[21:22], off
	v_add_co_u32_e32 v21, vcc, s12, v27
	v_add_u32_e32 v5, -10, v3
	v_addc_co_u32_e32 v22, vcc, v13, v28, vcc
	v_lshlrev_b64 v[27:28], 2, v[5:6]
	v_add_co_u32_e32 v25, vcc, s14, v25
	v_add_u32_e32 v5, 3, v15
	v_addc_co_u32_e32 v26, vcc, v14, v26, vcc
	v_lshlrev_b64 v[29:30], 2, v[5:6]
	global_load_dword v40, v[25:26], off
	v_add_co_u32_e32 v25, vcc, s12, v27
	v_add_u32_e32 v5, -8, v3
	v_addc_co_u32_e32 v26, vcc, v13, v28, vcc
	v_lshlrev_b64 v[27:28], 2, v[5:6]
	v_add_co_u32_e32 v29, vcc, s14, v29
	v_add_u32_e32 v5, 4, v15
	v_addc_co_u32_e32 v30, vcc, v14, v30, vcc
	v_lshlrev_b64 v[31:32], 2, v[5:6]
	v_add_co_u32_e32 v27, vcc, s12, v27
	v_addc_co_u32_e32 v28, vcc, v13, v28, vcc
	v_add_co_u32_e32 v31, vcc, s14, v31
	v_add_u32_e32 v5, -6, v3
	v_addc_co_u32_e32 v32, vcc, v14, v32, vcc
	global_load_dword v41, v[29:30], off
	global_load_dword v42, v[31:32], off
	v_lshlrev_b64 v[29:30], 2, v[5:6]
	v_add_u32_e32 v5, 5, v15
	v_lshlrev_b64 v[33:34], 2, v[5:6]
	v_add_co_u32_e32 v29, vcc, s12, v29
	v_add_u32_e32 v5, -4, v3
	v_addc_co_u32_e32 v30, vcc, v13, v30, vcc
	v_lshlrev_b64 v[31:32], 2, v[5:6]
	v_add_co_u32_e32 v33, vcc, s14, v33
	v_add_u32_e32 v5, 6, v15
	v_addc_co_u32_e32 v34, vcc, v14, v34, vcc
	v_lshlrev_b64 v[35:36], 2, v[5:6]
	v_add_co_u32_e32 v31, vcc, s12, v31
	v_addc_co_u32_e32 v32, vcc, v13, v32, vcc
	v_add_co_u32_e32 v35, vcc, s14, v35
	v_add_u32_e32 v5, -2, v3
	v_addc_co_u32_e32 v36, vcc, v14, v36, vcc
	global_load_dword v43, v[33:34], off
	v_add_u32_e32 v3, 0x480, v3
	global_load_dword v35, v[35:36], off
	v_lshlrev_b64 v[33:34], 2, v[5:6]
	v_add_u32_e32 v5, 7, v15
	global_load_dwordx2 v[21:22], v[21:22], off
	v_lshlrev_b64 v[37:38], 2, v[5:6]
	v_add_u32_e32 v5, 8, v15
	v_add_co_u32_e32 v15, vcc, s12, v33
	global_load_dwordx2 v[25:26], v[25:26], off
	v_addc_co_u32_e32 v16, vcc, v13, v34, vcc
	global_load_dwordx2 v[27:28], v[27:28], off
	v_lshlrev_b64 v[4:5], 2, v[5:6]
	v_add_co_u32_e32 v33, vcc, s14, v37
	global_load_dwordx2 v[29:30], v[29:30], off
	v_addc_co_u32_e32 v34, vcc, v14, v38, vcc
	global_load_dwordx2 v[31:32], v[31:32], off
	v_add_co_u32_e32 v4, vcc, s14, v4
	global_load_dwordx2 v[15:16], v[15:16], off
	v_addc_co_u32_e32 v5, vcc, v14, v5, vcc
	global_load_dword v33, v[33:34], off
	s_waitcnt vmcnt(13)
	v_fmac_f32_e32 v11, v23, v8
	global_load_dword v4, v[4:5], off
	v_fmac_f32_e32 v10, v24, v8
	s_waitcnt vmcnt(13)
	v_fmac_f32_e32 v11, v19, v39
	v_fmac_f32_e32 v10, v20, v39
	v_cmp_ge_i32_e32 vcc, v7, v9
	s_or_b64 s[8:9], vcc, s[8:9]
	s_waitcnt vmcnt(7)
	v_fmac_f32_e32 v11, v21, v40
	v_fmac_f32_e32 v10, v22, v40
	s_waitcnt vmcnt(6)
	v_fmac_f32_e32 v11, v25, v41
	v_fmac_f32_e32 v10, v26, v41
	;; [unrolled: 3-line block ×7, first 2 shown]
	s_andn2_b64 exec, exec, s[8:9]
	s_cbranch_execnz .LBB39_9
; %bb.10:
	s_or_b64 exec, exec, s[8:9]
.LBB39_11:
	s_or_b64 exec, exec, s[6:7]
	s_cbranch_execz .LBB39_13
	s_branch .LBB39_18
.LBB39_12:
                                        ; implicit-def: $vgpr11
                                        ; implicit-def: $vgpr10
.LBB39_13:
	v_mov_b32_e32 v11, 0
	v_mov_b32_e32 v10, 0
	s_and_saveexec_b64 s[6:7], s[0:1]
	s_cbranch_execz .LBB39_17
; %bb.14:
	v_mad_u64_u32 v[4:5], s[0:1], v2, 18, 17
	v_mov_b32_e32 v7, 0
	s_mov_b64 s[0:1], 0
	v_mov_b32_e32 v8, s11
	v_mov_b32_e32 v12, s13
	;; [unrolled: 1-line block ×5, first 2 shown]
.LBB39_15:                              ; =>This Inner Loop Header: Depth=1
	v_ashrrev_i32_e32 v3, 31, v2
	v_lshlrev_b64 v[17:18], 2, v[2:3]
	v_subrev_u32_e32 v6, 17, v4
	v_lshlrev_b64 v[19:20], 2, v[6:7]
	v_add_co_u32_e32 v17, vcc, s10, v17
	v_add_u32_e32 v14, -8, v4
	v_mov_b32_e32 v15, v7
	v_addc_co_u32_e32 v18, vcc, v8, v18, vcc
	v_lshlrev_b64 v[14:15], 2, v[14:15]
	v_add_co_u32_e32 v19, vcc, s12, v19
	v_mov_b32_e32 v5, v7
	v_addc_co_u32_e32 v20, vcc, v12, v20, vcc
	v_lshlrev_b64 v[5:6], 2, v[4:5]
	v_add_co_u32_e32 v14, vcc, s12, v14
	v_addc_co_u32_e32 v15, vcc, v12, v15, vcc
	v_add_co_u32_e32 v5, vcc, s12, v5
	v_addc_co_u32_e32 v6, vcc, v12, v6, vcc
	global_load_dword v3, v[17:18], off
	global_load_dword v27, v[14:15], off
	global_load_dword v28, v[5:6], off
	global_load_dwordx2 v[21:22], v[19:20], off
	v_mov_b32_e32 v16, v7
	v_add_u32_e32 v2, 64, v2
	s_waitcnt vmcnt(3)
	v_subrev_u32_e32 v3, s18, v3
	v_lshl_add_u32 v15, v3, 3, v3
	v_lshlrev_b64 v[16:17], 2, v[15:16]
	v_add_u32_e32 v6, 1, v15
	v_lshlrev_b64 v[18:19], 2, v[6:7]
	v_add_co_u32_e32 v16, vcc, s14, v16
	v_add_u32_e32 v6, -7, v4
	v_addc_co_u32_e32 v17, vcc, v13, v17, vcc
	v_lshlrev_b64 v[23:24], 2, v[6:7]
	v_add_co_u32_e32 v18, vcc, s14, v18
	v_add_u32_e32 v6, -15, v4
	v_addc_co_u32_e32 v19, vcc, v13, v19, vcc
	v_lshlrev_b64 v[25:26], 2, v[6:7]
	v_add_co_u32_e32 v23, vcc, s12, v23
	v_add_u32_e32 v6, 2, v15
	v_addc_co_u32_e32 v24, vcc, v12, v24, vcc
	global_load_dword v3, v[16:17], off
	global_load_dword v20, v[18:19], off
	v_lshlrev_b64 v[16:17], 2, v[6:7]
	v_add_co_u32_e32 v25, vcc, s12, v25
	v_add_u32_e32 v6, -6, v4
	v_addc_co_u32_e32 v26, vcc, v12, v26, vcc
	v_lshlrev_b64 v[18:19], 2, v[6:7]
	v_add_co_u32_e32 v16, vcc, s14, v16
	v_addc_co_u32_e32 v17, vcc, v13, v17, vcc
	v_add_co_u32_e32 v18, vcc, s12, v18
	v_add_u32_e32 v6, -14, v4
	v_addc_co_u32_e32 v19, vcc, v12, v19, vcc
	global_load_dword v29, v[23:24], off
	global_load_dword v30, v[25:26], off
	;; [unrolled: 1-line block ×3, first 2 shown]
	v_lshlrev_b64 v[23:24], 2, v[6:7]
	v_add_u32_e32 v6, 3, v15
	v_lshlrev_b64 v[25:26], 2, v[6:7]
	global_load_dword v31, v[16:17], off
	v_add_co_u32_e32 v16, vcc, s12, v23
	v_add_u32_e32 v6, -5, v4
	v_addc_co_u32_e32 v17, vcc, v12, v24, vcc
	v_lshlrev_b64 v[23:24], 2, v[6:7]
	global_load_dword v33, v[16:17], off
	v_add_co_u32_e32 v18, vcc, s14, v25
	v_add_u32_e32 v6, -13, v4
	v_addc_co_u32_e32 v19, vcc, v13, v26, vcc
	v_lshlrev_b64 v[25:26], 2, v[6:7]
	v_add_co_u32_e32 v16, vcc, s12, v23
	v_add_u32_e32 v6, 4, v15
	v_addc_co_u32_e32 v17, vcc, v12, v24, vcc
	v_lshlrev_b64 v[23:24], 2, v[6:7]
	global_load_dword v34, v[18:19], off
	v_add_co_u32_e32 v18, vcc, s12, v25
	v_add_u32_e32 v6, -4, v4
	v_addc_co_u32_e32 v19, vcc, v12, v26, vcc
	v_lshlrev_b64 v[25:26], 2, v[6:7]
	global_load_dword v35, v[16:17], off
	v_add_co_u32_e32 v16, vcc, s14, v23
	v_add_u32_e32 v6, -12, v4
	v_addc_co_u32_e32 v17, vcc, v13, v24, vcc
	v_lshlrev_b64 v[23:24], 2, v[6:7]
	global_load_dword v36, v[18:19], off
	v_add_co_u32_e32 v18, vcc, s12, v25
	v_add_u32_e32 v6, 5, v15
	v_addc_co_u32_e32 v19, vcc, v12, v26, vcc
	v_lshlrev_b64 v[25:26], 2, v[6:7]
	global_load_dword v37, v[16:17], off
	v_add_co_u32_e32 v16, vcc, s12, v23
	v_add_u32_e32 v6, -3, v4
	v_addc_co_u32_e32 v17, vcc, v12, v24, vcc
	v_lshlrev_b64 v[23:24], 2, v[6:7]
	global_load_dword v38, v[18:19], off
	global_load_dword v39, v[16:17], off
	v_add_co_u32_e32 v18, vcc, s14, v25
	v_add_u32_e32 v6, -11, v4
	v_addc_co_u32_e32 v19, vcc, v13, v26, vcc
	v_lshlrev_b64 v[25:26], 2, v[6:7]
	v_add_co_u32_e32 v16, vcc, s12, v23
	v_add_u32_e32 v6, 6, v15
	v_addc_co_u32_e32 v17, vcc, v12, v24, vcc
	v_lshlrev_b64 v[23:24], 2, v[6:7]
	global_load_dword v40, v[18:19], off
	v_add_co_u32_e32 v18, vcc, s12, v25
	v_add_u32_e32 v6, -2, v4
	v_addc_co_u32_e32 v19, vcc, v12, v26, vcc
	v_lshlrev_b64 v[25:26], 2, v[6:7]
	global_load_dword v41, v[16:17], off
	v_add_co_u32_e32 v16, vcc, s14, v23
	v_add_u32_e32 v6, -10, v4
	v_addc_co_u32_e32 v17, vcc, v13, v24, vcc
	v_lshlrev_b64 v[23:24], 2, v[6:7]
	global_load_dword v42, v[18:19], off
	v_add_co_u32_e32 v18, vcc, s12, v25
	v_add_u32_e32 v6, 7, v15
	v_addc_co_u32_e32 v19, vcc, v12, v26, vcc
	v_lshlrev_b64 v[25:26], 2, v[6:7]
	global_load_dword v43, v[16:17], off
	v_add_co_u32_e32 v16, vcc, s12, v23
	v_add_u32_e32 v6, -1, v4
	v_addc_co_u32_e32 v17, vcc, v12, v24, vcc
	v_lshlrev_b64 v[23:24], 2, v[6:7]
	v_add_u32_e32 v6, -9, v4
	v_add_co_u32_e32 v14, vcc, s14, v25
	global_load_dword v44, v[18:19], off
	global_load_dword v25, v[16:17], off
	v_lshlrev_b64 v[18:19], 2, v[6:7]
	v_add_u32_e32 v6, 8, v15
	v_addc_co_u32_e32 v15, vcc, v13, v26, vcc
	v_add_co_u32_e32 v16, vcc, s12, v23
	v_addc_co_u32_e32 v17, vcc, v12, v24, vcc
	v_lshlrev_b64 v[5:6], 2, v[6:7]
	global_load_dword v23, v[14:15], off
	v_add_co_u32_e32 v14, vcc, s12, v18
	v_addc_co_u32_e32 v15, vcc, v12, v19, vcc
	global_load_dword v16, v[16:17], off
	v_add_co_u32_e32 v5, vcc, s14, v5
	v_addc_co_u32_e32 v6, vcc, v13, v6, vcc
	global_load_dword v17, v[14:15], off
	global_load_dword v18, v[5:6], off
	s_waitcnt vmcnt(22)
	v_fmac_f32_e32 v10, v27, v3
	v_fmac_f32_e32 v11, v21, v3
	s_waitcnt vmcnt(21)
	v_fmac_f32_e32 v11, v22, v20
	s_waitcnt vmcnt(20)
	;; [unrolled: 2-line block ×3, first 2 shown]
	v_fmac_f32_e32 v11, v30, v31
	v_fmac_f32_e32 v10, v32, v31
	s_waitcnt vmcnt(15)
	v_fmac_f32_e32 v11, v33, v34
	s_waitcnt vmcnt(14)
	;; [unrolled: 2-line block ×3, first 2 shown]
	v_fmac_f32_e32 v11, v36, v37
	v_cmp_ge_i32_e32 vcc, v2, v9
	s_or_b64 s[0:1], vcc, s[0:1]
	v_add_u32_e32 v4, 0x480, v4
	s_waitcnt vmcnt(11)
	v_fmac_f32_e32 v10, v38, v37
	s_waitcnt vmcnt(9)
	v_fmac_f32_e32 v11, v39, v40
	;; [unrolled: 2-line block ×8, first 2 shown]
	v_fmac_f32_e32 v10, v28, v18
	s_andn2_b64 exec, exec, s[0:1]
	s_cbranch_execnz .LBB39_15
; %bb.16:
	s_or_b64 exec, exec, s[0:1]
.LBB39_17:
	s_or_b64 exec, exec, s[6:7]
.LBB39_18:
	v_mov_b32_dpp v2, v11 row_shr:1 row_mask:0xf bank_mask:0xf
	v_mov_b32_dpp v4, v10 row_shr:1 row_mask:0xf bank_mask:0xf
	v_add_f32_e32 v2, v11, v2
	v_add_f32_e32 v4, v10, v4
	v_cmp_eq_u32_e32 vcc, 63, v0
	v_mov_b32_dpp v3, v2 row_shr:2 row_mask:0xf bank_mask:0xf
	v_mov_b32_dpp v5, v4 row_shr:2 row_mask:0xf bank_mask:0xf
	v_add_f32_e32 v2, v2, v3
	v_add_f32_e32 v4, v4, v5
	s_nop 0
	v_mov_b32_dpp v3, v2 row_shr:4 row_mask:0xf bank_mask:0xe
	v_mov_b32_dpp v5, v4 row_shr:4 row_mask:0xf bank_mask:0xe
	v_add_f32_e32 v2, v2, v3
	v_add_f32_e32 v4, v4, v5
	s_nop 0
	;; [unrolled: 5-line block ×3, first 2 shown]
	v_mov_b32_dpp v3, v2 row_bcast:15 row_mask:0xa bank_mask:0xf
	v_mov_b32_dpp v5, v4 row_bcast:15 row_mask:0xa bank_mask:0xf
	v_add_f32_e32 v2, v2, v3
	v_add_f32_e32 v4, v4, v5
	s_nop 0
	v_mov_b32_dpp v3, v2 row_bcast:31 row_mask:0xc bank_mask:0xf
	v_mov_b32_dpp v5, v4 row_bcast:31 row_mask:0xc bank_mask:0xf
	s_and_b64 exec, exec, vcc
	s_cbranch_execz .LBB39_22
; %bb.19:
	s_load_dwordx2 s[0:1], s[4:5], 0x38
	v_add_f32_e32 v0, v2, v3
	v_add_f32_e32 v3, v4, v5
	v_cmp_eq_f32_e64 s[4:5], s2, 0
	s_and_b64 vcc, exec, s[4:5]
	v_mul_f32_e32 v2, s16, v0
	v_mul_f32_e32 v3, s16, v3
	v_lshlrev_b32_e32 v0, 1, v1
	s_cbranch_vccz .LBB39_23
; %bb.20:
	v_ashrrev_i32_e32 v1, 31, v0
	v_lshlrev_b64 v[4:5], 2, v[0:1]
	s_waitcnt lgkmcnt(0)
	v_mov_b32_e32 v1, s1
	v_add_co_u32_e32 v4, vcc, s0, v4
	v_addc_co_u32_e32 v5, vcc, v1, v5, vcc
	global_store_dwordx2 v[4:5], v[2:3], off
	s_cbranch_execnz .LBB39_22
.LBB39_21:
	v_ashrrev_i32_e32 v1, 31, v0
	v_lshlrev_b64 v[0:1], 2, v[0:1]
	s_waitcnt lgkmcnt(0)
	v_mov_b32_e32 v4, s1
	v_add_co_u32_e32 v0, vcc, s0, v0
	v_addc_co_u32_e32 v1, vcc, v4, v1, vcc
	global_load_dwordx2 v[4:5], v[0:1], off
	s_waitcnt vmcnt(0)
	v_fmac_f32_e32 v2, s2, v4
	v_fmac_f32_e32 v3, s2, v5
	global_store_dwordx2 v[0:1], v[2:3], off
.LBB39_22:
	s_endpgm
.LBB39_23:
	s_branch .LBB39_21
	.section	.rodata,"a",@progbits
	.p2align	6, 0x0
	.amdhsa_kernel _ZN9rocsparseL19gebsrmvn_2xn_kernelILj128ELj9ELj64EfEEvi20rocsparse_direction_NS_24const_host_device_scalarIT2_EEPKiS6_PKS3_S8_S4_PS3_21rocsparse_index_base_b
		.amdhsa_group_segment_fixed_size 0
		.amdhsa_private_segment_fixed_size 0
		.amdhsa_kernarg_size 72
		.amdhsa_user_sgpr_count 6
		.amdhsa_user_sgpr_private_segment_buffer 1
		.amdhsa_user_sgpr_dispatch_ptr 0
		.amdhsa_user_sgpr_queue_ptr 0
		.amdhsa_user_sgpr_kernarg_segment_ptr 1
		.amdhsa_user_sgpr_dispatch_id 0
		.amdhsa_user_sgpr_flat_scratch_init 0
		.amdhsa_user_sgpr_private_segment_size 0
		.amdhsa_uses_dynamic_stack 0
		.amdhsa_system_sgpr_private_segment_wavefront_offset 0
		.amdhsa_system_sgpr_workgroup_id_x 1
		.amdhsa_system_sgpr_workgroup_id_y 0
		.amdhsa_system_sgpr_workgroup_id_z 0
		.amdhsa_system_sgpr_workgroup_info 0
		.amdhsa_system_vgpr_workitem_id 0
		.amdhsa_next_free_vgpr 45
		.amdhsa_next_free_sgpr 20
		.amdhsa_reserve_vcc 1
		.amdhsa_reserve_flat_scratch 0
		.amdhsa_float_round_mode_32 0
		.amdhsa_float_round_mode_16_64 0
		.amdhsa_float_denorm_mode_32 3
		.amdhsa_float_denorm_mode_16_64 3
		.amdhsa_dx10_clamp 1
		.amdhsa_ieee_mode 1
		.amdhsa_fp16_overflow 0
		.amdhsa_exception_fp_ieee_invalid_op 0
		.amdhsa_exception_fp_denorm_src 0
		.amdhsa_exception_fp_ieee_div_zero 0
		.amdhsa_exception_fp_ieee_overflow 0
		.amdhsa_exception_fp_ieee_underflow 0
		.amdhsa_exception_fp_ieee_inexact 0
		.amdhsa_exception_int_div_zero 0
	.end_amdhsa_kernel
	.section	.text._ZN9rocsparseL19gebsrmvn_2xn_kernelILj128ELj9ELj64EfEEvi20rocsparse_direction_NS_24const_host_device_scalarIT2_EEPKiS6_PKS3_S8_S4_PS3_21rocsparse_index_base_b,"axG",@progbits,_ZN9rocsparseL19gebsrmvn_2xn_kernelILj128ELj9ELj64EfEEvi20rocsparse_direction_NS_24const_host_device_scalarIT2_EEPKiS6_PKS3_S8_S4_PS3_21rocsparse_index_base_b,comdat
.Lfunc_end39:
	.size	_ZN9rocsparseL19gebsrmvn_2xn_kernelILj128ELj9ELj64EfEEvi20rocsparse_direction_NS_24const_host_device_scalarIT2_EEPKiS6_PKS3_S8_S4_PS3_21rocsparse_index_base_b, .Lfunc_end39-_ZN9rocsparseL19gebsrmvn_2xn_kernelILj128ELj9ELj64EfEEvi20rocsparse_direction_NS_24const_host_device_scalarIT2_EEPKiS6_PKS3_S8_S4_PS3_21rocsparse_index_base_b
                                        ; -- End function
	.set _ZN9rocsparseL19gebsrmvn_2xn_kernelILj128ELj9ELj64EfEEvi20rocsparse_direction_NS_24const_host_device_scalarIT2_EEPKiS6_PKS3_S8_S4_PS3_21rocsparse_index_base_b.num_vgpr, 45
	.set _ZN9rocsparseL19gebsrmvn_2xn_kernelILj128ELj9ELj64EfEEvi20rocsparse_direction_NS_24const_host_device_scalarIT2_EEPKiS6_PKS3_S8_S4_PS3_21rocsparse_index_base_b.num_agpr, 0
	.set _ZN9rocsparseL19gebsrmvn_2xn_kernelILj128ELj9ELj64EfEEvi20rocsparse_direction_NS_24const_host_device_scalarIT2_EEPKiS6_PKS3_S8_S4_PS3_21rocsparse_index_base_b.numbered_sgpr, 20
	.set _ZN9rocsparseL19gebsrmvn_2xn_kernelILj128ELj9ELj64EfEEvi20rocsparse_direction_NS_24const_host_device_scalarIT2_EEPKiS6_PKS3_S8_S4_PS3_21rocsparse_index_base_b.num_named_barrier, 0
	.set _ZN9rocsparseL19gebsrmvn_2xn_kernelILj128ELj9ELj64EfEEvi20rocsparse_direction_NS_24const_host_device_scalarIT2_EEPKiS6_PKS3_S8_S4_PS3_21rocsparse_index_base_b.private_seg_size, 0
	.set _ZN9rocsparseL19gebsrmvn_2xn_kernelILj128ELj9ELj64EfEEvi20rocsparse_direction_NS_24const_host_device_scalarIT2_EEPKiS6_PKS3_S8_S4_PS3_21rocsparse_index_base_b.uses_vcc, 1
	.set _ZN9rocsparseL19gebsrmvn_2xn_kernelILj128ELj9ELj64EfEEvi20rocsparse_direction_NS_24const_host_device_scalarIT2_EEPKiS6_PKS3_S8_S4_PS3_21rocsparse_index_base_b.uses_flat_scratch, 0
	.set _ZN9rocsparseL19gebsrmvn_2xn_kernelILj128ELj9ELj64EfEEvi20rocsparse_direction_NS_24const_host_device_scalarIT2_EEPKiS6_PKS3_S8_S4_PS3_21rocsparse_index_base_b.has_dyn_sized_stack, 0
	.set _ZN9rocsparseL19gebsrmvn_2xn_kernelILj128ELj9ELj64EfEEvi20rocsparse_direction_NS_24const_host_device_scalarIT2_EEPKiS6_PKS3_S8_S4_PS3_21rocsparse_index_base_b.has_recursion, 0
	.set _ZN9rocsparseL19gebsrmvn_2xn_kernelILj128ELj9ELj64EfEEvi20rocsparse_direction_NS_24const_host_device_scalarIT2_EEPKiS6_PKS3_S8_S4_PS3_21rocsparse_index_base_b.has_indirect_call, 0
	.section	.AMDGPU.csdata,"",@progbits
; Kernel info:
; codeLenInByte = 2284
; TotalNumSgprs: 24
; NumVgprs: 45
; ScratchSize: 0
; MemoryBound: 0
; FloatMode: 240
; IeeeMode: 1
; LDSByteSize: 0 bytes/workgroup (compile time only)
; SGPRBlocks: 2
; VGPRBlocks: 11
; NumSGPRsForWavesPerEU: 24
; NumVGPRsForWavesPerEU: 45
; Occupancy: 5
; WaveLimiterHint : 1
; COMPUTE_PGM_RSRC2:SCRATCH_EN: 0
; COMPUTE_PGM_RSRC2:USER_SGPR: 6
; COMPUTE_PGM_RSRC2:TRAP_HANDLER: 0
; COMPUTE_PGM_RSRC2:TGID_X_EN: 1
; COMPUTE_PGM_RSRC2:TGID_Y_EN: 0
; COMPUTE_PGM_RSRC2:TGID_Z_EN: 0
; COMPUTE_PGM_RSRC2:TIDIG_COMP_CNT: 0
	.section	.text._ZN9rocsparseL19gebsrmvn_2xn_kernelILj128ELj10ELj4EfEEvi20rocsparse_direction_NS_24const_host_device_scalarIT2_EEPKiS6_PKS3_S8_S4_PS3_21rocsparse_index_base_b,"axG",@progbits,_ZN9rocsparseL19gebsrmvn_2xn_kernelILj128ELj10ELj4EfEEvi20rocsparse_direction_NS_24const_host_device_scalarIT2_EEPKiS6_PKS3_S8_S4_PS3_21rocsparse_index_base_b,comdat
	.globl	_ZN9rocsparseL19gebsrmvn_2xn_kernelILj128ELj10ELj4EfEEvi20rocsparse_direction_NS_24const_host_device_scalarIT2_EEPKiS6_PKS3_S8_S4_PS3_21rocsparse_index_base_b ; -- Begin function _ZN9rocsparseL19gebsrmvn_2xn_kernelILj128ELj10ELj4EfEEvi20rocsparse_direction_NS_24const_host_device_scalarIT2_EEPKiS6_PKS3_S8_S4_PS3_21rocsparse_index_base_b
	.p2align	8
	.type	_ZN9rocsparseL19gebsrmvn_2xn_kernelILj128ELj10ELj4EfEEvi20rocsparse_direction_NS_24const_host_device_scalarIT2_EEPKiS6_PKS3_S8_S4_PS3_21rocsparse_index_base_b,@function
_ZN9rocsparseL19gebsrmvn_2xn_kernelILj128ELj10ELj4EfEEvi20rocsparse_direction_NS_24const_host_device_scalarIT2_EEPKiS6_PKS3_S8_S4_PS3_21rocsparse_index_base_b: ; @_ZN9rocsparseL19gebsrmvn_2xn_kernelILj128ELj10ELj4EfEEvi20rocsparse_direction_NS_24const_host_device_scalarIT2_EEPKiS6_PKS3_S8_S4_PS3_21rocsparse_index_base_b
; %bb.0:
	s_load_dwordx2 s[18:19], s[4:5], 0x40
	s_load_dwordx2 s[16:17], s[4:5], 0x8
	s_load_dwordx2 s[2:3], s[4:5], 0x30
	s_waitcnt lgkmcnt(0)
	s_bitcmp1_b32 s19, 0
	s_cselect_b64 s[8:9], -1, 0
	s_xor_b64 s[0:1], s[8:9], -1
	s_and_b64 vcc, exec, s[8:9]
	s_cbranch_vccnz .LBB40_2
; %bb.1:
	s_load_dword s16, s[16:17], 0x0
.LBB40_2:
	s_andn2_b64 vcc, exec, s[0:1]
	s_cbranch_vccnz .LBB40_4
; %bb.3:
	s_load_dword s2, s[2:3], 0x0
.LBB40_4:
	s_waitcnt lgkmcnt(0)
	v_cmp_eq_f32_e64 s[0:1], s16, 0
	v_cmp_eq_f32_e64 s[8:9], s2, 1.0
	s_and_b64 s[0:1], s[0:1], s[8:9]
	s_and_b64 vcc, exec, s[0:1]
	s_cbranch_vccnz .LBB40_22
; %bb.5:
	s_load_dwordx2 s[0:1], s[4:5], 0x0
	v_lshrrev_b32_e32 v1, 2, v0
	v_lshl_or_b32 v1, s6, 5, v1
	s_waitcnt lgkmcnt(0)
	v_cmp_gt_i32_e32 vcc, s0, v1
	s_and_saveexec_b64 s[6:7], vcc
	s_cbranch_execz .LBB40_22
; %bb.6:
	s_load_dwordx8 s[8:15], s[4:5], 0x10
	v_ashrrev_i32_e32 v2, 31, v1
	v_lshlrev_b64 v[2:3], 2, v[1:2]
	v_and_b32_e32 v0, 3, v0
	s_cmp_lg_u32 s1, 0
	s_waitcnt lgkmcnt(0)
	v_mov_b32_e32 v4, s9
	v_add_co_u32_e32 v2, vcc, s8, v2
	v_addc_co_u32_e32 v3, vcc, v4, v3, vcc
	global_load_dwordx2 v[2:3], v[2:3], off
	s_waitcnt vmcnt(0)
	v_subrev_u32_e32 v2, s18, v2
	v_subrev_u32_e32 v8, s18, v3
	v_add_u32_e32 v2, v2, v0
	v_cmp_lt_i32_e64 s[0:1], v2, v8
	s_cbranch_scc0 .LBB40_12
; %bb.7:
	v_mov_b32_e32 v9, 0
	v_mov_b32_e32 v10, 0
	s_and_saveexec_b64 s[6:7], s[0:1]
	s_cbranch_execz .LBB40_11
; %bb.8:
	v_mad_u64_u32 v[3:4], s[8:9], v2, 20, 18
	v_mov_b32_e32 v5, 0
	s_mov_b64 s[8:9], 0
	v_mov_b32_e32 v11, s11
	v_mov_b32_e32 v12, s13
	;; [unrolled: 1-line block ×6, first 2 shown]
.LBB40_9:                               ; =>This Inner Loop Header: Depth=1
	v_ashrrev_i32_e32 v7, 31, v6
	v_lshlrev_b64 v[14:15], 2, v[6:7]
	v_subrev_u32_e32 v4, 18, v3
	v_add_co_u32_e32 v14, vcc, s10, v14
	v_addc_co_u32_e32 v15, vcc, v11, v15, vcc
	v_lshlrev_b64 v[16:17], 2, v[4:5]
	global_load_dword v4, v[14:15], off
	v_mov_b32_e32 v21, v5
	v_add_co_u32_e32 v18, vcc, s12, v16
	v_addc_co_u32_e32 v19, vcc, v12, v17, vcc
	v_add_u32_e32 v6, 4, v6
	s_waitcnt vmcnt(0)
	v_subrev_u32_e32 v4, s18, v4
	v_mul_lo_u32 v20, v4, 10
	v_add_u32_e32 v4, -14, v3
	v_lshlrev_b64 v[14:15], 2, v[20:21]
	v_add_co_u32_e32 v21, vcc, s14, v14
	v_addc_co_u32_e32 v22, vcc, v13, v15, vcc
	global_load_dwordx2 v[23:24], v[21:22], off
	global_load_dwordx4 v[14:17], v[18:19], off
	s_waitcnt vmcnt(0)
	v_fmac_f32_e32 v9, v14, v23
	v_fmac_f32_e32 v10, v15, v23
	v_lshlrev_b64 v[14:15], 2, v[4:5]
	v_add_u32_e32 v4, 2, v20
	v_fmac_f32_e32 v9, v16, v24
	v_fmac_f32_e32 v10, v17, v24
	v_add_co_u32_e32 v14, vcc, s12, v14
	v_lshlrev_b64 v[16:17], 2, v[4:5]
	v_addc_co_u32_e32 v15, vcc, v12, v15, vcc
	v_add_u32_e32 v4, -12, v3
	v_add_co_u32_e32 v16, vcc, s14, v16
	v_lshlrev_b64 v[18:19], 2, v[4:5]
	v_addc_co_u32_e32 v17, vcc, v13, v17, vcc
	v_add_co_u32_e32 v18, vcc, s12, v18
	v_addc_co_u32_e32 v19, vcc, v12, v19, vcc
	global_load_dwordx2 v[21:22], v[14:15], off
	global_load_dwordx2 v[23:24], v[16:17], off
	v_add_u32_e32 v4, -10, v3
	global_load_dwordx2 v[14:15], v[18:19], off
	s_waitcnt vmcnt(1)
	v_fmac_f32_e32 v9, v21, v23
	v_fmac_f32_e32 v10, v22, v23
	s_waitcnt vmcnt(0)
	v_fmac_f32_e32 v9, v14, v24
	v_fmac_f32_e32 v10, v15, v24
	v_lshlrev_b64 v[14:15], 2, v[4:5]
	v_add_u32_e32 v4, 4, v20
	v_add_co_u32_e32 v14, vcc, s12, v14
	v_lshlrev_b64 v[16:17], 2, v[4:5]
	v_addc_co_u32_e32 v15, vcc, v12, v15, vcc
	v_add_u32_e32 v4, -8, v3
	v_add_co_u32_e32 v16, vcc, s14, v16
	v_lshlrev_b64 v[18:19], 2, v[4:5]
	v_addc_co_u32_e32 v17, vcc, v13, v17, vcc
	v_add_co_u32_e32 v18, vcc, s12, v18
	v_addc_co_u32_e32 v19, vcc, v12, v19, vcc
	global_load_dwordx2 v[21:22], v[14:15], off
	global_load_dwordx2 v[23:24], v[16:17], off
	v_add_u32_e32 v4, -6, v3
	global_load_dwordx2 v[14:15], v[18:19], off
	s_waitcnt vmcnt(1)
	v_fmac_f32_e32 v9, v21, v23
	v_fmac_f32_e32 v10, v22, v23
	s_waitcnt vmcnt(0)
	v_fmac_f32_e32 v9, v14, v24
	v_fmac_f32_e32 v10, v15, v24
	v_lshlrev_b64 v[14:15], 2, v[4:5]
	v_add_u32_e32 v4, 6, v20
	v_add_co_u32_e32 v14, vcc, s12, v14
	v_lshlrev_b64 v[16:17], 2, v[4:5]
	v_addc_co_u32_e32 v15, vcc, v12, v15, vcc
	v_add_u32_e32 v4, -4, v3
	v_add_co_u32_e32 v16, vcc, s14, v16
	v_lshlrev_b64 v[18:19], 2, v[4:5]
	v_addc_co_u32_e32 v17, vcc, v13, v17, vcc
	v_add_co_u32_e32 v18, vcc, s12, v18
	v_addc_co_u32_e32 v19, vcc, v12, v19, vcc
	global_load_dwordx2 v[21:22], v[14:15], off
	global_load_dwordx2 v[23:24], v[16:17], off
	v_mov_b32_e32 v4, v5
	global_load_dwordx2 v[14:15], v[18:19], off
	s_waitcnt vmcnt(1)
	v_fmac_f32_e32 v9, v21, v23
	v_fmac_f32_e32 v10, v22, v23
	s_waitcnt vmcnt(0)
	v_fmac_f32_e32 v9, v14, v24
	v_fmac_f32_e32 v10, v15, v24
	v_lshlrev_b64 v[14:15], 2, v[3:4]
	v_add_u32_e32 v4, -2, v3
	v_add_co_u32_e32 v14, vcc, s12, v14
	v_lshlrev_b64 v[16:17], 2, v[4:5]
	v_addc_co_u32_e32 v15, vcc, v12, v15, vcc
	v_add_u32_e32 v4, 8, v20
	v_add_co_u32_e32 v16, vcc, s12, v16
	v_lshlrev_b64 v[18:19], 2, v[4:5]
	v_addc_co_u32_e32 v17, vcc, v12, v17, vcc
	v_add_co_u32_e32 v18, vcc, s14, v18
	v_addc_co_u32_e32 v19, vcc, v13, v19, vcc
	global_load_dwordx2 v[20:21], v[16:17], off
	global_load_dwordx2 v[22:23], v[18:19], off
	v_cmp_ge_i32_e32 vcc, v6, v8
	global_load_dwordx2 v[14:15], v[14:15], off
	s_or_b64 s[8:9], vcc, s[8:9]
	v_add_u32_e32 v3, 0x50, v3
	s_waitcnt vmcnt(1)
	v_fmac_f32_e32 v9, v20, v22
	v_fmac_f32_e32 v10, v21, v22
	s_waitcnt vmcnt(0)
	v_fmac_f32_e32 v9, v14, v23
	v_fmac_f32_e32 v10, v15, v23
	s_andn2_b64 exec, exec, s[8:9]
	s_cbranch_execnz .LBB40_9
; %bb.10:
	s_or_b64 exec, exec, s[8:9]
.LBB40_11:
	s_or_b64 exec, exec, s[6:7]
	s_cbranch_execz .LBB40_13
	s_branch .LBB40_18
.LBB40_12:
                                        ; implicit-def: $vgpr9
                                        ; implicit-def: $vgpr10
.LBB40_13:
	v_mov_b32_e32 v9, 0
	v_mov_b32_e32 v10, 0
	s_and_saveexec_b64 s[6:7], s[0:1]
	s_cbranch_execz .LBB40_17
; %bb.14:
	v_mad_u64_u32 v[4:5], s[0:1], v2, 20, 19
	v_mov_b32_e32 v6, 0
	s_mov_b64 s[0:1], 0
	v_mov_b32_e32 v7, s11
	v_mov_b32_e32 v11, s13
	;; [unrolled: 1-line block ×5, first 2 shown]
.LBB40_15:                              ; =>This Inner Loop Header: Depth=1
	v_ashrrev_i32_e32 v3, 31, v2
	v_lshlrev_b64 v[13:14], 2, v[2:3]
	v_subrev_u32_e32 v5, 19, v4
	v_add_co_u32_e32 v13, vcc, s10, v13
	v_addc_co_u32_e32 v14, vcc, v7, v14, vcc
	global_load_dword v3, v[13:14], off
	v_lshlrev_b64 v[15:16], 2, v[5:6]
	v_mov_b32_e32 v20, v6
	v_add_co_u32_e32 v17, vcc, s12, v15
	v_addc_co_u32_e32 v18, vcc, v11, v16, vcc
	v_add_u32_e32 v5, -8, v4
	v_lshlrev_b64 v[22:23], 2, v[5:6]
	v_add_u32_e32 v2, 4, v2
	s_waitcnt vmcnt(0)
	v_subrev_u32_e32 v3, s18, v3
	v_mul_lo_u32 v19, v3, 10
	v_lshlrev_b64 v[13:14], 2, v[19:20]
	v_add_u32_e32 v5, 2, v19
	v_add_co_u32_e32 v20, vcc, s14, v13
	v_addc_co_u32_e32 v21, vcc, v12, v14, vcc
	v_lshlrev_b64 v[13:14], 2, v[5:6]
	v_add_co_u32_e32 v24, vcc, s14, v13
	v_addc_co_u32_e32 v25, vcc, v12, v14, vcc
	global_load_dwordx2 v[26:27], v[20:21], off
	global_load_dwordx2 v[28:29], v[24:25], off
	global_load_dwordx4 v[13:16], v[17:18], off
	s_waitcnt vmcnt(0)
	v_fmac_f32_e32 v9, v13, v26
	v_fmac_f32_e32 v9, v14, v27
	v_add_u32_e32 v13, -9, v4
	v_mov_b32_e32 v14, v6
	v_lshlrev_b64 v[13:14], 2, v[13:14]
	v_fmac_f32_e32 v9, v15, v28
	v_add_co_u32_e32 v13, vcc, s12, v13
	v_addc_co_u32_e32 v14, vcc, v11, v14, vcc
	v_add_co_u32_e32 v15, vcc, s12, v22
	v_fmac_f32_e32 v9, v16, v29
	v_addc_co_u32_e32 v16, vcc, v11, v23, vcc
	global_load_dword v3, v[13:14], off
	global_load_dword v5, v[15:16], off
	s_waitcnt vmcnt(1)
	v_fmac_f32_e32 v10, v3, v26
	s_waitcnt vmcnt(0)
	v_fmac_f32_e32 v10, v5, v27
	v_add_u32_e32 v5, -7, v4
	v_lshlrev_b64 v[13:14], 2, v[5:6]
	v_add_u32_e32 v5, -6, v4
	v_add_co_u32_e32 v13, vcc, s12, v13
	v_lshlrev_b64 v[15:16], 2, v[5:6]
	v_addc_co_u32_e32 v14, vcc, v11, v14, vcc
	v_add_co_u32_e32 v15, vcc, s12, v15
	v_addc_co_u32_e32 v16, vcc, v11, v16, vcc
	global_load_dword v3, v[13:14], off
	global_load_dword v5, v[15:16], off
	s_waitcnt vmcnt(1)
	v_fmac_f32_e32 v10, v3, v28
	s_waitcnt vmcnt(0)
	v_fmac_f32_e32 v10, v5, v29
	v_add_u32_e32 v5, -15, v4
	v_lshlrev_b64 v[13:14], 2, v[5:6]
	v_add_u32_e32 v5, 4, v19
	v_add_co_u32_e32 v13, vcc, s12, v13
	v_lshlrev_b64 v[15:16], 2, v[5:6]
	v_addc_co_u32_e32 v14, vcc, v11, v14, vcc
	v_add_u32_e32 v5, -5, v4
	v_add_co_u32_e32 v15, vcc, s14, v15
	v_lshlrev_b64 v[17:18], 2, v[5:6]
	v_addc_co_u32_e32 v16, vcc, v12, v16, vcc
	v_add_u32_e32 v5, -14, v4
	;; [unrolled: 4-line block ×3, first 2 shown]
	v_add_co_u32_e32 v20, vcc, s12, v20
	v_lshlrev_b64 v[22:23], 2, v[5:6]
	v_addc_co_u32_e32 v21, vcc, v11, v21, vcc
	v_add_co_u32_e32 v22, vcc, s12, v22
	v_addc_co_u32_e32 v23, vcc, v11, v23, vcc
	global_load_dword v3, v[13:14], off
	global_load_dword v5, v[17:18], off
	;; [unrolled: 1-line block ×4, first 2 shown]
	global_load_dwordx2 v[24:25], v[15:16], off
	s_waitcnt vmcnt(0)
	v_fmac_f32_e32 v10, v5, v24
	v_add_u32_e32 v5, -13, v4
	v_lshlrev_b64 v[13:14], 2, v[5:6]
	v_add_u32_e32 v5, 6, v19
	v_add_co_u32_e32 v13, vcc, s12, v13
	v_lshlrev_b64 v[15:16], 2, v[5:6]
	v_addc_co_u32_e32 v14, vcc, v11, v14, vcc
	v_add_u32_e32 v5, -3, v4
	v_add_co_u32_e32 v15, vcc, s14, v15
	v_lshlrev_b64 v[17:18], 2, v[5:6]
	v_addc_co_u32_e32 v16, vcc, v12, v16, vcc
	v_add_u32_e32 v5, -12, v4
	;; [unrolled: 4-line block ×3, first 2 shown]
	v_add_co_u32_e32 v20, vcc, s12, v20
	v_lshlrev_b64 v[22:23], 2, v[5:6]
	v_addc_co_u32_e32 v21, vcc, v11, v21, vcc
	v_fmac_f32_e32 v9, v3, v24
	v_add_co_u32_e32 v22, vcc, s12, v22
	v_fmac_f32_e32 v9, v26, v25
	v_fmac_f32_e32 v10, v27, v25
	v_addc_co_u32_e32 v23, vcc, v11, v23, vcc
	global_load_dword v3, v[13:14], off
	global_load_dword v5, v[17:18], off
	;; [unrolled: 1-line block ×4, first 2 shown]
	global_load_dwordx2 v[24:25], v[15:16], off
	s_waitcnt vmcnt(0)
	v_fmac_f32_e32 v10, v5, v24
	v_mov_b32_e32 v5, v6
	v_lshlrev_b64 v[13:14], 2, v[4:5]
	v_add_u32_e32 v5, -11, v4
	v_add_co_u32_e32 v13, vcc, s12, v13
	v_lshlrev_b64 v[15:16], 2, v[5:6]
	v_addc_co_u32_e32 v14, vcc, v11, v14, vcc
	v_add_u32_e32 v5, 8, v19
	v_add_co_u32_e32 v15, vcc, s12, v15
	v_lshlrev_b64 v[17:18], 2, v[5:6]
	v_addc_co_u32_e32 v16, vcc, v11, v16, vcc
	v_add_u32_e32 v5, -1, v4
	v_add_co_u32_e32 v17, vcc, s14, v17
	v_lshlrev_b64 v[19:20], 2, v[5:6]
	v_addc_co_u32_e32 v18, vcc, v12, v18, vcc
	v_add_u32_e32 v5, -10, v4
	v_add_co_u32_e32 v19, vcc, s12, v19
	v_lshlrev_b64 v[21:22], 2, v[5:6]
	v_addc_co_u32_e32 v20, vcc, v11, v20, vcc
	v_fmac_f32_e32 v9, v3, v24
	v_add_co_u32_e32 v21, vcc, s12, v21
	v_fmac_f32_e32 v9, v26, v25
	v_fmac_f32_e32 v10, v27, v25
	v_addc_co_u32_e32 v22, vcc, v11, v22, vcc
	global_load_dword v3, v[13:14], off
	global_load_dword v5, v[15:16], off
	;; [unrolled: 1-line block ×4, first 2 shown]
	global_load_dwordx2 v[23:24], v[17:18], off
	v_cmp_ge_i32_e32 vcc, v2, v8
	s_or_b64 s[0:1], vcc, s[0:1]
	v_add_u32_e32 v4, 0x50, v4
	s_waitcnt vmcnt(0)
	v_fmac_f32_e32 v9, v5, v23
	v_fmac_f32_e32 v10, v25, v23
	v_fmac_f32_e32 v9, v26, v24
	v_fmac_f32_e32 v10, v3, v24
	s_andn2_b64 exec, exec, s[0:1]
	s_cbranch_execnz .LBB40_15
; %bb.16:
	s_or_b64 exec, exec, s[0:1]
.LBB40_17:
	s_or_b64 exec, exec, s[6:7]
.LBB40_18:
	v_mov_b32_dpp v2, v9 row_shr:1 row_mask:0xf bank_mask:0xf
	v_mov_b32_dpp v4, v10 row_shr:1 row_mask:0xf bank_mask:0xf
	v_add_f32_e32 v2, v9, v2
	v_add_f32_e32 v4, v10, v4
	v_cmp_eq_u32_e32 vcc, 3, v0
	v_mov_b32_dpp v3, v2 row_shr:2 row_mask:0xf bank_mask:0xf
	v_mov_b32_dpp v5, v4 row_shr:2 row_mask:0xf bank_mask:0xf
	s_and_b64 exec, exec, vcc
	s_cbranch_execz .LBB40_22
; %bb.19:
	s_load_dwordx2 s[0:1], s[4:5], 0x38
	v_add_f32_e32 v0, v2, v3
	v_add_f32_e32 v3, v4, v5
	v_cmp_eq_f32_e64 s[4:5], s2, 0
	s_and_b64 vcc, exec, s[4:5]
	v_mul_f32_e32 v2, s16, v0
	v_mul_f32_e32 v3, s16, v3
	v_lshlrev_b32_e32 v0, 1, v1
	s_cbranch_vccz .LBB40_23
; %bb.20:
	v_ashrrev_i32_e32 v1, 31, v0
	v_lshlrev_b64 v[4:5], 2, v[0:1]
	s_waitcnt lgkmcnt(0)
	v_mov_b32_e32 v1, s1
	v_add_co_u32_e32 v4, vcc, s0, v4
	v_addc_co_u32_e32 v5, vcc, v1, v5, vcc
	global_store_dwordx2 v[4:5], v[2:3], off
	s_cbranch_execnz .LBB40_22
.LBB40_21:
	v_ashrrev_i32_e32 v1, 31, v0
	v_lshlrev_b64 v[0:1], 2, v[0:1]
	s_waitcnt lgkmcnt(0)
	v_mov_b32_e32 v4, s1
	v_add_co_u32_e32 v0, vcc, s0, v0
	v_addc_co_u32_e32 v1, vcc, v4, v1, vcc
	global_load_dwordx2 v[4:5], v[0:1], off
	s_waitcnt vmcnt(0)
	v_fmac_f32_e32 v2, s2, v4
	v_fmac_f32_e32 v3, s2, v5
	global_store_dwordx2 v[0:1], v[2:3], off
.LBB40_22:
	s_endpgm
.LBB40_23:
	s_branch .LBB40_21
	.section	.rodata,"a",@progbits
	.p2align	6, 0x0
	.amdhsa_kernel _ZN9rocsparseL19gebsrmvn_2xn_kernelILj128ELj10ELj4EfEEvi20rocsparse_direction_NS_24const_host_device_scalarIT2_EEPKiS6_PKS3_S8_S4_PS3_21rocsparse_index_base_b
		.amdhsa_group_segment_fixed_size 0
		.amdhsa_private_segment_fixed_size 0
		.amdhsa_kernarg_size 72
		.amdhsa_user_sgpr_count 6
		.amdhsa_user_sgpr_private_segment_buffer 1
		.amdhsa_user_sgpr_dispatch_ptr 0
		.amdhsa_user_sgpr_queue_ptr 0
		.amdhsa_user_sgpr_kernarg_segment_ptr 1
		.amdhsa_user_sgpr_dispatch_id 0
		.amdhsa_user_sgpr_flat_scratch_init 0
		.amdhsa_user_sgpr_private_segment_size 0
		.amdhsa_uses_dynamic_stack 0
		.amdhsa_system_sgpr_private_segment_wavefront_offset 0
		.amdhsa_system_sgpr_workgroup_id_x 1
		.amdhsa_system_sgpr_workgroup_id_y 0
		.amdhsa_system_sgpr_workgroup_id_z 0
		.amdhsa_system_sgpr_workgroup_info 0
		.amdhsa_system_vgpr_workitem_id 0
		.amdhsa_next_free_vgpr 30
		.amdhsa_next_free_sgpr 20
		.amdhsa_reserve_vcc 1
		.amdhsa_reserve_flat_scratch 0
		.amdhsa_float_round_mode_32 0
		.amdhsa_float_round_mode_16_64 0
		.amdhsa_float_denorm_mode_32 3
		.amdhsa_float_denorm_mode_16_64 3
		.amdhsa_dx10_clamp 1
		.amdhsa_ieee_mode 1
		.amdhsa_fp16_overflow 0
		.amdhsa_exception_fp_ieee_invalid_op 0
		.amdhsa_exception_fp_denorm_src 0
		.amdhsa_exception_fp_ieee_div_zero 0
		.amdhsa_exception_fp_ieee_overflow 0
		.amdhsa_exception_fp_ieee_underflow 0
		.amdhsa_exception_fp_ieee_inexact 0
		.amdhsa_exception_int_div_zero 0
	.end_amdhsa_kernel
	.section	.text._ZN9rocsparseL19gebsrmvn_2xn_kernelILj128ELj10ELj4EfEEvi20rocsparse_direction_NS_24const_host_device_scalarIT2_EEPKiS6_PKS3_S8_S4_PS3_21rocsparse_index_base_b,"axG",@progbits,_ZN9rocsparseL19gebsrmvn_2xn_kernelILj128ELj10ELj4EfEEvi20rocsparse_direction_NS_24const_host_device_scalarIT2_EEPKiS6_PKS3_S8_S4_PS3_21rocsparse_index_base_b,comdat
.Lfunc_end40:
	.size	_ZN9rocsparseL19gebsrmvn_2xn_kernelILj128ELj10ELj4EfEEvi20rocsparse_direction_NS_24const_host_device_scalarIT2_EEPKiS6_PKS3_S8_S4_PS3_21rocsparse_index_base_b, .Lfunc_end40-_ZN9rocsparseL19gebsrmvn_2xn_kernelILj128ELj10ELj4EfEEvi20rocsparse_direction_NS_24const_host_device_scalarIT2_EEPKiS6_PKS3_S8_S4_PS3_21rocsparse_index_base_b
                                        ; -- End function
	.set _ZN9rocsparseL19gebsrmvn_2xn_kernelILj128ELj10ELj4EfEEvi20rocsparse_direction_NS_24const_host_device_scalarIT2_EEPKiS6_PKS3_S8_S4_PS3_21rocsparse_index_base_b.num_vgpr, 30
	.set _ZN9rocsparseL19gebsrmvn_2xn_kernelILj128ELj10ELj4EfEEvi20rocsparse_direction_NS_24const_host_device_scalarIT2_EEPKiS6_PKS3_S8_S4_PS3_21rocsparse_index_base_b.num_agpr, 0
	.set _ZN9rocsparseL19gebsrmvn_2xn_kernelILj128ELj10ELj4EfEEvi20rocsparse_direction_NS_24const_host_device_scalarIT2_EEPKiS6_PKS3_S8_S4_PS3_21rocsparse_index_base_b.numbered_sgpr, 20
	.set _ZN9rocsparseL19gebsrmvn_2xn_kernelILj128ELj10ELj4EfEEvi20rocsparse_direction_NS_24const_host_device_scalarIT2_EEPKiS6_PKS3_S8_S4_PS3_21rocsparse_index_base_b.num_named_barrier, 0
	.set _ZN9rocsparseL19gebsrmvn_2xn_kernelILj128ELj10ELj4EfEEvi20rocsparse_direction_NS_24const_host_device_scalarIT2_EEPKiS6_PKS3_S8_S4_PS3_21rocsparse_index_base_b.private_seg_size, 0
	.set _ZN9rocsparseL19gebsrmvn_2xn_kernelILj128ELj10ELj4EfEEvi20rocsparse_direction_NS_24const_host_device_scalarIT2_EEPKiS6_PKS3_S8_S4_PS3_21rocsparse_index_base_b.uses_vcc, 1
	.set _ZN9rocsparseL19gebsrmvn_2xn_kernelILj128ELj10ELj4EfEEvi20rocsparse_direction_NS_24const_host_device_scalarIT2_EEPKiS6_PKS3_S8_S4_PS3_21rocsparse_index_base_b.uses_flat_scratch, 0
	.set _ZN9rocsparseL19gebsrmvn_2xn_kernelILj128ELj10ELj4EfEEvi20rocsparse_direction_NS_24const_host_device_scalarIT2_EEPKiS6_PKS3_S8_S4_PS3_21rocsparse_index_base_b.has_dyn_sized_stack, 0
	.set _ZN9rocsparseL19gebsrmvn_2xn_kernelILj128ELj10ELj4EfEEvi20rocsparse_direction_NS_24const_host_device_scalarIT2_EEPKiS6_PKS3_S8_S4_PS3_21rocsparse_index_base_b.has_recursion, 0
	.set _ZN9rocsparseL19gebsrmvn_2xn_kernelILj128ELj10ELj4EfEEvi20rocsparse_direction_NS_24const_host_device_scalarIT2_EEPKiS6_PKS3_S8_S4_PS3_21rocsparse_index_base_b.has_indirect_call, 0
	.section	.AMDGPU.csdata,"",@progbits
; Kernel info:
; codeLenInByte = 1936
; TotalNumSgprs: 24
; NumVgprs: 30
; ScratchSize: 0
; MemoryBound: 0
; FloatMode: 240
; IeeeMode: 1
; LDSByteSize: 0 bytes/workgroup (compile time only)
; SGPRBlocks: 2
; VGPRBlocks: 7
; NumSGPRsForWavesPerEU: 24
; NumVGPRsForWavesPerEU: 30
; Occupancy: 8
; WaveLimiterHint : 1
; COMPUTE_PGM_RSRC2:SCRATCH_EN: 0
; COMPUTE_PGM_RSRC2:USER_SGPR: 6
; COMPUTE_PGM_RSRC2:TRAP_HANDLER: 0
; COMPUTE_PGM_RSRC2:TGID_X_EN: 1
; COMPUTE_PGM_RSRC2:TGID_Y_EN: 0
; COMPUTE_PGM_RSRC2:TGID_Z_EN: 0
; COMPUTE_PGM_RSRC2:TIDIG_COMP_CNT: 0
	.section	.text._ZN9rocsparseL19gebsrmvn_2xn_kernelILj128ELj10ELj8EfEEvi20rocsparse_direction_NS_24const_host_device_scalarIT2_EEPKiS6_PKS3_S8_S4_PS3_21rocsparse_index_base_b,"axG",@progbits,_ZN9rocsparseL19gebsrmvn_2xn_kernelILj128ELj10ELj8EfEEvi20rocsparse_direction_NS_24const_host_device_scalarIT2_EEPKiS6_PKS3_S8_S4_PS3_21rocsparse_index_base_b,comdat
	.globl	_ZN9rocsparseL19gebsrmvn_2xn_kernelILj128ELj10ELj8EfEEvi20rocsparse_direction_NS_24const_host_device_scalarIT2_EEPKiS6_PKS3_S8_S4_PS3_21rocsparse_index_base_b ; -- Begin function _ZN9rocsparseL19gebsrmvn_2xn_kernelILj128ELj10ELj8EfEEvi20rocsparse_direction_NS_24const_host_device_scalarIT2_EEPKiS6_PKS3_S8_S4_PS3_21rocsparse_index_base_b
	.p2align	8
	.type	_ZN9rocsparseL19gebsrmvn_2xn_kernelILj128ELj10ELj8EfEEvi20rocsparse_direction_NS_24const_host_device_scalarIT2_EEPKiS6_PKS3_S8_S4_PS3_21rocsparse_index_base_b,@function
_ZN9rocsparseL19gebsrmvn_2xn_kernelILj128ELj10ELj8EfEEvi20rocsparse_direction_NS_24const_host_device_scalarIT2_EEPKiS6_PKS3_S8_S4_PS3_21rocsparse_index_base_b: ; @_ZN9rocsparseL19gebsrmvn_2xn_kernelILj128ELj10ELj8EfEEvi20rocsparse_direction_NS_24const_host_device_scalarIT2_EEPKiS6_PKS3_S8_S4_PS3_21rocsparse_index_base_b
; %bb.0:
	s_load_dwordx2 s[18:19], s[4:5], 0x40
	s_load_dwordx2 s[16:17], s[4:5], 0x8
	s_load_dwordx2 s[2:3], s[4:5], 0x30
	s_waitcnt lgkmcnt(0)
	s_bitcmp1_b32 s19, 0
	s_cselect_b64 s[8:9], -1, 0
	s_xor_b64 s[0:1], s[8:9], -1
	s_and_b64 vcc, exec, s[8:9]
	s_cbranch_vccnz .LBB41_2
; %bb.1:
	s_load_dword s16, s[16:17], 0x0
.LBB41_2:
	s_andn2_b64 vcc, exec, s[0:1]
	s_cbranch_vccnz .LBB41_4
; %bb.3:
	s_load_dword s2, s[2:3], 0x0
.LBB41_4:
	s_waitcnt lgkmcnt(0)
	v_cmp_eq_f32_e64 s[0:1], s16, 0
	v_cmp_eq_f32_e64 s[8:9], s2, 1.0
	s_and_b64 s[0:1], s[0:1], s[8:9]
	s_and_b64 vcc, exec, s[0:1]
	s_cbranch_vccnz .LBB41_22
; %bb.5:
	s_load_dwordx2 s[0:1], s[4:5], 0x0
	v_lshrrev_b32_e32 v1, 3, v0
	v_lshl_or_b32 v1, s6, 4, v1
	s_waitcnt lgkmcnt(0)
	v_cmp_gt_i32_e32 vcc, s0, v1
	s_and_saveexec_b64 s[6:7], vcc
	s_cbranch_execz .LBB41_22
; %bb.6:
	s_load_dwordx8 s[8:15], s[4:5], 0x10
	v_ashrrev_i32_e32 v2, 31, v1
	v_lshlrev_b64 v[2:3], 2, v[1:2]
	v_and_b32_e32 v0, 7, v0
	s_cmp_lg_u32 s1, 0
	s_waitcnt lgkmcnt(0)
	v_mov_b32_e32 v4, s9
	v_add_co_u32_e32 v2, vcc, s8, v2
	v_addc_co_u32_e32 v3, vcc, v4, v3, vcc
	global_load_dwordx2 v[2:3], v[2:3], off
	s_waitcnt vmcnt(0)
	v_subrev_u32_e32 v2, s18, v2
	v_subrev_u32_e32 v8, s18, v3
	v_add_u32_e32 v2, v2, v0
	v_cmp_lt_i32_e64 s[0:1], v2, v8
	s_cbranch_scc0 .LBB41_12
; %bb.7:
	v_mov_b32_e32 v9, 0
	v_mov_b32_e32 v10, 0
	s_and_saveexec_b64 s[6:7], s[0:1]
	s_cbranch_execz .LBB41_11
; %bb.8:
	v_mad_u64_u32 v[3:4], s[8:9], v2, 20, 18
	v_mov_b32_e32 v5, 0
	s_mov_b64 s[8:9], 0
	v_mov_b32_e32 v11, s11
	v_mov_b32_e32 v12, s13
	;; [unrolled: 1-line block ×6, first 2 shown]
.LBB41_9:                               ; =>This Inner Loop Header: Depth=1
	v_ashrrev_i32_e32 v7, 31, v6
	v_lshlrev_b64 v[14:15], 2, v[6:7]
	v_subrev_u32_e32 v4, 18, v3
	v_add_co_u32_e32 v14, vcc, s10, v14
	v_addc_co_u32_e32 v15, vcc, v11, v15, vcc
	v_lshlrev_b64 v[16:17], 2, v[4:5]
	global_load_dword v4, v[14:15], off
	v_mov_b32_e32 v21, v5
	v_add_co_u32_e32 v18, vcc, s12, v16
	v_addc_co_u32_e32 v19, vcc, v12, v17, vcc
	v_add_u32_e32 v6, 8, v6
	s_waitcnt vmcnt(0)
	v_subrev_u32_e32 v4, s18, v4
	v_mul_lo_u32 v20, v4, 10
	v_add_u32_e32 v4, -14, v3
	v_lshlrev_b64 v[14:15], 2, v[20:21]
	v_add_co_u32_e32 v21, vcc, s14, v14
	v_addc_co_u32_e32 v22, vcc, v13, v15, vcc
	global_load_dwordx2 v[23:24], v[21:22], off
	global_load_dwordx4 v[14:17], v[18:19], off
	s_waitcnt vmcnt(0)
	v_fmac_f32_e32 v9, v14, v23
	v_fmac_f32_e32 v10, v15, v23
	v_lshlrev_b64 v[14:15], 2, v[4:5]
	v_add_u32_e32 v4, 2, v20
	v_fmac_f32_e32 v9, v16, v24
	v_fmac_f32_e32 v10, v17, v24
	v_add_co_u32_e32 v14, vcc, s12, v14
	v_lshlrev_b64 v[16:17], 2, v[4:5]
	v_addc_co_u32_e32 v15, vcc, v12, v15, vcc
	v_add_u32_e32 v4, -12, v3
	v_add_co_u32_e32 v16, vcc, s14, v16
	v_lshlrev_b64 v[18:19], 2, v[4:5]
	v_addc_co_u32_e32 v17, vcc, v13, v17, vcc
	v_add_co_u32_e32 v18, vcc, s12, v18
	v_addc_co_u32_e32 v19, vcc, v12, v19, vcc
	global_load_dwordx2 v[21:22], v[14:15], off
	global_load_dwordx2 v[23:24], v[16:17], off
	v_add_u32_e32 v4, -10, v3
	global_load_dwordx2 v[14:15], v[18:19], off
	s_waitcnt vmcnt(1)
	v_fmac_f32_e32 v9, v21, v23
	v_fmac_f32_e32 v10, v22, v23
	s_waitcnt vmcnt(0)
	v_fmac_f32_e32 v9, v14, v24
	v_fmac_f32_e32 v10, v15, v24
	v_lshlrev_b64 v[14:15], 2, v[4:5]
	v_add_u32_e32 v4, 4, v20
	v_add_co_u32_e32 v14, vcc, s12, v14
	v_lshlrev_b64 v[16:17], 2, v[4:5]
	v_addc_co_u32_e32 v15, vcc, v12, v15, vcc
	v_add_u32_e32 v4, -8, v3
	v_add_co_u32_e32 v16, vcc, s14, v16
	v_lshlrev_b64 v[18:19], 2, v[4:5]
	v_addc_co_u32_e32 v17, vcc, v13, v17, vcc
	v_add_co_u32_e32 v18, vcc, s12, v18
	v_addc_co_u32_e32 v19, vcc, v12, v19, vcc
	global_load_dwordx2 v[21:22], v[14:15], off
	global_load_dwordx2 v[23:24], v[16:17], off
	v_add_u32_e32 v4, -6, v3
	global_load_dwordx2 v[14:15], v[18:19], off
	s_waitcnt vmcnt(1)
	v_fmac_f32_e32 v9, v21, v23
	v_fmac_f32_e32 v10, v22, v23
	s_waitcnt vmcnt(0)
	v_fmac_f32_e32 v9, v14, v24
	v_fmac_f32_e32 v10, v15, v24
	v_lshlrev_b64 v[14:15], 2, v[4:5]
	v_add_u32_e32 v4, 6, v20
	v_add_co_u32_e32 v14, vcc, s12, v14
	v_lshlrev_b64 v[16:17], 2, v[4:5]
	v_addc_co_u32_e32 v15, vcc, v12, v15, vcc
	v_add_u32_e32 v4, -4, v3
	v_add_co_u32_e32 v16, vcc, s14, v16
	v_lshlrev_b64 v[18:19], 2, v[4:5]
	v_addc_co_u32_e32 v17, vcc, v13, v17, vcc
	v_add_co_u32_e32 v18, vcc, s12, v18
	v_addc_co_u32_e32 v19, vcc, v12, v19, vcc
	global_load_dwordx2 v[21:22], v[14:15], off
	global_load_dwordx2 v[23:24], v[16:17], off
	v_mov_b32_e32 v4, v5
	global_load_dwordx2 v[14:15], v[18:19], off
	s_waitcnt vmcnt(1)
	v_fmac_f32_e32 v9, v21, v23
	v_fmac_f32_e32 v10, v22, v23
	s_waitcnt vmcnt(0)
	v_fmac_f32_e32 v9, v14, v24
	v_fmac_f32_e32 v10, v15, v24
	v_lshlrev_b64 v[14:15], 2, v[3:4]
	v_add_u32_e32 v4, -2, v3
	v_add_co_u32_e32 v14, vcc, s12, v14
	v_lshlrev_b64 v[16:17], 2, v[4:5]
	v_addc_co_u32_e32 v15, vcc, v12, v15, vcc
	v_add_u32_e32 v4, 8, v20
	v_add_co_u32_e32 v16, vcc, s12, v16
	v_lshlrev_b64 v[18:19], 2, v[4:5]
	v_addc_co_u32_e32 v17, vcc, v12, v17, vcc
	v_add_co_u32_e32 v18, vcc, s14, v18
	v_addc_co_u32_e32 v19, vcc, v13, v19, vcc
	global_load_dwordx2 v[20:21], v[16:17], off
	global_load_dwordx2 v[22:23], v[18:19], off
	v_cmp_ge_i32_e32 vcc, v6, v8
	global_load_dwordx2 v[14:15], v[14:15], off
	s_or_b64 s[8:9], vcc, s[8:9]
	v_add_u32_e32 v3, 0xa0, v3
	s_waitcnt vmcnt(1)
	v_fmac_f32_e32 v9, v20, v22
	v_fmac_f32_e32 v10, v21, v22
	s_waitcnt vmcnt(0)
	v_fmac_f32_e32 v9, v14, v23
	v_fmac_f32_e32 v10, v15, v23
	s_andn2_b64 exec, exec, s[8:9]
	s_cbranch_execnz .LBB41_9
; %bb.10:
	s_or_b64 exec, exec, s[8:9]
.LBB41_11:
	s_or_b64 exec, exec, s[6:7]
	s_cbranch_execz .LBB41_13
	s_branch .LBB41_18
.LBB41_12:
                                        ; implicit-def: $vgpr9
                                        ; implicit-def: $vgpr10
.LBB41_13:
	v_mov_b32_e32 v9, 0
	v_mov_b32_e32 v10, 0
	s_and_saveexec_b64 s[6:7], s[0:1]
	s_cbranch_execz .LBB41_17
; %bb.14:
	v_mad_u64_u32 v[4:5], s[0:1], v2, 20, 19
	v_mov_b32_e32 v6, 0
	s_mov_b64 s[0:1], 0
	v_mov_b32_e32 v7, s11
	v_mov_b32_e32 v11, s13
	;; [unrolled: 1-line block ×5, first 2 shown]
.LBB41_15:                              ; =>This Inner Loop Header: Depth=1
	v_ashrrev_i32_e32 v3, 31, v2
	v_lshlrev_b64 v[13:14], 2, v[2:3]
	v_subrev_u32_e32 v5, 19, v4
	v_add_co_u32_e32 v13, vcc, s10, v13
	v_addc_co_u32_e32 v14, vcc, v7, v14, vcc
	global_load_dword v3, v[13:14], off
	v_lshlrev_b64 v[15:16], 2, v[5:6]
	v_mov_b32_e32 v20, v6
	v_add_co_u32_e32 v17, vcc, s12, v15
	v_addc_co_u32_e32 v18, vcc, v11, v16, vcc
	v_add_u32_e32 v5, -8, v4
	v_lshlrev_b64 v[22:23], 2, v[5:6]
	v_add_u32_e32 v2, 8, v2
	s_waitcnt vmcnt(0)
	v_subrev_u32_e32 v3, s18, v3
	v_mul_lo_u32 v19, v3, 10
	v_lshlrev_b64 v[13:14], 2, v[19:20]
	v_add_u32_e32 v5, 2, v19
	v_add_co_u32_e32 v20, vcc, s14, v13
	v_addc_co_u32_e32 v21, vcc, v12, v14, vcc
	v_lshlrev_b64 v[13:14], 2, v[5:6]
	v_add_co_u32_e32 v24, vcc, s14, v13
	v_addc_co_u32_e32 v25, vcc, v12, v14, vcc
	global_load_dwordx2 v[26:27], v[20:21], off
	global_load_dwordx2 v[28:29], v[24:25], off
	global_load_dwordx4 v[13:16], v[17:18], off
	s_waitcnt vmcnt(0)
	v_fmac_f32_e32 v9, v13, v26
	v_fmac_f32_e32 v9, v14, v27
	v_add_u32_e32 v13, -9, v4
	v_mov_b32_e32 v14, v6
	v_lshlrev_b64 v[13:14], 2, v[13:14]
	v_fmac_f32_e32 v9, v15, v28
	v_add_co_u32_e32 v13, vcc, s12, v13
	v_addc_co_u32_e32 v14, vcc, v11, v14, vcc
	v_add_co_u32_e32 v15, vcc, s12, v22
	v_fmac_f32_e32 v9, v16, v29
	v_addc_co_u32_e32 v16, vcc, v11, v23, vcc
	global_load_dword v3, v[13:14], off
	global_load_dword v5, v[15:16], off
	s_waitcnt vmcnt(1)
	v_fmac_f32_e32 v10, v3, v26
	s_waitcnt vmcnt(0)
	v_fmac_f32_e32 v10, v5, v27
	v_add_u32_e32 v5, -7, v4
	v_lshlrev_b64 v[13:14], 2, v[5:6]
	v_add_u32_e32 v5, -6, v4
	v_add_co_u32_e32 v13, vcc, s12, v13
	v_lshlrev_b64 v[15:16], 2, v[5:6]
	v_addc_co_u32_e32 v14, vcc, v11, v14, vcc
	v_add_co_u32_e32 v15, vcc, s12, v15
	v_addc_co_u32_e32 v16, vcc, v11, v16, vcc
	global_load_dword v3, v[13:14], off
	global_load_dword v5, v[15:16], off
	s_waitcnt vmcnt(1)
	v_fmac_f32_e32 v10, v3, v28
	s_waitcnt vmcnt(0)
	v_fmac_f32_e32 v10, v5, v29
	v_add_u32_e32 v5, -15, v4
	v_lshlrev_b64 v[13:14], 2, v[5:6]
	v_add_u32_e32 v5, 4, v19
	v_add_co_u32_e32 v13, vcc, s12, v13
	v_lshlrev_b64 v[15:16], 2, v[5:6]
	v_addc_co_u32_e32 v14, vcc, v11, v14, vcc
	v_add_u32_e32 v5, -5, v4
	v_add_co_u32_e32 v15, vcc, s14, v15
	v_lshlrev_b64 v[17:18], 2, v[5:6]
	v_addc_co_u32_e32 v16, vcc, v12, v16, vcc
	v_add_u32_e32 v5, -14, v4
	;; [unrolled: 4-line block ×3, first 2 shown]
	v_add_co_u32_e32 v20, vcc, s12, v20
	v_lshlrev_b64 v[22:23], 2, v[5:6]
	v_addc_co_u32_e32 v21, vcc, v11, v21, vcc
	v_add_co_u32_e32 v22, vcc, s12, v22
	v_addc_co_u32_e32 v23, vcc, v11, v23, vcc
	global_load_dword v3, v[13:14], off
	global_load_dword v5, v[17:18], off
	;; [unrolled: 1-line block ×4, first 2 shown]
	global_load_dwordx2 v[24:25], v[15:16], off
	s_waitcnt vmcnt(0)
	v_fmac_f32_e32 v10, v5, v24
	v_add_u32_e32 v5, -13, v4
	v_lshlrev_b64 v[13:14], 2, v[5:6]
	v_add_u32_e32 v5, 6, v19
	v_add_co_u32_e32 v13, vcc, s12, v13
	v_lshlrev_b64 v[15:16], 2, v[5:6]
	v_addc_co_u32_e32 v14, vcc, v11, v14, vcc
	v_add_u32_e32 v5, -3, v4
	v_add_co_u32_e32 v15, vcc, s14, v15
	v_lshlrev_b64 v[17:18], 2, v[5:6]
	v_addc_co_u32_e32 v16, vcc, v12, v16, vcc
	v_add_u32_e32 v5, -12, v4
	;; [unrolled: 4-line block ×3, first 2 shown]
	v_add_co_u32_e32 v20, vcc, s12, v20
	v_lshlrev_b64 v[22:23], 2, v[5:6]
	v_addc_co_u32_e32 v21, vcc, v11, v21, vcc
	v_fmac_f32_e32 v9, v3, v24
	v_add_co_u32_e32 v22, vcc, s12, v22
	v_fmac_f32_e32 v9, v26, v25
	v_fmac_f32_e32 v10, v27, v25
	v_addc_co_u32_e32 v23, vcc, v11, v23, vcc
	global_load_dword v3, v[13:14], off
	global_load_dword v5, v[17:18], off
	;; [unrolled: 1-line block ×4, first 2 shown]
	global_load_dwordx2 v[24:25], v[15:16], off
	s_waitcnt vmcnt(0)
	v_fmac_f32_e32 v10, v5, v24
	v_mov_b32_e32 v5, v6
	v_lshlrev_b64 v[13:14], 2, v[4:5]
	v_add_u32_e32 v5, -11, v4
	v_add_co_u32_e32 v13, vcc, s12, v13
	v_lshlrev_b64 v[15:16], 2, v[5:6]
	v_addc_co_u32_e32 v14, vcc, v11, v14, vcc
	v_add_u32_e32 v5, 8, v19
	v_add_co_u32_e32 v15, vcc, s12, v15
	v_lshlrev_b64 v[17:18], 2, v[5:6]
	v_addc_co_u32_e32 v16, vcc, v11, v16, vcc
	v_add_u32_e32 v5, -1, v4
	v_add_co_u32_e32 v17, vcc, s14, v17
	v_lshlrev_b64 v[19:20], 2, v[5:6]
	v_addc_co_u32_e32 v18, vcc, v12, v18, vcc
	v_add_u32_e32 v5, -10, v4
	v_add_co_u32_e32 v19, vcc, s12, v19
	v_lshlrev_b64 v[21:22], 2, v[5:6]
	v_addc_co_u32_e32 v20, vcc, v11, v20, vcc
	v_fmac_f32_e32 v9, v3, v24
	v_add_co_u32_e32 v21, vcc, s12, v21
	v_fmac_f32_e32 v9, v26, v25
	v_fmac_f32_e32 v10, v27, v25
	v_addc_co_u32_e32 v22, vcc, v11, v22, vcc
	global_load_dword v3, v[13:14], off
	global_load_dword v5, v[15:16], off
	global_load_dword v25, v[19:20], off
	global_load_dword v26, v[21:22], off
	global_load_dwordx2 v[23:24], v[17:18], off
	v_cmp_ge_i32_e32 vcc, v2, v8
	s_or_b64 s[0:1], vcc, s[0:1]
	v_add_u32_e32 v4, 0xa0, v4
	s_waitcnt vmcnt(0)
	v_fmac_f32_e32 v9, v5, v23
	v_fmac_f32_e32 v10, v25, v23
	;; [unrolled: 1-line block ×4, first 2 shown]
	s_andn2_b64 exec, exec, s[0:1]
	s_cbranch_execnz .LBB41_15
; %bb.16:
	s_or_b64 exec, exec, s[0:1]
.LBB41_17:
	s_or_b64 exec, exec, s[6:7]
.LBB41_18:
	v_mov_b32_dpp v2, v9 row_shr:1 row_mask:0xf bank_mask:0xf
	v_mov_b32_dpp v4, v10 row_shr:1 row_mask:0xf bank_mask:0xf
	v_add_f32_e32 v2, v9, v2
	v_add_f32_e32 v4, v10, v4
	v_cmp_eq_u32_e32 vcc, 7, v0
	v_mov_b32_dpp v3, v2 row_shr:2 row_mask:0xf bank_mask:0xf
	v_mov_b32_dpp v5, v4 row_shr:2 row_mask:0xf bank_mask:0xf
	v_add_f32_e32 v2, v2, v3
	v_add_f32_e32 v4, v4, v5
	s_nop 0
	v_mov_b32_dpp v3, v2 row_shr:4 row_mask:0xf bank_mask:0xe
	v_mov_b32_dpp v5, v4 row_shr:4 row_mask:0xf bank_mask:0xe
	s_and_b64 exec, exec, vcc
	s_cbranch_execz .LBB41_22
; %bb.19:
	s_load_dwordx2 s[0:1], s[4:5], 0x38
	v_add_f32_e32 v0, v2, v3
	v_add_f32_e32 v3, v4, v5
	v_cmp_eq_f32_e64 s[4:5], s2, 0
	s_and_b64 vcc, exec, s[4:5]
	v_mul_f32_e32 v2, s16, v0
	v_mul_f32_e32 v3, s16, v3
	v_lshlrev_b32_e32 v0, 1, v1
	s_cbranch_vccz .LBB41_23
; %bb.20:
	v_ashrrev_i32_e32 v1, 31, v0
	v_lshlrev_b64 v[4:5], 2, v[0:1]
	s_waitcnt lgkmcnt(0)
	v_mov_b32_e32 v1, s1
	v_add_co_u32_e32 v4, vcc, s0, v4
	v_addc_co_u32_e32 v5, vcc, v1, v5, vcc
	global_store_dwordx2 v[4:5], v[2:3], off
	s_cbranch_execnz .LBB41_22
.LBB41_21:
	v_ashrrev_i32_e32 v1, 31, v0
	v_lshlrev_b64 v[0:1], 2, v[0:1]
	s_waitcnt lgkmcnt(0)
	v_mov_b32_e32 v4, s1
	v_add_co_u32_e32 v0, vcc, s0, v0
	v_addc_co_u32_e32 v1, vcc, v4, v1, vcc
	global_load_dwordx2 v[4:5], v[0:1], off
	s_waitcnt vmcnt(0)
	v_fmac_f32_e32 v2, s2, v4
	v_fmac_f32_e32 v3, s2, v5
	global_store_dwordx2 v[0:1], v[2:3], off
.LBB41_22:
	s_endpgm
.LBB41_23:
	s_branch .LBB41_21
	.section	.rodata,"a",@progbits
	.p2align	6, 0x0
	.amdhsa_kernel _ZN9rocsparseL19gebsrmvn_2xn_kernelILj128ELj10ELj8EfEEvi20rocsparse_direction_NS_24const_host_device_scalarIT2_EEPKiS6_PKS3_S8_S4_PS3_21rocsparse_index_base_b
		.amdhsa_group_segment_fixed_size 0
		.amdhsa_private_segment_fixed_size 0
		.amdhsa_kernarg_size 72
		.amdhsa_user_sgpr_count 6
		.amdhsa_user_sgpr_private_segment_buffer 1
		.amdhsa_user_sgpr_dispatch_ptr 0
		.amdhsa_user_sgpr_queue_ptr 0
		.amdhsa_user_sgpr_kernarg_segment_ptr 1
		.amdhsa_user_sgpr_dispatch_id 0
		.amdhsa_user_sgpr_flat_scratch_init 0
		.amdhsa_user_sgpr_private_segment_size 0
		.amdhsa_uses_dynamic_stack 0
		.amdhsa_system_sgpr_private_segment_wavefront_offset 0
		.amdhsa_system_sgpr_workgroup_id_x 1
		.amdhsa_system_sgpr_workgroup_id_y 0
		.amdhsa_system_sgpr_workgroup_id_z 0
		.amdhsa_system_sgpr_workgroup_info 0
		.amdhsa_system_vgpr_workitem_id 0
		.amdhsa_next_free_vgpr 30
		.amdhsa_next_free_sgpr 20
		.amdhsa_reserve_vcc 1
		.amdhsa_reserve_flat_scratch 0
		.amdhsa_float_round_mode_32 0
		.amdhsa_float_round_mode_16_64 0
		.amdhsa_float_denorm_mode_32 3
		.amdhsa_float_denorm_mode_16_64 3
		.amdhsa_dx10_clamp 1
		.amdhsa_ieee_mode 1
		.amdhsa_fp16_overflow 0
		.amdhsa_exception_fp_ieee_invalid_op 0
		.amdhsa_exception_fp_denorm_src 0
		.amdhsa_exception_fp_ieee_div_zero 0
		.amdhsa_exception_fp_ieee_overflow 0
		.amdhsa_exception_fp_ieee_underflow 0
		.amdhsa_exception_fp_ieee_inexact 0
		.amdhsa_exception_int_div_zero 0
	.end_amdhsa_kernel
	.section	.text._ZN9rocsparseL19gebsrmvn_2xn_kernelILj128ELj10ELj8EfEEvi20rocsparse_direction_NS_24const_host_device_scalarIT2_EEPKiS6_PKS3_S8_S4_PS3_21rocsparse_index_base_b,"axG",@progbits,_ZN9rocsparseL19gebsrmvn_2xn_kernelILj128ELj10ELj8EfEEvi20rocsparse_direction_NS_24const_host_device_scalarIT2_EEPKiS6_PKS3_S8_S4_PS3_21rocsparse_index_base_b,comdat
.Lfunc_end41:
	.size	_ZN9rocsparseL19gebsrmvn_2xn_kernelILj128ELj10ELj8EfEEvi20rocsparse_direction_NS_24const_host_device_scalarIT2_EEPKiS6_PKS3_S8_S4_PS3_21rocsparse_index_base_b, .Lfunc_end41-_ZN9rocsparseL19gebsrmvn_2xn_kernelILj128ELj10ELj8EfEEvi20rocsparse_direction_NS_24const_host_device_scalarIT2_EEPKiS6_PKS3_S8_S4_PS3_21rocsparse_index_base_b
                                        ; -- End function
	.set _ZN9rocsparseL19gebsrmvn_2xn_kernelILj128ELj10ELj8EfEEvi20rocsparse_direction_NS_24const_host_device_scalarIT2_EEPKiS6_PKS3_S8_S4_PS3_21rocsparse_index_base_b.num_vgpr, 30
	.set _ZN9rocsparseL19gebsrmvn_2xn_kernelILj128ELj10ELj8EfEEvi20rocsparse_direction_NS_24const_host_device_scalarIT2_EEPKiS6_PKS3_S8_S4_PS3_21rocsparse_index_base_b.num_agpr, 0
	.set _ZN9rocsparseL19gebsrmvn_2xn_kernelILj128ELj10ELj8EfEEvi20rocsparse_direction_NS_24const_host_device_scalarIT2_EEPKiS6_PKS3_S8_S4_PS3_21rocsparse_index_base_b.numbered_sgpr, 20
	.set _ZN9rocsparseL19gebsrmvn_2xn_kernelILj128ELj10ELj8EfEEvi20rocsparse_direction_NS_24const_host_device_scalarIT2_EEPKiS6_PKS3_S8_S4_PS3_21rocsparse_index_base_b.num_named_barrier, 0
	.set _ZN9rocsparseL19gebsrmvn_2xn_kernelILj128ELj10ELj8EfEEvi20rocsparse_direction_NS_24const_host_device_scalarIT2_EEPKiS6_PKS3_S8_S4_PS3_21rocsparse_index_base_b.private_seg_size, 0
	.set _ZN9rocsparseL19gebsrmvn_2xn_kernelILj128ELj10ELj8EfEEvi20rocsparse_direction_NS_24const_host_device_scalarIT2_EEPKiS6_PKS3_S8_S4_PS3_21rocsparse_index_base_b.uses_vcc, 1
	.set _ZN9rocsparseL19gebsrmvn_2xn_kernelILj128ELj10ELj8EfEEvi20rocsparse_direction_NS_24const_host_device_scalarIT2_EEPKiS6_PKS3_S8_S4_PS3_21rocsparse_index_base_b.uses_flat_scratch, 0
	.set _ZN9rocsparseL19gebsrmvn_2xn_kernelILj128ELj10ELj8EfEEvi20rocsparse_direction_NS_24const_host_device_scalarIT2_EEPKiS6_PKS3_S8_S4_PS3_21rocsparse_index_base_b.has_dyn_sized_stack, 0
	.set _ZN9rocsparseL19gebsrmvn_2xn_kernelILj128ELj10ELj8EfEEvi20rocsparse_direction_NS_24const_host_device_scalarIT2_EEPKiS6_PKS3_S8_S4_PS3_21rocsparse_index_base_b.has_recursion, 0
	.set _ZN9rocsparseL19gebsrmvn_2xn_kernelILj128ELj10ELj8EfEEvi20rocsparse_direction_NS_24const_host_device_scalarIT2_EEPKiS6_PKS3_S8_S4_PS3_21rocsparse_index_base_b.has_indirect_call, 0
	.section	.AMDGPU.csdata,"",@progbits
; Kernel info:
; codeLenInByte = 1964
; TotalNumSgprs: 24
; NumVgprs: 30
; ScratchSize: 0
; MemoryBound: 0
; FloatMode: 240
; IeeeMode: 1
; LDSByteSize: 0 bytes/workgroup (compile time only)
; SGPRBlocks: 2
; VGPRBlocks: 7
; NumSGPRsForWavesPerEU: 24
; NumVGPRsForWavesPerEU: 30
; Occupancy: 8
; WaveLimiterHint : 1
; COMPUTE_PGM_RSRC2:SCRATCH_EN: 0
; COMPUTE_PGM_RSRC2:USER_SGPR: 6
; COMPUTE_PGM_RSRC2:TRAP_HANDLER: 0
; COMPUTE_PGM_RSRC2:TGID_X_EN: 1
; COMPUTE_PGM_RSRC2:TGID_Y_EN: 0
; COMPUTE_PGM_RSRC2:TGID_Z_EN: 0
; COMPUTE_PGM_RSRC2:TIDIG_COMP_CNT: 0
	.section	.text._ZN9rocsparseL19gebsrmvn_2xn_kernelILj128ELj10ELj16EfEEvi20rocsparse_direction_NS_24const_host_device_scalarIT2_EEPKiS6_PKS3_S8_S4_PS3_21rocsparse_index_base_b,"axG",@progbits,_ZN9rocsparseL19gebsrmvn_2xn_kernelILj128ELj10ELj16EfEEvi20rocsparse_direction_NS_24const_host_device_scalarIT2_EEPKiS6_PKS3_S8_S4_PS3_21rocsparse_index_base_b,comdat
	.globl	_ZN9rocsparseL19gebsrmvn_2xn_kernelILj128ELj10ELj16EfEEvi20rocsparse_direction_NS_24const_host_device_scalarIT2_EEPKiS6_PKS3_S8_S4_PS3_21rocsparse_index_base_b ; -- Begin function _ZN9rocsparseL19gebsrmvn_2xn_kernelILj128ELj10ELj16EfEEvi20rocsparse_direction_NS_24const_host_device_scalarIT2_EEPKiS6_PKS3_S8_S4_PS3_21rocsparse_index_base_b
	.p2align	8
	.type	_ZN9rocsparseL19gebsrmvn_2xn_kernelILj128ELj10ELj16EfEEvi20rocsparse_direction_NS_24const_host_device_scalarIT2_EEPKiS6_PKS3_S8_S4_PS3_21rocsparse_index_base_b,@function
_ZN9rocsparseL19gebsrmvn_2xn_kernelILj128ELj10ELj16EfEEvi20rocsparse_direction_NS_24const_host_device_scalarIT2_EEPKiS6_PKS3_S8_S4_PS3_21rocsparse_index_base_b: ; @_ZN9rocsparseL19gebsrmvn_2xn_kernelILj128ELj10ELj16EfEEvi20rocsparse_direction_NS_24const_host_device_scalarIT2_EEPKiS6_PKS3_S8_S4_PS3_21rocsparse_index_base_b
; %bb.0:
	s_load_dwordx2 s[18:19], s[4:5], 0x40
	s_load_dwordx2 s[16:17], s[4:5], 0x8
	;; [unrolled: 1-line block ×3, first 2 shown]
	s_waitcnt lgkmcnt(0)
	s_bitcmp1_b32 s19, 0
	s_cselect_b64 s[8:9], -1, 0
	s_xor_b64 s[0:1], s[8:9], -1
	s_and_b64 vcc, exec, s[8:9]
	s_cbranch_vccnz .LBB42_2
; %bb.1:
	s_load_dword s16, s[16:17], 0x0
.LBB42_2:
	s_andn2_b64 vcc, exec, s[0:1]
	s_cbranch_vccnz .LBB42_4
; %bb.3:
	s_load_dword s2, s[2:3], 0x0
.LBB42_4:
	s_waitcnt lgkmcnt(0)
	v_cmp_eq_f32_e64 s[0:1], s16, 0
	v_cmp_eq_f32_e64 s[8:9], s2, 1.0
	s_and_b64 s[0:1], s[0:1], s[8:9]
	s_and_b64 vcc, exec, s[0:1]
	s_cbranch_vccnz .LBB42_22
; %bb.5:
	s_load_dwordx2 s[0:1], s[4:5], 0x0
	v_lshrrev_b32_e32 v1, 4, v0
	v_lshl_or_b32 v1, s6, 3, v1
	s_waitcnt lgkmcnt(0)
	v_cmp_gt_i32_e32 vcc, s0, v1
	s_and_saveexec_b64 s[6:7], vcc
	s_cbranch_execz .LBB42_22
; %bb.6:
	s_load_dwordx8 s[8:15], s[4:5], 0x10
	v_ashrrev_i32_e32 v2, 31, v1
	v_lshlrev_b64 v[2:3], 2, v[1:2]
	v_and_b32_e32 v0, 15, v0
	s_cmp_lg_u32 s1, 0
	s_waitcnt lgkmcnt(0)
	v_mov_b32_e32 v4, s9
	v_add_co_u32_e32 v2, vcc, s8, v2
	v_addc_co_u32_e32 v3, vcc, v4, v3, vcc
	global_load_dwordx2 v[2:3], v[2:3], off
	s_waitcnt vmcnt(0)
	v_subrev_u32_e32 v2, s18, v2
	v_subrev_u32_e32 v8, s18, v3
	v_add_u32_e32 v2, v2, v0
	v_cmp_lt_i32_e64 s[0:1], v2, v8
	s_cbranch_scc0 .LBB42_12
; %bb.7:
	v_mov_b32_e32 v9, 0
	v_mov_b32_e32 v10, 0
	s_and_saveexec_b64 s[6:7], s[0:1]
	s_cbranch_execz .LBB42_11
; %bb.8:
	v_mad_u64_u32 v[3:4], s[8:9], v2, 20, 18
	v_mov_b32_e32 v5, 0
	s_mov_b64 s[8:9], 0
	v_mov_b32_e32 v11, s11
	v_mov_b32_e32 v12, s13
	;; [unrolled: 1-line block ×6, first 2 shown]
.LBB42_9:                               ; =>This Inner Loop Header: Depth=1
	v_ashrrev_i32_e32 v7, 31, v6
	v_lshlrev_b64 v[14:15], 2, v[6:7]
	v_subrev_u32_e32 v4, 18, v3
	v_add_co_u32_e32 v14, vcc, s10, v14
	v_addc_co_u32_e32 v15, vcc, v11, v15, vcc
	v_lshlrev_b64 v[16:17], 2, v[4:5]
	global_load_dword v4, v[14:15], off
	v_mov_b32_e32 v21, v5
	v_add_co_u32_e32 v18, vcc, s12, v16
	v_addc_co_u32_e32 v19, vcc, v12, v17, vcc
	v_add_u32_e32 v6, 16, v6
	s_waitcnt vmcnt(0)
	v_subrev_u32_e32 v4, s18, v4
	v_mul_lo_u32 v20, v4, 10
	v_add_u32_e32 v4, -14, v3
	v_lshlrev_b64 v[14:15], 2, v[20:21]
	v_add_co_u32_e32 v21, vcc, s14, v14
	v_addc_co_u32_e32 v22, vcc, v13, v15, vcc
	global_load_dwordx2 v[23:24], v[21:22], off
	global_load_dwordx4 v[14:17], v[18:19], off
	s_waitcnt vmcnt(0)
	v_fmac_f32_e32 v9, v14, v23
	v_fmac_f32_e32 v10, v15, v23
	v_lshlrev_b64 v[14:15], 2, v[4:5]
	v_add_u32_e32 v4, 2, v20
	v_fmac_f32_e32 v9, v16, v24
	v_fmac_f32_e32 v10, v17, v24
	v_add_co_u32_e32 v14, vcc, s12, v14
	v_lshlrev_b64 v[16:17], 2, v[4:5]
	v_addc_co_u32_e32 v15, vcc, v12, v15, vcc
	v_add_u32_e32 v4, -12, v3
	v_add_co_u32_e32 v16, vcc, s14, v16
	v_lshlrev_b64 v[18:19], 2, v[4:5]
	v_addc_co_u32_e32 v17, vcc, v13, v17, vcc
	v_add_co_u32_e32 v18, vcc, s12, v18
	v_addc_co_u32_e32 v19, vcc, v12, v19, vcc
	global_load_dwordx2 v[21:22], v[14:15], off
	global_load_dwordx2 v[23:24], v[16:17], off
	v_add_u32_e32 v4, -10, v3
	global_load_dwordx2 v[14:15], v[18:19], off
	s_waitcnt vmcnt(1)
	v_fmac_f32_e32 v9, v21, v23
	v_fmac_f32_e32 v10, v22, v23
	s_waitcnt vmcnt(0)
	v_fmac_f32_e32 v9, v14, v24
	v_fmac_f32_e32 v10, v15, v24
	v_lshlrev_b64 v[14:15], 2, v[4:5]
	v_add_u32_e32 v4, 4, v20
	v_add_co_u32_e32 v14, vcc, s12, v14
	v_lshlrev_b64 v[16:17], 2, v[4:5]
	v_addc_co_u32_e32 v15, vcc, v12, v15, vcc
	v_add_u32_e32 v4, -8, v3
	v_add_co_u32_e32 v16, vcc, s14, v16
	v_lshlrev_b64 v[18:19], 2, v[4:5]
	v_addc_co_u32_e32 v17, vcc, v13, v17, vcc
	v_add_co_u32_e32 v18, vcc, s12, v18
	v_addc_co_u32_e32 v19, vcc, v12, v19, vcc
	global_load_dwordx2 v[21:22], v[14:15], off
	global_load_dwordx2 v[23:24], v[16:17], off
	v_add_u32_e32 v4, -6, v3
	global_load_dwordx2 v[14:15], v[18:19], off
	s_waitcnt vmcnt(1)
	v_fmac_f32_e32 v9, v21, v23
	v_fmac_f32_e32 v10, v22, v23
	s_waitcnt vmcnt(0)
	v_fmac_f32_e32 v9, v14, v24
	v_fmac_f32_e32 v10, v15, v24
	v_lshlrev_b64 v[14:15], 2, v[4:5]
	v_add_u32_e32 v4, 6, v20
	v_add_co_u32_e32 v14, vcc, s12, v14
	v_lshlrev_b64 v[16:17], 2, v[4:5]
	v_addc_co_u32_e32 v15, vcc, v12, v15, vcc
	v_add_u32_e32 v4, -4, v3
	v_add_co_u32_e32 v16, vcc, s14, v16
	v_lshlrev_b64 v[18:19], 2, v[4:5]
	v_addc_co_u32_e32 v17, vcc, v13, v17, vcc
	v_add_co_u32_e32 v18, vcc, s12, v18
	v_addc_co_u32_e32 v19, vcc, v12, v19, vcc
	global_load_dwordx2 v[21:22], v[14:15], off
	global_load_dwordx2 v[23:24], v[16:17], off
	v_mov_b32_e32 v4, v5
	global_load_dwordx2 v[14:15], v[18:19], off
	s_waitcnt vmcnt(1)
	v_fmac_f32_e32 v9, v21, v23
	v_fmac_f32_e32 v10, v22, v23
	s_waitcnt vmcnt(0)
	v_fmac_f32_e32 v9, v14, v24
	v_fmac_f32_e32 v10, v15, v24
	v_lshlrev_b64 v[14:15], 2, v[3:4]
	v_add_u32_e32 v4, -2, v3
	v_add_co_u32_e32 v14, vcc, s12, v14
	v_lshlrev_b64 v[16:17], 2, v[4:5]
	v_addc_co_u32_e32 v15, vcc, v12, v15, vcc
	v_add_u32_e32 v4, 8, v20
	v_add_co_u32_e32 v16, vcc, s12, v16
	v_lshlrev_b64 v[18:19], 2, v[4:5]
	v_addc_co_u32_e32 v17, vcc, v12, v17, vcc
	v_add_co_u32_e32 v18, vcc, s14, v18
	v_addc_co_u32_e32 v19, vcc, v13, v19, vcc
	global_load_dwordx2 v[20:21], v[16:17], off
	global_load_dwordx2 v[22:23], v[18:19], off
	v_cmp_ge_i32_e32 vcc, v6, v8
	global_load_dwordx2 v[14:15], v[14:15], off
	s_or_b64 s[8:9], vcc, s[8:9]
	v_add_u32_e32 v3, 0x140, v3
	s_waitcnt vmcnt(1)
	v_fmac_f32_e32 v9, v20, v22
	v_fmac_f32_e32 v10, v21, v22
	s_waitcnt vmcnt(0)
	v_fmac_f32_e32 v9, v14, v23
	v_fmac_f32_e32 v10, v15, v23
	s_andn2_b64 exec, exec, s[8:9]
	s_cbranch_execnz .LBB42_9
; %bb.10:
	s_or_b64 exec, exec, s[8:9]
.LBB42_11:
	s_or_b64 exec, exec, s[6:7]
	s_cbranch_execz .LBB42_13
	s_branch .LBB42_18
.LBB42_12:
                                        ; implicit-def: $vgpr9
                                        ; implicit-def: $vgpr10
.LBB42_13:
	v_mov_b32_e32 v9, 0
	v_mov_b32_e32 v10, 0
	s_and_saveexec_b64 s[6:7], s[0:1]
	s_cbranch_execz .LBB42_17
; %bb.14:
	v_mad_u64_u32 v[4:5], s[0:1], v2, 20, 19
	v_mov_b32_e32 v6, 0
	s_mov_b64 s[0:1], 0
	v_mov_b32_e32 v7, s11
	v_mov_b32_e32 v11, s13
	;; [unrolled: 1-line block ×5, first 2 shown]
.LBB42_15:                              ; =>This Inner Loop Header: Depth=1
	v_ashrrev_i32_e32 v3, 31, v2
	v_lshlrev_b64 v[13:14], 2, v[2:3]
	v_subrev_u32_e32 v5, 19, v4
	v_add_co_u32_e32 v13, vcc, s10, v13
	v_addc_co_u32_e32 v14, vcc, v7, v14, vcc
	global_load_dword v3, v[13:14], off
	v_lshlrev_b64 v[15:16], 2, v[5:6]
	v_mov_b32_e32 v20, v6
	v_add_co_u32_e32 v17, vcc, s12, v15
	v_addc_co_u32_e32 v18, vcc, v11, v16, vcc
	v_add_u32_e32 v5, -8, v4
	v_lshlrev_b64 v[22:23], 2, v[5:6]
	v_add_u32_e32 v2, 16, v2
	s_waitcnt vmcnt(0)
	v_subrev_u32_e32 v3, s18, v3
	v_mul_lo_u32 v19, v3, 10
	v_lshlrev_b64 v[13:14], 2, v[19:20]
	v_add_u32_e32 v5, 2, v19
	v_add_co_u32_e32 v20, vcc, s14, v13
	v_addc_co_u32_e32 v21, vcc, v12, v14, vcc
	v_lshlrev_b64 v[13:14], 2, v[5:6]
	v_add_co_u32_e32 v24, vcc, s14, v13
	v_addc_co_u32_e32 v25, vcc, v12, v14, vcc
	global_load_dwordx2 v[26:27], v[20:21], off
	global_load_dwordx2 v[28:29], v[24:25], off
	global_load_dwordx4 v[13:16], v[17:18], off
	s_waitcnt vmcnt(0)
	v_fmac_f32_e32 v9, v13, v26
	v_fmac_f32_e32 v9, v14, v27
	v_add_u32_e32 v13, -9, v4
	v_mov_b32_e32 v14, v6
	v_lshlrev_b64 v[13:14], 2, v[13:14]
	v_fmac_f32_e32 v9, v15, v28
	v_add_co_u32_e32 v13, vcc, s12, v13
	v_addc_co_u32_e32 v14, vcc, v11, v14, vcc
	v_add_co_u32_e32 v15, vcc, s12, v22
	v_fmac_f32_e32 v9, v16, v29
	v_addc_co_u32_e32 v16, vcc, v11, v23, vcc
	global_load_dword v3, v[13:14], off
	global_load_dword v5, v[15:16], off
	s_waitcnt vmcnt(1)
	v_fmac_f32_e32 v10, v3, v26
	s_waitcnt vmcnt(0)
	v_fmac_f32_e32 v10, v5, v27
	v_add_u32_e32 v5, -7, v4
	v_lshlrev_b64 v[13:14], 2, v[5:6]
	v_add_u32_e32 v5, -6, v4
	v_add_co_u32_e32 v13, vcc, s12, v13
	v_lshlrev_b64 v[15:16], 2, v[5:6]
	v_addc_co_u32_e32 v14, vcc, v11, v14, vcc
	v_add_co_u32_e32 v15, vcc, s12, v15
	v_addc_co_u32_e32 v16, vcc, v11, v16, vcc
	global_load_dword v3, v[13:14], off
	global_load_dword v5, v[15:16], off
	s_waitcnt vmcnt(1)
	v_fmac_f32_e32 v10, v3, v28
	s_waitcnt vmcnt(0)
	v_fmac_f32_e32 v10, v5, v29
	v_add_u32_e32 v5, -15, v4
	v_lshlrev_b64 v[13:14], 2, v[5:6]
	v_add_u32_e32 v5, 4, v19
	v_add_co_u32_e32 v13, vcc, s12, v13
	v_lshlrev_b64 v[15:16], 2, v[5:6]
	v_addc_co_u32_e32 v14, vcc, v11, v14, vcc
	v_add_u32_e32 v5, -5, v4
	v_add_co_u32_e32 v15, vcc, s14, v15
	v_lshlrev_b64 v[17:18], 2, v[5:6]
	v_addc_co_u32_e32 v16, vcc, v12, v16, vcc
	v_add_u32_e32 v5, -14, v4
	;; [unrolled: 4-line block ×3, first 2 shown]
	v_add_co_u32_e32 v20, vcc, s12, v20
	v_lshlrev_b64 v[22:23], 2, v[5:6]
	v_addc_co_u32_e32 v21, vcc, v11, v21, vcc
	v_add_co_u32_e32 v22, vcc, s12, v22
	v_addc_co_u32_e32 v23, vcc, v11, v23, vcc
	global_load_dword v3, v[13:14], off
	global_load_dword v5, v[17:18], off
	;; [unrolled: 1-line block ×4, first 2 shown]
	global_load_dwordx2 v[24:25], v[15:16], off
	s_waitcnt vmcnt(0)
	v_fmac_f32_e32 v10, v5, v24
	v_add_u32_e32 v5, -13, v4
	v_lshlrev_b64 v[13:14], 2, v[5:6]
	v_add_u32_e32 v5, 6, v19
	v_add_co_u32_e32 v13, vcc, s12, v13
	v_lshlrev_b64 v[15:16], 2, v[5:6]
	v_addc_co_u32_e32 v14, vcc, v11, v14, vcc
	v_add_u32_e32 v5, -3, v4
	v_add_co_u32_e32 v15, vcc, s14, v15
	v_lshlrev_b64 v[17:18], 2, v[5:6]
	v_addc_co_u32_e32 v16, vcc, v12, v16, vcc
	v_add_u32_e32 v5, -12, v4
	;; [unrolled: 4-line block ×3, first 2 shown]
	v_add_co_u32_e32 v20, vcc, s12, v20
	v_lshlrev_b64 v[22:23], 2, v[5:6]
	v_addc_co_u32_e32 v21, vcc, v11, v21, vcc
	v_fmac_f32_e32 v9, v3, v24
	v_add_co_u32_e32 v22, vcc, s12, v22
	v_fmac_f32_e32 v9, v26, v25
	v_fmac_f32_e32 v10, v27, v25
	v_addc_co_u32_e32 v23, vcc, v11, v23, vcc
	global_load_dword v3, v[13:14], off
	global_load_dword v5, v[17:18], off
	;; [unrolled: 1-line block ×4, first 2 shown]
	global_load_dwordx2 v[24:25], v[15:16], off
	s_waitcnt vmcnt(0)
	v_fmac_f32_e32 v10, v5, v24
	v_mov_b32_e32 v5, v6
	v_lshlrev_b64 v[13:14], 2, v[4:5]
	v_add_u32_e32 v5, -11, v4
	v_add_co_u32_e32 v13, vcc, s12, v13
	v_lshlrev_b64 v[15:16], 2, v[5:6]
	v_addc_co_u32_e32 v14, vcc, v11, v14, vcc
	v_add_u32_e32 v5, 8, v19
	v_add_co_u32_e32 v15, vcc, s12, v15
	v_lshlrev_b64 v[17:18], 2, v[5:6]
	v_addc_co_u32_e32 v16, vcc, v11, v16, vcc
	v_add_u32_e32 v5, -1, v4
	v_add_co_u32_e32 v17, vcc, s14, v17
	v_lshlrev_b64 v[19:20], 2, v[5:6]
	v_addc_co_u32_e32 v18, vcc, v12, v18, vcc
	v_add_u32_e32 v5, -10, v4
	v_add_co_u32_e32 v19, vcc, s12, v19
	v_lshlrev_b64 v[21:22], 2, v[5:6]
	v_addc_co_u32_e32 v20, vcc, v11, v20, vcc
	v_fmac_f32_e32 v9, v3, v24
	v_add_co_u32_e32 v21, vcc, s12, v21
	v_fmac_f32_e32 v9, v26, v25
	v_fmac_f32_e32 v10, v27, v25
	v_addc_co_u32_e32 v22, vcc, v11, v22, vcc
	global_load_dword v3, v[13:14], off
	global_load_dword v5, v[15:16], off
	;; [unrolled: 1-line block ×4, first 2 shown]
	global_load_dwordx2 v[23:24], v[17:18], off
	v_cmp_ge_i32_e32 vcc, v2, v8
	s_or_b64 s[0:1], vcc, s[0:1]
	v_add_u32_e32 v4, 0x140, v4
	s_waitcnt vmcnt(0)
	v_fmac_f32_e32 v9, v5, v23
	v_fmac_f32_e32 v10, v25, v23
	;; [unrolled: 1-line block ×4, first 2 shown]
	s_andn2_b64 exec, exec, s[0:1]
	s_cbranch_execnz .LBB42_15
; %bb.16:
	s_or_b64 exec, exec, s[0:1]
.LBB42_17:
	s_or_b64 exec, exec, s[6:7]
.LBB42_18:
	v_mov_b32_dpp v2, v9 row_shr:1 row_mask:0xf bank_mask:0xf
	v_mov_b32_dpp v4, v10 row_shr:1 row_mask:0xf bank_mask:0xf
	v_add_f32_e32 v2, v9, v2
	v_add_f32_e32 v4, v10, v4
	v_cmp_eq_u32_e32 vcc, 15, v0
	v_mov_b32_dpp v3, v2 row_shr:2 row_mask:0xf bank_mask:0xf
	v_mov_b32_dpp v5, v4 row_shr:2 row_mask:0xf bank_mask:0xf
	v_add_f32_e32 v2, v2, v3
	v_add_f32_e32 v4, v4, v5
	s_nop 0
	v_mov_b32_dpp v3, v2 row_shr:4 row_mask:0xf bank_mask:0xe
	v_mov_b32_dpp v5, v4 row_shr:4 row_mask:0xf bank_mask:0xe
	v_add_f32_e32 v2, v2, v3
	v_add_f32_e32 v4, v4, v5
	s_nop 0
	v_mov_b32_dpp v3, v2 row_shr:8 row_mask:0xf bank_mask:0xc
	v_mov_b32_dpp v5, v4 row_shr:8 row_mask:0xf bank_mask:0xc
	s_and_b64 exec, exec, vcc
	s_cbranch_execz .LBB42_22
; %bb.19:
	s_load_dwordx2 s[0:1], s[4:5], 0x38
	v_add_f32_e32 v0, v2, v3
	v_add_f32_e32 v3, v4, v5
	v_cmp_eq_f32_e64 s[4:5], s2, 0
	s_and_b64 vcc, exec, s[4:5]
	v_mul_f32_e32 v2, s16, v0
	v_mul_f32_e32 v3, s16, v3
	v_lshlrev_b32_e32 v0, 1, v1
	s_cbranch_vccz .LBB42_23
; %bb.20:
	v_ashrrev_i32_e32 v1, 31, v0
	v_lshlrev_b64 v[4:5], 2, v[0:1]
	s_waitcnt lgkmcnt(0)
	v_mov_b32_e32 v1, s1
	v_add_co_u32_e32 v4, vcc, s0, v4
	v_addc_co_u32_e32 v5, vcc, v1, v5, vcc
	global_store_dwordx2 v[4:5], v[2:3], off
	s_cbranch_execnz .LBB42_22
.LBB42_21:
	v_ashrrev_i32_e32 v1, 31, v0
	v_lshlrev_b64 v[0:1], 2, v[0:1]
	s_waitcnt lgkmcnt(0)
	v_mov_b32_e32 v4, s1
	v_add_co_u32_e32 v0, vcc, s0, v0
	v_addc_co_u32_e32 v1, vcc, v4, v1, vcc
	global_load_dwordx2 v[4:5], v[0:1], off
	s_waitcnt vmcnt(0)
	v_fmac_f32_e32 v2, s2, v4
	v_fmac_f32_e32 v3, s2, v5
	global_store_dwordx2 v[0:1], v[2:3], off
.LBB42_22:
	s_endpgm
.LBB42_23:
	s_branch .LBB42_21
	.section	.rodata,"a",@progbits
	.p2align	6, 0x0
	.amdhsa_kernel _ZN9rocsparseL19gebsrmvn_2xn_kernelILj128ELj10ELj16EfEEvi20rocsparse_direction_NS_24const_host_device_scalarIT2_EEPKiS6_PKS3_S8_S4_PS3_21rocsparse_index_base_b
		.amdhsa_group_segment_fixed_size 0
		.amdhsa_private_segment_fixed_size 0
		.amdhsa_kernarg_size 72
		.amdhsa_user_sgpr_count 6
		.amdhsa_user_sgpr_private_segment_buffer 1
		.amdhsa_user_sgpr_dispatch_ptr 0
		.amdhsa_user_sgpr_queue_ptr 0
		.amdhsa_user_sgpr_kernarg_segment_ptr 1
		.amdhsa_user_sgpr_dispatch_id 0
		.amdhsa_user_sgpr_flat_scratch_init 0
		.amdhsa_user_sgpr_private_segment_size 0
		.amdhsa_uses_dynamic_stack 0
		.amdhsa_system_sgpr_private_segment_wavefront_offset 0
		.amdhsa_system_sgpr_workgroup_id_x 1
		.amdhsa_system_sgpr_workgroup_id_y 0
		.amdhsa_system_sgpr_workgroup_id_z 0
		.amdhsa_system_sgpr_workgroup_info 0
		.amdhsa_system_vgpr_workitem_id 0
		.amdhsa_next_free_vgpr 30
		.amdhsa_next_free_sgpr 20
		.amdhsa_reserve_vcc 1
		.amdhsa_reserve_flat_scratch 0
		.amdhsa_float_round_mode_32 0
		.amdhsa_float_round_mode_16_64 0
		.amdhsa_float_denorm_mode_32 3
		.amdhsa_float_denorm_mode_16_64 3
		.amdhsa_dx10_clamp 1
		.amdhsa_ieee_mode 1
		.amdhsa_fp16_overflow 0
		.amdhsa_exception_fp_ieee_invalid_op 0
		.amdhsa_exception_fp_denorm_src 0
		.amdhsa_exception_fp_ieee_div_zero 0
		.amdhsa_exception_fp_ieee_overflow 0
		.amdhsa_exception_fp_ieee_underflow 0
		.amdhsa_exception_fp_ieee_inexact 0
		.amdhsa_exception_int_div_zero 0
	.end_amdhsa_kernel
	.section	.text._ZN9rocsparseL19gebsrmvn_2xn_kernelILj128ELj10ELj16EfEEvi20rocsparse_direction_NS_24const_host_device_scalarIT2_EEPKiS6_PKS3_S8_S4_PS3_21rocsparse_index_base_b,"axG",@progbits,_ZN9rocsparseL19gebsrmvn_2xn_kernelILj128ELj10ELj16EfEEvi20rocsparse_direction_NS_24const_host_device_scalarIT2_EEPKiS6_PKS3_S8_S4_PS3_21rocsparse_index_base_b,comdat
.Lfunc_end42:
	.size	_ZN9rocsparseL19gebsrmvn_2xn_kernelILj128ELj10ELj16EfEEvi20rocsparse_direction_NS_24const_host_device_scalarIT2_EEPKiS6_PKS3_S8_S4_PS3_21rocsparse_index_base_b, .Lfunc_end42-_ZN9rocsparseL19gebsrmvn_2xn_kernelILj128ELj10ELj16EfEEvi20rocsparse_direction_NS_24const_host_device_scalarIT2_EEPKiS6_PKS3_S8_S4_PS3_21rocsparse_index_base_b
                                        ; -- End function
	.set _ZN9rocsparseL19gebsrmvn_2xn_kernelILj128ELj10ELj16EfEEvi20rocsparse_direction_NS_24const_host_device_scalarIT2_EEPKiS6_PKS3_S8_S4_PS3_21rocsparse_index_base_b.num_vgpr, 30
	.set _ZN9rocsparseL19gebsrmvn_2xn_kernelILj128ELj10ELj16EfEEvi20rocsparse_direction_NS_24const_host_device_scalarIT2_EEPKiS6_PKS3_S8_S4_PS3_21rocsparse_index_base_b.num_agpr, 0
	.set _ZN9rocsparseL19gebsrmvn_2xn_kernelILj128ELj10ELj16EfEEvi20rocsparse_direction_NS_24const_host_device_scalarIT2_EEPKiS6_PKS3_S8_S4_PS3_21rocsparse_index_base_b.numbered_sgpr, 20
	.set _ZN9rocsparseL19gebsrmvn_2xn_kernelILj128ELj10ELj16EfEEvi20rocsparse_direction_NS_24const_host_device_scalarIT2_EEPKiS6_PKS3_S8_S4_PS3_21rocsparse_index_base_b.num_named_barrier, 0
	.set _ZN9rocsparseL19gebsrmvn_2xn_kernelILj128ELj10ELj16EfEEvi20rocsparse_direction_NS_24const_host_device_scalarIT2_EEPKiS6_PKS3_S8_S4_PS3_21rocsparse_index_base_b.private_seg_size, 0
	.set _ZN9rocsparseL19gebsrmvn_2xn_kernelILj128ELj10ELj16EfEEvi20rocsparse_direction_NS_24const_host_device_scalarIT2_EEPKiS6_PKS3_S8_S4_PS3_21rocsparse_index_base_b.uses_vcc, 1
	.set _ZN9rocsparseL19gebsrmvn_2xn_kernelILj128ELj10ELj16EfEEvi20rocsparse_direction_NS_24const_host_device_scalarIT2_EEPKiS6_PKS3_S8_S4_PS3_21rocsparse_index_base_b.uses_flat_scratch, 0
	.set _ZN9rocsparseL19gebsrmvn_2xn_kernelILj128ELj10ELj16EfEEvi20rocsparse_direction_NS_24const_host_device_scalarIT2_EEPKiS6_PKS3_S8_S4_PS3_21rocsparse_index_base_b.has_dyn_sized_stack, 0
	.set _ZN9rocsparseL19gebsrmvn_2xn_kernelILj128ELj10ELj16EfEEvi20rocsparse_direction_NS_24const_host_device_scalarIT2_EEPKiS6_PKS3_S8_S4_PS3_21rocsparse_index_base_b.has_recursion, 0
	.set _ZN9rocsparseL19gebsrmvn_2xn_kernelILj128ELj10ELj16EfEEvi20rocsparse_direction_NS_24const_host_device_scalarIT2_EEPKiS6_PKS3_S8_S4_PS3_21rocsparse_index_base_b.has_indirect_call, 0
	.section	.AMDGPU.csdata,"",@progbits
; Kernel info:
; codeLenInByte = 1992
; TotalNumSgprs: 24
; NumVgprs: 30
; ScratchSize: 0
; MemoryBound: 0
; FloatMode: 240
; IeeeMode: 1
; LDSByteSize: 0 bytes/workgroup (compile time only)
; SGPRBlocks: 2
; VGPRBlocks: 7
; NumSGPRsForWavesPerEU: 24
; NumVGPRsForWavesPerEU: 30
; Occupancy: 8
; WaveLimiterHint : 1
; COMPUTE_PGM_RSRC2:SCRATCH_EN: 0
; COMPUTE_PGM_RSRC2:USER_SGPR: 6
; COMPUTE_PGM_RSRC2:TRAP_HANDLER: 0
; COMPUTE_PGM_RSRC2:TGID_X_EN: 1
; COMPUTE_PGM_RSRC2:TGID_Y_EN: 0
; COMPUTE_PGM_RSRC2:TGID_Z_EN: 0
; COMPUTE_PGM_RSRC2:TIDIG_COMP_CNT: 0
	.section	.text._ZN9rocsparseL19gebsrmvn_2xn_kernelILj128ELj10ELj32EfEEvi20rocsparse_direction_NS_24const_host_device_scalarIT2_EEPKiS6_PKS3_S8_S4_PS3_21rocsparse_index_base_b,"axG",@progbits,_ZN9rocsparseL19gebsrmvn_2xn_kernelILj128ELj10ELj32EfEEvi20rocsparse_direction_NS_24const_host_device_scalarIT2_EEPKiS6_PKS3_S8_S4_PS3_21rocsparse_index_base_b,comdat
	.globl	_ZN9rocsparseL19gebsrmvn_2xn_kernelILj128ELj10ELj32EfEEvi20rocsparse_direction_NS_24const_host_device_scalarIT2_EEPKiS6_PKS3_S8_S4_PS3_21rocsparse_index_base_b ; -- Begin function _ZN9rocsparseL19gebsrmvn_2xn_kernelILj128ELj10ELj32EfEEvi20rocsparse_direction_NS_24const_host_device_scalarIT2_EEPKiS6_PKS3_S8_S4_PS3_21rocsparse_index_base_b
	.p2align	8
	.type	_ZN9rocsparseL19gebsrmvn_2xn_kernelILj128ELj10ELj32EfEEvi20rocsparse_direction_NS_24const_host_device_scalarIT2_EEPKiS6_PKS3_S8_S4_PS3_21rocsparse_index_base_b,@function
_ZN9rocsparseL19gebsrmvn_2xn_kernelILj128ELj10ELj32EfEEvi20rocsparse_direction_NS_24const_host_device_scalarIT2_EEPKiS6_PKS3_S8_S4_PS3_21rocsparse_index_base_b: ; @_ZN9rocsparseL19gebsrmvn_2xn_kernelILj128ELj10ELj32EfEEvi20rocsparse_direction_NS_24const_host_device_scalarIT2_EEPKiS6_PKS3_S8_S4_PS3_21rocsparse_index_base_b
; %bb.0:
	s_load_dwordx2 s[18:19], s[4:5], 0x40
	s_load_dwordx2 s[16:17], s[4:5], 0x8
	;; [unrolled: 1-line block ×3, first 2 shown]
	s_waitcnt lgkmcnt(0)
	s_bitcmp1_b32 s19, 0
	s_cselect_b64 s[8:9], -1, 0
	s_xor_b64 s[0:1], s[8:9], -1
	s_and_b64 vcc, exec, s[8:9]
	s_cbranch_vccnz .LBB43_2
; %bb.1:
	s_load_dword s16, s[16:17], 0x0
.LBB43_2:
	s_andn2_b64 vcc, exec, s[0:1]
	s_cbranch_vccnz .LBB43_4
; %bb.3:
	s_load_dword s2, s[2:3], 0x0
.LBB43_4:
	s_waitcnt lgkmcnt(0)
	v_cmp_eq_f32_e64 s[0:1], s16, 0
	v_cmp_eq_f32_e64 s[8:9], s2, 1.0
	s_and_b64 s[0:1], s[0:1], s[8:9]
	s_and_b64 vcc, exec, s[0:1]
	s_cbranch_vccnz .LBB43_22
; %bb.5:
	s_load_dwordx2 s[0:1], s[4:5], 0x0
	v_lshrrev_b32_e32 v1, 5, v0
	v_lshl_or_b32 v1, s6, 2, v1
	s_waitcnt lgkmcnt(0)
	v_cmp_gt_i32_e32 vcc, s0, v1
	s_and_saveexec_b64 s[6:7], vcc
	s_cbranch_execz .LBB43_22
; %bb.6:
	s_load_dwordx8 s[8:15], s[4:5], 0x10
	v_ashrrev_i32_e32 v2, 31, v1
	v_lshlrev_b64 v[2:3], 2, v[1:2]
	v_and_b32_e32 v0, 31, v0
	s_cmp_lg_u32 s1, 0
	s_waitcnt lgkmcnt(0)
	v_mov_b32_e32 v4, s9
	v_add_co_u32_e32 v2, vcc, s8, v2
	v_addc_co_u32_e32 v3, vcc, v4, v3, vcc
	global_load_dwordx2 v[2:3], v[2:3], off
	s_waitcnt vmcnt(0)
	v_subrev_u32_e32 v2, s18, v2
	v_subrev_u32_e32 v8, s18, v3
	v_add_u32_e32 v2, v2, v0
	v_cmp_lt_i32_e64 s[0:1], v2, v8
	s_cbranch_scc0 .LBB43_12
; %bb.7:
	v_mov_b32_e32 v10, 0
	v_mov_b32_e32 v9, 0
	s_and_saveexec_b64 s[6:7], s[0:1]
	s_cbranch_execz .LBB43_11
; %bb.8:
	v_mad_u64_u32 v[3:4], s[8:9], v2, 20, 18
	v_mov_b32_e32 v5, 0
	s_mov_b64 s[8:9], 0
	v_mov_b32_e32 v11, s11
	v_mov_b32_e32 v12, s13
	;; [unrolled: 1-line block ×6, first 2 shown]
.LBB43_9:                               ; =>This Inner Loop Header: Depth=1
	v_ashrrev_i32_e32 v7, 31, v6
	v_lshlrev_b64 v[14:15], 2, v[6:7]
	v_subrev_u32_e32 v4, 18, v3
	v_add_co_u32_e32 v14, vcc, s10, v14
	v_addc_co_u32_e32 v15, vcc, v11, v15, vcc
	v_lshlrev_b64 v[16:17], 2, v[4:5]
	global_load_dword v4, v[14:15], off
	v_mov_b32_e32 v21, v5
	v_add_co_u32_e32 v18, vcc, s12, v16
	v_addc_co_u32_e32 v19, vcc, v12, v17, vcc
	v_add_u32_e32 v6, 32, v6
	s_waitcnt vmcnt(0)
	v_subrev_u32_e32 v4, s18, v4
	v_mul_lo_u32 v20, v4, 10
	v_add_u32_e32 v4, -14, v3
	v_lshlrev_b64 v[14:15], 2, v[20:21]
	v_add_co_u32_e32 v21, vcc, s14, v14
	v_addc_co_u32_e32 v22, vcc, v13, v15, vcc
	global_load_dwordx2 v[23:24], v[21:22], off
	global_load_dwordx4 v[14:17], v[18:19], off
	s_waitcnt vmcnt(0)
	v_fmac_f32_e32 v10, v14, v23
	v_fmac_f32_e32 v9, v15, v23
	v_lshlrev_b64 v[14:15], 2, v[4:5]
	v_add_u32_e32 v4, 2, v20
	v_fmac_f32_e32 v10, v16, v24
	v_fmac_f32_e32 v9, v17, v24
	v_add_co_u32_e32 v14, vcc, s12, v14
	v_lshlrev_b64 v[16:17], 2, v[4:5]
	v_addc_co_u32_e32 v15, vcc, v12, v15, vcc
	v_add_u32_e32 v4, -12, v3
	v_add_co_u32_e32 v16, vcc, s14, v16
	v_lshlrev_b64 v[18:19], 2, v[4:5]
	v_addc_co_u32_e32 v17, vcc, v13, v17, vcc
	v_add_co_u32_e32 v18, vcc, s12, v18
	v_addc_co_u32_e32 v19, vcc, v12, v19, vcc
	global_load_dwordx2 v[21:22], v[14:15], off
	global_load_dwordx2 v[23:24], v[16:17], off
	v_add_u32_e32 v4, -10, v3
	global_load_dwordx2 v[14:15], v[18:19], off
	s_waitcnt vmcnt(1)
	v_fmac_f32_e32 v10, v21, v23
	v_fmac_f32_e32 v9, v22, v23
	s_waitcnt vmcnt(0)
	v_fmac_f32_e32 v10, v14, v24
	v_fmac_f32_e32 v9, v15, v24
	v_lshlrev_b64 v[14:15], 2, v[4:5]
	v_add_u32_e32 v4, 4, v20
	v_add_co_u32_e32 v14, vcc, s12, v14
	v_lshlrev_b64 v[16:17], 2, v[4:5]
	v_addc_co_u32_e32 v15, vcc, v12, v15, vcc
	v_add_u32_e32 v4, -8, v3
	v_add_co_u32_e32 v16, vcc, s14, v16
	v_lshlrev_b64 v[18:19], 2, v[4:5]
	v_addc_co_u32_e32 v17, vcc, v13, v17, vcc
	v_add_co_u32_e32 v18, vcc, s12, v18
	v_addc_co_u32_e32 v19, vcc, v12, v19, vcc
	global_load_dwordx2 v[21:22], v[14:15], off
	global_load_dwordx2 v[23:24], v[16:17], off
	v_add_u32_e32 v4, -6, v3
	global_load_dwordx2 v[14:15], v[18:19], off
	s_waitcnt vmcnt(1)
	v_fmac_f32_e32 v10, v21, v23
	v_fmac_f32_e32 v9, v22, v23
	s_waitcnt vmcnt(0)
	v_fmac_f32_e32 v10, v14, v24
	v_fmac_f32_e32 v9, v15, v24
	v_lshlrev_b64 v[14:15], 2, v[4:5]
	v_add_u32_e32 v4, 6, v20
	v_add_co_u32_e32 v14, vcc, s12, v14
	v_lshlrev_b64 v[16:17], 2, v[4:5]
	v_addc_co_u32_e32 v15, vcc, v12, v15, vcc
	v_add_u32_e32 v4, -4, v3
	v_add_co_u32_e32 v16, vcc, s14, v16
	v_lshlrev_b64 v[18:19], 2, v[4:5]
	v_addc_co_u32_e32 v17, vcc, v13, v17, vcc
	v_add_co_u32_e32 v18, vcc, s12, v18
	v_addc_co_u32_e32 v19, vcc, v12, v19, vcc
	global_load_dwordx2 v[21:22], v[14:15], off
	global_load_dwordx2 v[23:24], v[16:17], off
	v_mov_b32_e32 v4, v5
	global_load_dwordx2 v[14:15], v[18:19], off
	s_waitcnt vmcnt(1)
	v_fmac_f32_e32 v10, v21, v23
	v_fmac_f32_e32 v9, v22, v23
	s_waitcnt vmcnt(0)
	v_fmac_f32_e32 v10, v14, v24
	v_fmac_f32_e32 v9, v15, v24
	v_lshlrev_b64 v[14:15], 2, v[3:4]
	v_add_u32_e32 v4, -2, v3
	v_add_co_u32_e32 v14, vcc, s12, v14
	v_lshlrev_b64 v[16:17], 2, v[4:5]
	v_addc_co_u32_e32 v15, vcc, v12, v15, vcc
	v_add_u32_e32 v4, 8, v20
	v_add_co_u32_e32 v16, vcc, s12, v16
	v_lshlrev_b64 v[18:19], 2, v[4:5]
	v_addc_co_u32_e32 v17, vcc, v12, v17, vcc
	v_add_co_u32_e32 v18, vcc, s14, v18
	v_addc_co_u32_e32 v19, vcc, v13, v19, vcc
	global_load_dwordx2 v[20:21], v[16:17], off
	global_load_dwordx2 v[22:23], v[18:19], off
	v_cmp_ge_i32_e32 vcc, v6, v8
	global_load_dwordx2 v[14:15], v[14:15], off
	s_or_b64 s[8:9], vcc, s[8:9]
	v_add_u32_e32 v3, 0x280, v3
	s_waitcnt vmcnt(1)
	v_fmac_f32_e32 v10, v20, v22
	v_fmac_f32_e32 v9, v21, v22
	s_waitcnt vmcnt(0)
	v_fmac_f32_e32 v10, v14, v23
	v_fmac_f32_e32 v9, v15, v23
	s_andn2_b64 exec, exec, s[8:9]
	s_cbranch_execnz .LBB43_9
; %bb.10:
	s_or_b64 exec, exec, s[8:9]
.LBB43_11:
	s_or_b64 exec, exec, s[6:7]
	s_cbranch_execz .LBB43_13
	s_branch .LBB43_18
.LBB43_12:
                                        ; implicit-def: $vgpr10
                                        ; implicit-def: $vgpr9
.LBB43_13:
	v_mov_b32_e32 v10, 0
	v_mov_b32_e32 v9, 0
	s_and_saveexec_b64 s[6:7], s[0:1]
	s_cbranch_execz .LBB43_17
; %bb.14:
	v_mad_u64_u32 v[4:5], s[0:1], v2, 20, 19
	v_mov_b32_e32 v6, 0
	s_mov_b64 s[0:1], 0
	v_mov_b32_e32 v7, s11
	v_mov_b32_e32 v11, s13
	;; [unrolled: 1-line block ×5, first 2 shown]
.LBB43_15:                              ; =>This Inner Loop Header: Depth=1
	v_ashrrev_i32_e32 v3, 31, v2
	v_lshlrev_b64 v[13:14], 2, v[2:3]
	v_subrev_u32_e32 v5, 19, v4
	v_add_co_u32_e32 v13, vcc, s10, v13
	v_addc_co_u32_e32 v14, vcc, v7, v14, vcc
	global_load_dword v3, v[13:14], off
	v_lshlrev_b64 v[15:16], 2, v[5:6]
	v_mov_b32_e32 v20, v6
	v_add_co_u32_e32 v17, vcc, s12, v15
	v_addc_co_u32_e32 v18, vcc, v11, v16, vcc
	v_add_u32_e32 v5, -8, v4
	v_lshlrev_b64 v[22:23], 2, v[5:6]
	v_add_u32_e32 v2, 32, v2
	s_waitcnt vmcnt(0)
	v_subrev_u32_e32 v3, s18, v3
	v_mul_lo_u32 v19, v3, 10
	v_lshlrev_b64 v[13:14], 2, v[19:20]
	v_add_u32_e32 v5, 2, v19
	v_add_co_u32_e32 v20, vcc, s14, v13
	v_addc_co_u32_e32 v21, vcc, v12, v14, vcc
	v_lshlrev_b64 v[13:14], 2, v[5:6]
	v_add_co_u32_e32 v24, vcc, s14, v13
	v_addc_co_u32_e32 v25, vcc, v12, v14, vcc
	global_load_dwordx2 v[26:27], v[20:21], off
	global_load_dwordx2 v[28:29], v[24:25], off
	global_load_dwordx4 v[13:16], v[17:18], off
	s_waitcnt vmcnt(0)
	v_fmac_f32_e32 v10, v13, v26
	v_fmac_f32_e32 v10, v14, v27
	v_add_u32_e32 v13, -9, v4
	v_mov_b32_e32 v14, v6
	v_lshlrev_b64 v[13:14], 2, v[13:14]
	v_fmac_f32_e32 v10, v15, v28
	v_add_co_u32_e32 v13, vcc, s12, v13
	v_addc_co_u32_e32 v14, vcc, v11, v14, vcc
	v_add_co_u32_e32 v15, vcc, s12, v22
	v_fmac_f32_e32 v10, v16, v29
	v_addc_co_u32_e32 v16, vcc, v11, v23, vcc
	global_load_dword v3, v[13:14], off
	global_load_dword v5, v[15:16], off
	s_waitcnt vmcnt(1)
	v_fmac_f32_e32 v9, v3, v26
	s_waitcnt vmcnt(0)
	v_fmac_f32_e32 v9, v5, v27
	v_add_u32_e32 v5, -7, v4
	v_lshlrev_b64 v[13:14], 2, v[5:6]
	v_add_u32_e32 v5, -6, v4
	v_add_co_u32_e32 v13, vcc, s12, v13
	v_lshlrev_b64 v[15:16], 2, v[5:6]
	v_addc_co_u32_e32 v14, vcc, v11, v14, vcc
	v_add_co_u32_e32 v15, vcc, s12, v15
	v_addc_co_u32_e32 v16, vcc, v11, v16, vcc
	global_load_dword v3, v[13:14], off
	global_load_dword v5, v[15:16], off
	s_waitcnt vmcnt(1)
	v_fmac_f32_e32 v9, v3, v28
	s_waitcnt vmcnt(0)
	v_fmac_f32_e32 v9, v5, v29
	v_add_u32_e32 v5, -15, v4
	v_lshlrev_b64 v[13:14], 2, v[5:6]
	v_add_u32_e32 v5, 4, v19
	v_add_co_u32_e32 v13, vcc, s12, v13
	v_lshlrev_b64 v[15:16], 2, v[5:6]
	v_addc_co_u32_e32 v14, vcc, v11, v14, vcc
	v_add_u32_e32 v5, -5, v4
	v_add_co_u32_e32 v15, vcc, s14, v15
	v_lshlrev_b64 v[17:18], 2, v[5:6]
	v_addc_co_u32_e32 v16, vcc, v12, v16, vcc
	v_add_u32_e32 v5, -14, v4
	;; [unrolled: 4-line block ×3, first 2 shown]
	v_add_co_u32_e32 v20, vcc, s12, v20
	v_lshlrev_b64 v[22:23], 2, v[5:6]
	v_addc_co_u32_e32 v21, vcc, v11, v21, vcc
	v_add_co_u32_e32 v22, vcc, s12, v22
	v_addc_co_u32_e32 v23, vcc, v11, v23, vcc
	global_load_dword v3, v[13:14], off
	global_load_dword v5, v[17:18], off
	;; [unrolled: 1-line block ×4, first 2 shown]
	global_load_dwordx2 v[24:25], v[15:16], off
	s_waitcnt vmcnt(0)
	v_fmac_f32_e32 v9, v5, v24
	v_add_u32_e32 v5, -13, v4
	v_lshlrev_b64 v[13:14], 2, v[5:6]
	v_add_u32_e32 v5, 6, v19
	v_add_co_u32_e32 v13, vcc, s12, v13
	v_lshlrev_b64 v[15:16], 2, v[5:6]
	v_addc_co_u32_e32 v14, vcc, v11, v14, vcc
	v_add_u32_e32 v5, -3, v4
	v_add_co_u32_e32 v15, vcc, s14, v15
	v_lshlrev_b64 v[17:18], 2, v[5:6]
	v_addc_co_u32_e32 v16, vcc, v12, v16, vcc
	v_add_u32_e32 v5, -12, v4
	;; [unrolled: 4-line block ×3, first 2 shown]
	v_add_co_u32_e32 v20, vcc, s12, v20
	v_lshlrev_b64 v[22:23], 2, v[5:6]
	v_addc_co_u32_e32 v21, vcc, v11, v21, vcc
	v_fmac_f32_e32 v10, v3, v24
	v_add_co_u32_e32 v22, vcc, s12, v22
	v_fmac_f32_e32 v10, v26, v25
	v_fmac_f32_e32 v9, v27, v25
	v_addc_co_u32_e32 v23, vcc, v11, v23, vcc
	global_load_dword v3, v[13:14], off
	global_load_dword v5, v[17:18], off
	;; [unrolled: 1-line block ×4, first 2 shown]
	global_load_dwordx2 v[24:25], v[15:16], off
	s_waitcnt vmcnt(0)
	v_fmac_f32_e32 v9, v5, v24
	v_mov_b32_e32 v5, v6
	v_lshlrev_b64 v[13:14], 2, v[4:5]
	v_add_u32_e32 v5, -11, v4
	v_add_co_u32_e32 v13, vcc, s12, v13
	v_lshlrev_b64 v[15:16], 2, v[5:6]
	v_addc_co_u32_e32 v14, vcc, v11, v14, vcc
	v_add_u32_e32 v5, 8, v19
	v_add_co_u32_e32 v15, vcc, s12, v15
	v_lshlrev_b64 v[17:18], 2, v[5:6]
	v_addc_co_u32_e32 v16, vcc, v11, v16, vcc
	v_add_u32_e32 v5, -1, v4
	v_add_co_u32_e32 v17, vcc, s14, v17
	v_lshlrev_b64 v[19:20], 2, v[5:6]
	v_addc_co_u32_e32 v18, vcc, v12, v18, vcc
	v_add_u32_e32 v5, -10, v4
	v_add_co_u32_e32 v19, vcc, s12, v19
	v_lshlrev_b64 v[21:22], 2, v[5:6]
	v_addc_co_u32_e32 v20, vcc, v11, v20, vcc
	v_fmac_f32_e32 v10, v3, v24
	v_add_co_u32_e32 v21, vcc, s12, v21
	v_fmac_f32_e32 v10, v26, v25
	v_fmac_f32_e32 v9, v27, v25
	v_addc_co_u32_e32 v22, vcc, v11, v22, vcc
	global_load_dword v3, v[13:14], off
	global_load_dword v5, v[15:16], off
	;; [unrolled: 1-line block ×4, first 2 shown]
	global_load_dwordx2 v[23:24], v[17:18], off
	v_cmp_ge_i32_e32 vcc, v2, v8
	s_or_b64 s[0:1], vcc, s[0:1]
	v_add_u32_e32 v4, 0x280, v4
	s_waitcnt vmcnt(0)
	v_fmac_f32_e32 v10, v5, v23
	v_fmac_f32_e32 v9, v25, v23
	;; [unrolled: 1-line block ×4, first 2 shown]
	s_andn2_b64 exec, exec, s[0:1]
	s_cbranch_execnz .LBB43_15
; %bb.16:
	s_or_b64 exec, exec, s[0:1]
.LBB43_17:
	s_or_b64 exec, exec, s[6:7]
.LBB43_18:
	v_mov_b32_dpp v2, v10 row_shr:1 row_mask:0xf bank_mask:0xf
	v_mov_b32_dpp v4, v9 row_shr:1 row_mask:0xf bank_mask:0xf
	v_add_f32_e32 v2, v10, v2
	v_add_f32_e32 v4, v9, v4
	v_cmp_eq_u32_e32 vcc, 31, v0
	v_mov_b32_dpp v3, v2 row_shr:2 row_mask:0xf bank_mask:0xf
	v_mov_b32_dpp v5, v4 row_shr:2 row_mask:0xf bank_mask:0xf
	v_add_f32_e32 v2, v2, v3
	v_add_f32_e32 v4, v4, v5
	s_nop 0
	v_mov_b32_dpp v3, v2 row_shr:4 row_mask:0xf bank_mask:0xe
	v_mov_b32_dpp v5, v4 row_shr:4 row_mask:0xf bank_mask:0xe
	v_add_f32_e32 v2, v2, v3
	v_add_f32_e32 v4, v4, v5
	s_nop 0
	;; [unrolled: 5-line block ×3, first 2 shown]
	v_mov_b32_dpp v3, v2 row_bcast:15 row_mask:0xa bank_mask:0xf
	v_mov_b32_dpp v5, v4 row_bcast:15 row_mask:0xa bank_mask:0xf
	s_and_b64 exec, exec, vcc
	s_cbranch_execz .LBB43_22
; %bb.19:
	s_load_dwordx2 s[0:1], s[4:5], 0x38
	v_add_f32_e32 v0, v2, v3
	v_add_f32_e32 v3, v4, v5
	v_cmp_eq_f32_e64 s[4:5], s2, 0
	s_and_b64 vcc, exec, s[4:5]
	v_mul_f32_e32 v2, s16, v0
	v_mul_f32_e32 v3, s16, v3
	v_lshlrev_b32_e32 v0, 1, v1
	s_cbranch_vccz .LBB43_23
; %bb.20:
	v_ashrrev_i32_e32 v1, 31, v0
	v_lshlrev_b64 v[4:5], 2, v[0:1]
	s_waitcnt lgkmcnt(0)
	v_mov_b32_e32 v1, s1
	v_add_co_u32_e32 v4, vcc, s0, v4
	v_addc_co_u32_e32 v5, vcc, v1, v5, vcc
	global_store_dwordx2 v[4:5], v[2:3], off
	s_cbranch_execnz .LBB43_22
.LBB43_21:
	v_ashrrev_i32_e32 v1, 31, v0
	v_lshlrev_b64 v[0:1], 2, v[0:1]
	s_waitcnt lgkmcnt(0)
	v_mov_b32_e32 v4, s1
	v_add_co_u32_e32 v0, vcc, s0, v0
	v_addc_co_u32_e32 v1, vcc, v4, v1, vcc
	global_load_dwordx2 v[4:5], v[0:1], off
	s_waitcnt vmcnt(0)
	v_fmac_f32_e32 v2, s2, v4
	v_fmac_f32_e32 v3, s2, v5
	global_store_dwordx2 v[0:1], v[2:3], off
.LBB43_22:
	s_endpgm
.LBB43_23:
	s_branch .LBB43_21
	.section	.rodata,"a",@progbits
	.p2align	6, 0x0
	.amdhsa_kernel _ZN9rocsparseL19gebsrmvn_2xn_kernelILj128ELj10ELj32EfEEvi20rocsparse_direction_NS_24const_host_device_scalarIT2_EEPKiS6_PKS3_S8_S4_PS3_21rocsparse_index_base_b
		.amdhsa_group_segment_fixed_size 0
		.amdhsa_private_segment_fixed_size 0
		.amdhsa_kernarg_size 72
		.amdhsa_user_sgpr_count 6
		.amdhsa_user_sgpr_private_segment_buffer 1
		.amdhsa_user_sgpr_dispatch_ptr 0
		.amdhsa_user_sgpr_queue_ptr 0
		.amdhsa_user_sgpr_kernarg_segment_ptr 1
		.amdhsa_user_sgpr_dispatch_id 0
		.amdhsa_user_sgpr_flat_scratch_init 0
		.amdhsa_user_sgpr_private_segment_size 0
		.amdhsa_uses_dynamic_stack 0
		.amdhsa_system_sgpr_private_segment_wavefront_offset 0
		.amdhsa_system_sgpr_workgroup_id_x 1
		.amdhsa_system_sgpr_workgroup_id_y 0
		.amdhsa_system_sgpr_workgroup_id_z 0
		.amdhsa_system_sgpr_workgroup_info 0
		.amdhsa_system_vgpr_workitem_id 0
		.amdhsa_next_free_vgpr 30
		.amdhsa_next_free_sgpr 20
		.amdhsa_reserve_vcc 1
		.amdhsa_reserve_flat_scratch 0
		.amdhsa_float_round_mode_32 0
		.amdhsa_float_round_mode_16_64 0
		.amdhsa_float_denorm_mode_32 3
		.amdhsa_float_denorm_mode_16_64 3
		.amdhsa_dx10_clamp 1
		.amdhsa_ieee_mode 1
		.amdhsa_fp16_overflow 0
		.amdhsa_exception_fp_ieee_invalid_op 0
		.amdhsa_exception_fp_denorm_src 0
		.amdhsa_exception_fp_ieee_div_zero 0
		.amdhsa_exception_fp_ieee_overflow 0
		.amdhsa_exception_fp_ieee_underflow 0
		.amdhsa_exception_fp_ieee_inexact 0
		.amdhsa_exception_int_div_zero 0
	.end_amdhsa_kernel
	.section	.text._ZN9rocsparseL19gebsrmvn_2xn_kernelILj128ELj10ELj32EfEEvi20rocsparse_direction_NS_24const_host_device_scalarIT2_EEPKiS6_PKS3_S8_S4_PS3_21rocsparse_index_base_b,"axG",@progbits,_ZN9rocsparseL19gebsrmvn_2xn_kernelILj128ELj10ELj32EfEEvi20rocsparse_direction_NS_24const_host_device_scalarIT2_EEPKiS6_PKS3_S8_S4_PS3_21rocsparse_index_base_b,comdat
.Lfunc_end43:
	.size	_ZN9rocsparseL19gebsrmvn_2xn_kernelILj128ELj10ELj32EfEEvi20rocsparse_direction_NS_24const_host_device_scalarIT2_EEPKiS6_PKS3_S8_S4_PS3_21rocsparse_index_base_b, .Lfunc_end43-_ZN9rocsparseL19gebsrmvn_2xn_kernelILj128ELj10ELj32EfEEvi20rocsparse_direction_NS_24const_host_device_scalarIT2_EEPKiS6_PKS3_S8_S4_PS3_21rocsparse_index_base_b
                                        ; -- End function
	.set _ZN9rocsparseL19gebsrmvn_2xn_kernelILj128ELj10ELj32EfEEvi20rocsparse_direction_NS_24const_host_device_scalarIT2_EEPKiS6_PKS3_S8_S4_PS3_21rocsparse_index_base_b.num_vgpr, 30
	.set _ZN9rocsparseL19gebsrmvn_2xn_kernelILj128ELj10ELj32EfEEvi20rocsparse_direction_NS_24const_host_device_scalarIT2_EEPKiS6_PKS3_S8_S4_PS3_21rocsparse_index_base_b.num_agpr, 0
	.set _ZN9rocsparseL19gebsrmvn_2xn_kernelILj128ELj10ELj32EfEEvi20rocsparse_direction_NS_24const_host_device_scalarIT2_EEPKiS6_PKS3_S8_S4_PS3_21rocsparse_index_base_b.numbered_sgpr, 20
	.set _ZN9rocsparseL19gebsrmvn_2xn_kernelILj128ELj10ELj32EfEEvi20rocsparse_direction_NS_24const_host_device_scalarIT2_EEPKiS6_PKS3_S8_S4_PS3_21rocsparse_index_base_b.num_named_barrier, 0
	.set _ZN9rocsparseL19gebsrmvn_2xn_kernelILj128ELj10ELj32EfEEvi20rocsparse_direction_NS_24const_host_device_scalarIT2_EEPKiS6_PKS3_S8_S4_PS3_21rocsparse_index_base_b.private_seg_size, 0
	.set _ZN9rocsparseL19gebsrmvn_2xn_kernelILj128ELj10ELj32EfEEvi20rocsparse_direction_NS_24const_host_device_scalarIT2_EEPKiS6_PKS3_S8_S4_PS3_21rocsparse_index_base_b.uses_vcc, 1
	.set _ZN9rocsparseL19gebsrmvn_2xn_kernelILj128ELj10ELj32EfEEvi20rocsparse_direction_NS_24const_host_device_scalarIT2_EEPKiS6_PKS3_S8_S4_PS3_21rocsparse_index_base_b.uses_flat_scratch, 0
	.set _ZN9rocsparseL19gebsrmvn_2xn_kernelILj128ELj10ELj32EfEEvi20rocsparse_direction_NS_24const_host_device_scalarIT2_EEPKiS6_PKS3_S8_S4_PS3_21rocsparse_index_base_b.has_dyn_sized_stack, 0
	.set _ZN9rocsparseL19gebsrmvn_2xn_kernelILj128ELj10ELj32EfEEvi20rocsparse_direction_NS_24const_host_device_scalarIT2_EEPKiS6_PKS3_S8_S4_PS3_21rocsparse_index_base_b.has_recursion, 0
	.set _ZN9rocsparseL19gebsrmvn_2xn_kernelILj128ELj10ELj32EfEEvi20rocsparse_direction_NS_24const_host_device_scalarIT2_EEPKiS6_PKS3_S8_S4_PS3_21rocsparse_index_base_b.has_indirect_call, 0
	.section	.AMDGPU.csdata,"",@progbits
; Kernel info:
; codeLenInByte = 2020
; TotalNumSgprs: 24
; NumVgprs: 30
; ScratchSize: 0
; MemoryBound: 0
; FloatMode: 240
; IeeeMode: 1
; LDSByteSize: 0 bytes/workgroup (compile time only)
; SGPRBlocks: 2
; VGPRBlocks: 7
; NumSGPRsForWavesPerEU: 24
; NumVGPRsForWavesPerEU: 30
; Occupancy: 8
; WaveLimiterHint : 1
; COMPUTE_PGM_RSRC2:SCRATCH_EN: 0
; COMPUTE_PGM_RSRC2:USER_SGPR: 6
; COMPUTE_PGM_RSRC2:TRAP_HANDLER: 0
; COMPUTE_PGM_RSRC2:TGID_X_EN: 1
; COMPUTE_PGM_RSRC2:TGID_Y_EN: 0
; COMPUTE_PGM_RSRC2:TGID_Z_EN: 0
; COMPUTE_PGM_RSRC2:TIDIG_COMP_CNT: 0
	.section	.text._ZN9rocsparseL19gebsrmvn_2xn_kernelILj128ELj10ELj64EfEEvi20rocsparse_direction_NS_24const_host_device_scalarIT2_EEPKiS6_PKS3_S8_S4_PS3_21rocsparse_index_base_b,"axG",@progbits,_ZN9rocsparseL19gebsrmvn_2xn_kernelILj128ELj10ELj64EfEEvi20rocsparse_direction_NS_24const_host_device_scalarIT2_EEPKiS6_PKS3_S8_S4_PS3_21rocsparse_index_base_b,comdat
	.globl	_ZN9rocsparseL19gebsrmvn_2xn_kernelILj128ELj10ELj64EfEEvi20rocsparse_direction_NS_24const_host_device_scalarIT2_EEPKiS6_PKS3_S8_S4_PS3_21rocsparse_index_base_b ; -- Begin function _ZN9rocsparseL19gebsrmvn_2xn_kernelILj128ELj10ELj64EfEEvi20rocsparse_direction_NS_24const_host_device_scalarIT2_EEPKiS6_PKS3_S8_S4_PS3_21rocsparse_index_base_b
	.p2align	8
	.type	_ZN9rocsparseL19gebsrmvn_2xn_kernelILj128ELj10ELj64EfEEvi20rocsparse_direction_NS_24const_host_device_scalarIT2_EEPKiS6_PKS3_S8_S4_PS3_21rocsparse_index_base_b,@function
_ZN9rocsparseL19gebsrmvn_2xn_kernelILj128ELj10ELj64EfEEvi20rocsparse_direction_NS_24const_host_device_scalarIT2_EEPKiS6_PKS3_S8_S4_PS3_21rocsparse_index_base_b: ; @_ZN9rocsparseL19gebsrmvn_2xn_kernelILj128ELj10ELj64EfEEvi20rocsparse_direction_NS_24const_host_device_scalarIT2_EEPKiS6_PKS3_S8_S4_PS3_21rocsparse_index_base_b
; %bb.0:
	s_load_dwordx2 s[18:19], s[4:5], 0x40
	s_load_dwordx2 s[16:17], s[4:5], 0x8
	;; [unrolled: 1-line block ×3, first 2 shown]
	s_waitcnt lgkmcnt(0)
	s_bitcmp1_b32 s19, 0
	s_cselect_b64 s[8:9], -1, 0
	s_xor_b64 s[0:1], s[8:9], -1
	s_and_b64 vcc, exec, s[8:9]
	s_cbranch_vccnz .LBB44_2
; %bb.1:
	s_load_dword s16, s[16:17], 0x0
.LBB44_2:
	s_andn2_b64 vcc, exec, s[0:1]
	s_cbranch_vccnz .LBB44_4
; %bb.3:
	s_load_dword s2, s[2:3], 0x0
.LBB44_4:
	s_waitcnt lgkmcnt(0)
	v_cmp_eq_f32_e64 s[0:1], s16, 0
	v_cmp_eq_f32_e64 s[8:9], s2, 1.0
	s_and_b64 s[0:1], s[0:1], s[8:9]
	s_and_b64 vcc, exec, s[0:1]
	s_cbranch_vccnz .LBB44_22
; %bb.5:
	s_load_dwordx2 s[0:1], s[4:5], 0x0
	v_lshrrev_b32_e32 v1, 6, v0
	v_lshl_or_b32 v1, s6, 1, v1
	s_waitcnt lgkmcnt(0)
	v_cmp_gt_i32_e32 vcc, s0, v1
	s_and_saveexec_b64 s[6:7], vcc
	s_cbranch_execz .LBB44_22
; %bb.6:
	s_load_dwordx8 s[8:15], s[4:5], 0x10
	v_ashrrev_i32_e32 v2, 31, v1
	v_lshlrev_b64 v[2:3], 2, v[1:2]
	v_and_b32_e32 v0, 63, v0
	s_cmp_lg_u32 s1, 0
	s_waitcnt lgkmcnt(0)
	v_mov_b32_e32 v4, s9
	v_add_co_u32_e32 v2, vcc, s8, v2
	v_addc_co_u32_e32 v3, vcc, v4, v3, vcc
	global_load_dwordx2 v[2:3], v[2:3], off
	s_waitcnt vmcnt(0)
	v_subrev_u32_e32 v2, s18, v2
	v_subrev_u32_e32 v8, s18, v3
	v_add_u32_e32 v2, v2, v0
	v_cmp_lt_i32_e64 s[0:1], v2, v8
	s_cbranch_scc0 .LBB44_12
; %bb.7:
	v_mov_b32_e32 v10, 0
	v_mov_b32_e32 v9, 0
	s_and_saveexec_b64 s[6:7], s[0:1]
	s_cbranch_execz .LBB44_11
; %bb.8:
	v_mad_u64_u32 v[3:4], s[8:9], v2, 20, 18
	v_mov_b32_e32 v5, 0
	s_mov_b64 s[8:9], 0
	v_mov_b32_e32 v11, s11
	v_mov_b32_e32 v12, s13
	;; [unrolled: 1-line block ×6, first 2 shown]
.LBB44_9:                               ; =>This Inner Loop Header: Depth=1
	v_ashrrev_i32_e32 v7, 31, v6
	v_lshlrev_b64 v[14:15], 2, v[6:7]
	v_subrev_u32_e32 v4, 18, v3
	v_add_co_u32_e32 v14, vcc, s10, v14
	v_addc_co_u32_e32 v15, vcc, v11, v15, vcc
	v_lshlrev_b64 v[16:17], 2, v[4:5]
	global_load_dword v4, v[14:15], off
	v_mov_b32_e32 v21, v5
	v_add_co_u32_e32 v18, vcc, s12, v16
	v_addc_co_u32_e32 v19, vcc, v12, v17, vcc
	v_add_u32_e32 v6, 64, v6
	s_waitcnt vmcnt(0)
	v_subrev_u32_e32 v4, s18, v4
	v_mul_lo_u32 v20, v4, 10
	v_add_u32_e32 v4, -14, v3
	v_lshlrev_b64 v[14:15], 2, v[20:21]
	v_add_co_u32_e32 v21, vcc, s14, v14
	v_addc_co_u32_e32 v22, vcc, v13, v15, vcc
	global_load_dwordx2 v[23:24], v[21:22], off
	global_load_dwordx4 v[14:17], v[18:19], off
	s_waitcnt vmcnt(0)
	v_fmac_f32_e32 v10, v14, v23
	v_fmac_f32_e32 v9, v15, v23
	v_lshlrev_b64 v[14:15], 2, v[4:5]
	v_add_u32_e32 v4, 2, v20
	v_fmac_f32_e32 v10, v16, v24
	v_fmac_f32_e32 v9, v17, v24
	v_add_co_u32_e32 v14, vcc, s12, v14
	v_lshlrev_b64 v[16:17], 2, v[4:5]
	v_addc_co_u32_e32 v15, vcc, v12, v15, vcc
	v_add_u32_e32 v4, -12, v3
	v_add_co_u32_e32 v16, vcc, s14, v16
	v_lshlrev_b64 v[18:19], 2, v[4:5]
	v_addc_co_u32_e32 v17, vcc, v13, v17, vcc
	v_add_co_u32_e32 v18, vcc, s12, v18
	v_addc_co_u32_e32 v19, vcc, v12, v19, vcc
	global_load_dwordx2 v[21:22], v[14:15], off
	global_load_dwordx2 v[23:24], v[16:17], off
	v_add_u32_e32 v4, -10, v3
	global_load_dwordx2 v[14:15], v[18:19], off
	s_waitcnt vmcnt(1)
	v_fmac_f32_e32 v10, v21, v23
	v_fmac_f32_e32 v9, v22, v23
	s_waitcnt vmcnt(0)
	v_fmac_f32_e32 v10, v14, v24
	v_fmac_f32_e32 v9, v15, v24
	v_lshlrev_b64 v[14:15], 2, v[4:5]
	v_add_u32_e32 v4, 4, v20
	v_add_co_u32_e32 v14, vcc, s12, v14
	v_lshlrev_b64 v[16:17], 2, v[4:5]
	v_addc_co_u32_e32 v15, vcc, v12, v15, vcc
	v_add_u32_e32 v4, -8, v3
	v_add_co_u32_e32 v16, vcc, s14, v16
	v_lshlrev_b64 v[18:19], 2, v[4:5]
	v_addc_co_u32_e32 v17, vcc, v13, v17, vcc
	v_add_co_u32_e32 v18, vcc, s12, v18
	v_addc_co_u32_e32 v19, vcc, v12, v19, vcc
	global_load_dwordx2 v[21:22], v[14:15], off
	global_load_dwordx2 v[23:24], v[16:17], off
	v_add_u32_e32 v4, -6, v3
	global_load_dwordx2 v[14:15], v[18:19], off
	s_waitcnt vmcnt(1)
	v_fmac_f32_e32 v10, v21, v23
	v_fmac_f32_e32 v9, v22, v23
	s_waitcnt vmcnt(0)
	v_fmac_f32_e32 v10, v14, v24
	v_fmac_f32_e32 v9, v15, v24
	v_lshlrev_b64 v[14:15], 2, v[4:5]
	v_add_u32_e32 v4, 6, v20
	v_add_co_u32_e32 v14, vcc, s12, v14
	v_lshlrev_b64 v[16:17], 2, v[4:5]
	v_addc_co_u32_e32 v15, vcc, v12, v15, vcc
	v_add_u32_e32 v4, -4, v3
	v_add_co_u32_e32 v16, vcc, s14, v16
	v_lshlrev_b64 v[18:19], 2, v[4:5]
	v_addc_co_u32_e32 v17, vcc, v13, v17, vcc
	v_add_co_u32_e32 v18, vcc, s12, v18
	v_addc_co_u32_e32 v19, vcc, v12, v19, vcc
	global_load_dwordx2 v[21:22], v[14:15], off
	global_load_dwordx2 v[23:24], v[16:17], off
	v_mov_b32_e32 v4, v5
	global_load_dwordx2 v[14:15], v[18:19], off
	s_waitcnt vmcnt(1)
	v_fmac_f32_e32 v10, v21, v23
	v_fmac_f32_e32 v9, v22, v23
	s_waitcnt vmcnt(0)
	v_fmac_f32_e32 v10, v14, v24
	v_fmac_f32_e32 v9, v15, v24
	v_lshlrev_b64 v[14:15], 2, v[3:4]
	v_add_u32_e32 v4, -2, v3
	v_add_co_u32_e32 v14, vcc, s12, v14
	v_lshlrev_b64 v[16:17], 2, v[4:5]
	v_addc_co_u32_e32 v15, vcc, v12, v15, vcc
	v_add_u32_e32 v4, 8, v20
	v_add_co_u32_e32 v16, vcc, s12, v16
	v_lshlrev_b64 v[18:19], 2, v[4:5]
	v_addc_co_u32_e32 v17, vcc, v12, v17, vcc
	v_add_co_u32_e32 v18, vcc, s14, v18
	v_addc_co_u32_e32 v19, vcc, v13, v19, vcc
	global_load_dwordx2 v[20:21], v[16:17], off
	global_load_dwordx2 v[22:23], v[18:19], off
	v_cmp_ge_i32_e32 vcc, v6, v8
	global_load_dwordx2 v[14:15], v[14:15], off
	s_or_b64 s[8:9], vcc, s[8:9]
	v_add_u32_e32 v3, 0x500, v3
	s_waitcnt vmcnt(1)
	v_fmac_f32_e32 v10, v20, v22
	v_fmac_f32_e32 v9, v21, v22
	s_waitcnt vmcnt(0)
	v_fmac_f32_e32 v10, v14, v23
	v_fmac_f32_e32 v9, v15, v23
	s_andn2_b64 exec, exec, s[8:9]
	s_cbranch_execnz .LBB44_9
; %bb.10:
	s_or_b64 exec, exec, s[8:9]
.LBB44_11:
	s_or_b64 exec, exec, s[6:7]
	s_cbranch_execz .LBB44_13
	s_branch .LBB44_18
.LBB44_12:
                                        ; implicit-def: $vgpr10
                                        ; implicit-def: $vgpr9
.LBB44_13:
	v_mov_b32_e32 v10, 0
	v_mov_b32_e32 v9, 0
	s_and_saveexec_b64 s[6:7], s[0:1]
	s_cbranch_execz .LBB44_17
; %bb.14:
	v_mad_u64_u32 v[4:5], s[0:1], v2, 20, 19
	v_mov_b32_e32 v6, 0
	s_mov_b64 s[0:1], 0
	v_mov_b32_e32 v7, s11
	v_mov_b32_e32 v11, s13
	;; [unrolled: 1-line block ×5, first 2 shown]
.LBB44_15:                              ; =>This Inner Loop Header: Depth=1
	v_ashrrev_i32_e32 v3, 31, v2
	v_lshlrev_b64 v[13:14], 2, v[2:3]
	v_subrev_u32_e32 v5, 19, v4
	v_add_co_u32_e32 v13, vcc, s10, v13
	v_addc_co_u32_e32 v14, vcc, v7, v14, vcc
	global_load_dword v3, v[13:14], off
	v_lshlrev_b64 v[15:16], 2, v[5:6]
	v_mov_b32_e32 v20, v6
	v_add_co_u32_e32 v17, vcc, s12, v15
	v_addc_co_u32_e32 v18, vcc, v11, v16, vcc
	v_add_u32_e32 v5, -8, v4
	v_lshlrev_b64 v[22:23], 2, v[5:6]
	v_add_u32_e32 v2, 64, v2
	s_waitcnt vmcnt(0)
	v_subrev_u32_e32 v3, s18, v3
	v_mul_lo_u32 v19, v3, 10
	v_lshlrev_b64 v[13:14], 2, v[19:20]
	v_add_u32_e32 v5, 2, v19
	v_add_co_u32_e32 v20, vcc, s14, v13
	v_addc_co_u32_e32 v21, vcc, v12, v14, vcc
	v_lshlrev_b64 v[13:14], 2, v[5:6]
	v_add_co_u32_e32 v24, vcc, s14, v13
	v_addc_co_u32_e32 v25, vcc, v12, v14, vcc
	global_load_dwordx2 v[26:27], v[20:21], off
	global_load_dwordx2 v[28:29], v[24:25], off
	global_load_dwordx4 v[13:16], v[17:18], off
	s_waitcnt vmcnt(0)
	v_fmac_f32_e32 v10, v13, v26
	v_fmac_f32_e32 v10, v14, v27
	v_add_u32_e32 v13, -9, v4
	v_mov_b32_e32 v14, v6
	v_lshlrev_b64 v[13:14], 2, v[13:14]
	v_fmac_f32_e32 v10, v15, v28
	v_add_co_u32_e32 v13, vcc, s12, v13
	v_addc_co_u32_e32 v14, vcc, v11, v14, vcc
	v_add_co_u32_e32 v15, vcc, s12, v22
	v_fmac_f32_e32 v10, v16, v29
	v_addc_co_u32_e32 v16, vcc, v11, v23, vcc
	global_load_dword v3, v[13:14], off
	global_load_dword v5, v[15:16], off
	s_waitcnt vmcnt(1)
	v_fmac_f32_e32 v9, v3, v26
	s_waitcnt vmcnt(0)
	v_fmac_f32_e32 v9, v5, v27
	v_add_u32_e32 v5, -7, v4
	v_lshlrev_b64 v[13:14], 2, v[5:6]
	v_add_u32_e32 v5, -6, v4
	v_add_co_u32_e32 v13, vcc, s12, v13
	v_lshlrev_b64 v[15:16], 2, v[5:6]
	v_addc_co_u32_e32 v14, vcc, v11, v14, vcc
	v_add_co_u32_e32 v15, vcc, s12, v15
	v_addc_co_u32_e32 v16, vcc, v11, v16, vcc
	global_load_dword v3, v[13:14], off
	global_load_dword v5, v[15:16], off
	s_waitcnt vmcnt(1)
	v_fmac_f32_e32 v9, v3, v28
	s_waitcnt vmcnt(0)
	v_fmac_f32_e32 v9, v5, v29
	v_add_u32_e32 v5, -15, v4
	v_lshlrev_b64 v[13:14], 2, v[5:6]
	v_add_u32_e32 v5, 4, v19
	v_add_co_u32_e32 v13, vcc, s12, v13
	v_lshlrev_b64 v[15:16], 2, v[5:6]
	v_addc_co_u32_e32 v14, vcc, v11, v14, vcc
	v_add_u32_e32 v5, -5, v4
	v_add_co_u32_e32 v15, vcc, s14, v15
	v_lshlrev_b64 v[17:18], 2, v[5:6]
	v_addc_co_u32_e32 v16, vcc, v12, v16, vcc
	v_add_u32_e32 v5, -14, v4
	;; [unrolled: 4-line block ×3, first 2 shown]
	v_add_co_u32_e32 v20, vcc, s12, v20
	v_lshlrev_b64 v[22:23], 2, v[5:6]
	v_addc_co_u32_e32 v21, vcc, v11, v21, vcc
	v_add_co_u32_e32 v22, vcc, s12, v22
	v_addc_co_u32_e32 v23, vcc, v11, v23, vcc
	global_load_dword v3, v[13:14], off
	global_load_dword v5, v[17:18], off
	global_load_dword v26, v[20:21], off
	global_load_dword v27, v[22:23], off
	global_load_dwordx2 v[24:25], v[15:16], off
	s_waitcnt vmcnt(0)
	v_fmac_f32_e32 v9, v5, v24
	v_add_u32_e32 v5, -13, v4
	v_lshlrev_b64 v[13:14], 2, v[5:6]
	v_add_u32_e32 v5, 6, v19
	v_add_co_u32_e32 v13, vcc, s12, v13
	v_lshlrev_b64 v[15:16], 2, v[5:6]
	v_addc_co_u32_e32 v14, vcc, v11, v14, vcc
	v_add_u32_e32 v5, -3, v4
	v_add_co_u32_e32 v15, vcc, s14, v15
	v_lshlrev_b64 v[17:18], 2, v[5:6]
	v_addc_co_u32_e32 v16, vcc, v12, v16, vcc
	v_add_u32_e32 v5, -12, v4
	;; [unrolled: 4-line block ×3, first 2 shown]
	v_add_co_u32_e32 v20, vcc, s12, v20
	v_lshlrev_b64 v[22:23], 2, v[5:6]
	v_addc_co_u32_e32 v21, vcc, v11, v21, vcc
	v_fmac_f32_e32 v10, v3, v24
	v_add_co_u32_e32 v22, vcc, s12, v22
	v_fmac_f32_e32 v10, v26, v25
	v_fmac_f32_e32 v9, v27, v25
	v_addc_co_u32_e32 v23, vcc, v11, v23, vcc
	global_load_dword v3, v[13:14], off
	global_load_dword v5, v[17:18], off
	;; [unrolled: 1-line block ×4, first 2 shown]
	global_load_dwordx2 v[24:25], v[15:16], off
	s_waitcnt vmcnt(0)
	v_fmac_f32_e32 v9, v5, v24
	v_mov_b32_e32 v5, v6
	v_lshlrev_b64 v[13:14], 2, v[4:5]
	v_add_u32_e32 v5, -11, v4
	v_add_co_u32_e32 v13, vcc, s12, v13
	v_lshlrev_b64 v[15:16], 2, v[5:6]
	v_addc_co_u32_e32 v14, vcc, v11, v14, vcc
	v_add_u32_e32 v5, 8, v19
	v_add_co_u32_e32 v15, vcc, s12, v15
	v_lshlrev_b64 v[17:18], 2, v[5:6]
	v_addc_co_u32_e32 v16, vcc, v11, v16, vcc
	v_add_u32_e32 v5, -1, v4
	v_add_co_u32_e32 v17, vcc, s14, v17
	v_lshlrev_b64 v[19:20], 2, v[5:6]
	v_addc_co_u32_e32 v18, vcc, v12, v18, vcc
	v_add_u32_e32 v5, -10, v4
	v_add_co_u32_e32 v19, vcc, s12, v19
	v_lshlrev_b64 v[21:22], 2, v[5:6]
	v_addc_co_u32_e32 v20, vcc, v11, v20, vcc
	v_fmac_f32_e32 v10, v3, v24
	v_add_co_u32_e32 v21, vcc, s12, v21
	v_fmac_f32_e32 v10, v26, v25
	v_fmac_f32_e32 v9, v27, v25
	v_addc_co_u32_e32 v22, vcc, v11, v22, vcc
	global_load_dword v3, v[13:14], off
	global_load_dword v5, v[15:16], off
	;; [unrolled: 1-line block ×4, first 2 shown]
	global_load_dwordx2 v[23:24], v[17:18], off
	v_cmp_ge_i32_e32 vcc, v2, v8
	s_or_b64 s[0:1], vcc, s[0:1]
	v_add_u32_e32 v4, 0x500, v4
	s_waitcnt vmcnt(0)
	v_fmac_f32_e32 v10, v5, v23
	v_fmac_f32_e32 v9, v25, v23
	;; [unrolled: 1-line block ×4, first 2 shown]
	s_andn2_b64 exec, exec, s[0:1]
	s_cbranch_execnz .LBB44_15
; %bb.16:
	s_or_b64 exec, exec, s[0:1]
.LBB44_17:
	s_or_b64 exec, exec, s[6:7]
.LBB44_18:
	v_mov_b32_dpp v2, v10 row_shr:1 row_mask:0xf bank_mask:0xf
	v_mov_b32_dpp v4, v9 row_shr:1 row_mask:0xf bank_mask:0xf
	v_add_f32_e32 v2, v10, v2
	v_add_f32_e32 v4, v9, v4
	v_cmp_eq_u32_e32 vcc, 63, v0
	v_mov_b32_dpp v3, v2 row_shr:2 row_mask:0xf bank_mask:0xf
	v_mov_b32_dpp v5, v4 row_shr:2 row_mask:0xf bank_mask:0xf
	v_add_f32_e32 v2, v2, v3
	v_add_f32_e32 v4, v4, v5
	s_nop 0
	v_mov_b32_dpp v3, v2 row_shr:4 row_mask:0xf bank_mask:0xe
	v_mov_b32_dpp v5, v4 row_shr:4 row_mask:0xf bank_mask:0xe
	v_add_f32_e32 v2, v2, v3
	v_add_f32_e32 v4, v4, v5
	s_nop 0
	v_mov_b32_dpp v3, v2 row_shr:8 row_mask:0xf bank_mask:0xc
	v_mov_b32_dpp v5, v4 row_shr:8 row_mask:0xf bank_mask:0xc
	v_add_f32_e32 v2, v2, v3
	v_add_f32_e32 v4, v4, v5
	s_nop 0
	v_mov_b32_dpp v3, v2 row_bcast:15 row_mask:0xa bank_mask:0xf
	v_mov_b32_dpp v5, v4 row_bcast:15 row_mask:0xa bank_mask:0xf
	v_add_f32_e32 v2, v2, v3
	v_add_f32_e32 v4, v4, v5
	s_nop 0
	v_mov_b32_dpp v3, v2 row_bcast:31 row_mask:0xc bank_mask:0xf
	v_mov_b32_dpp v5, v4 row_bcast:31 row_mask:0xc bank_mask:0xf
	s_and_b64 exec, exec, vcc
	s_cbranch_execz .LBB44_22
; %bb.19:
	s_load_dwordx2 s[0:1], s[4:5], 0x38
	v_add_f32_e32 v0, v2, v3
	v_add_f32_e32 v3, v4, v5
	v_cmp_eq_f32_e64 s[4:5], s2, 0
	s_and_b64 vcc, exec, s[4:5]
	v_mul_f32_e32 v2, s16, v0
	v_mul_f32_e32 v3, s16, v3
	v_lshlrev_b32_e32 v0, 1, v1
	s_cbranch_vccz .LBB44_23
; %bb.20:
	v_ashrrev_i32_e32 v1, 31, v0
	v_lshlrev_b64 v[4:5], 2, v[0:1]
	s_waitcnt lgkmcnt(0)
	v_mov_b32_e32 v1, s1
	v_add_co_u32_e32 v4, vcc, s0, v4
	v_addc_co_u32_e32 v5, vcc, v1, v5, vcc
	global_store_dwordx2 v[4:5], v[2:3], off
	s_cbranch_execnz .LBB44_22
.LBB44_21:
	v_ashrrev_i32_e32 v1, 31, v0
	v_lshlrev_b64 v[0:1], 2, v[0:1]
	s_waitcnt lgkmcnt(0)
	v_mov_b32_e32 v4, s1
	v_add_co_u32_e32 v0, vcc, s0, v0
	v_addc_co_u32_e32 v1, vcc, v4, v1, vcc
	global_load_dwordx2 v[4:5], v[0:1], off
	s_waitcnt vmcnt(0)
	v_fmac_f32_e32 v2, s2, v4
	v_fmac_f32_e32 v3, s2, v5
	global_store_dwordx2 v[0:1], v[2:3], off
.LBB44_22:
	s_endpgm
.LBB44_23:
	s_branch .LBB44_21
	.section	.rodata,"a",@progbits
	.p2align	6, 0x0
	.amdhsa_kernel _ZN9rocsparseL19gebsrmvn_2xn_kernelILj128ELj10ELj64EfEEvi20rocsparse_direction_NS_24const_host_device_scalarIT2_EEPKiS6_PKS3_S8_S4_PS3_21rocsparse_index_base_b
		.amdhsa_group_segment_fixed_size 0
		.amdhsa_private_segment_fixed_size 0
		.amdhsa_kernarg_size 72
		.amdhsa_user_sgpr_count 6
		.amdhsa_user_sgpr_private_segment_buffer 1
		.amdhsa_user_sgpr_dispatch_ptr 0
		.amdhsa_user_sgpr_queue_ptr 0
		.amdhsa_user_sgpr_kernarg_segment_ptr 1
		.amdhsa_user_sgpr_dispatch_id 0
		.amdhsa_user_sgpr_flat_scratch_init 0
		.amdhsa_user_sgpr_private_segment_size 0
		.amdhsa_uses_dynamic_stack 0
		.amdhsa_system_sgpr_private_segment_wavefront_offset 0
		.amdhsa_system_sgpr_workgroup_id_x 1
		.amdhsa_system_sgpr_workgroup_id_y 0
		.amdhsa_system_sgpr_workgroup_id_z 0
		.amdhsa_system_sgpr_workgroup_info 0
		.amdhsa_system_vgpr_workitem_id 0
		.amdhsa_next_free_vgpr 30
		.amdhsa_next_free_sgpr 20
		.amdhsa_reserve_vcc 1
		.amdhsa_reserve_flat_scratch 0
		.amdhsa_float_round_mode_32 0
		.amdhsa_float_round_mode_16_64 0
		.amdhsa_float_denorm_mode_32 3
		.amdhsa_float_denorm_mode_16_64 3
		.amdhsa_dx10_clamp 1
		.amdhsa_ieee_mode 1
		.amdhsa_fp16_overflow 0
		.amdhsa_exception_fp_ieee_invalid_op 0
		.amdhsa_exception_fp_denorm_src 0
		.amdhsa_exception_fp_ieee_div_zero 0
		.amdhsa_exception_fp_ieee_overflow 0
		.amdhsa_exception_fp_ieee_underflow 0
		.amdhsa_exception_fp_ieee_inexact 0
		.amdhsa_exception_int_div_zero 0
	.end_amdhsa_kernel
	.section	.text._ZN9rocsparseL19gebsrmvn_2xn_kernelILj128ELj10ELj64EfEEvi20rocsparse_direction_NS_24const_host_device_scalarIT2_EEPKiS6_PKS3_S8_S4_PS3_21rocsparse_index_base_b,"axG",@progbits,_ZN9rocsparseL19gebsrmvn_2xn_kernelILj128ELj10ELj64EfEEvi20rocsparse_direction_NS_24const_host_device_scalarIT2_EEPKiS6_PKS3_S8_S4_PS3_21rocsparse_index_base_b,comdat
.Lfunc_end44:
	.size	_ZN9rocsparseL19gebsrmvn_2xn_kernelILj128ELj10ELj64EfEEvi20rocsparse_direction_NS_24const_host_device_scalarIT2_EEPKiS6_PKS3_S8_S4_PS3_21rocsparse_index_base_b, .Lfunc_end44-_ZN9rocsparseL19gebsrmvn_2xn_kernelILj128ELj10ELj64EfEEvi20rocsparse_direction_NS_24const_host_device_scalarIT2_EEPKiS6_PKS3_S8_S4_PS3_21rocsparse_index_base_b
                                        ; -- End function
	.set _ZN9rocsparseL19gebsrmvn_2xn_kernelILj128ELj10ELj64EfEEvi20rocsparse_direction_NS_24const_host_device_scalarIT2_EEPKiS6_PKS3_S8_S4_PS3_21rocsparse_index_base_b.num_vgpr, 30
	.set _ZN9rocsparseL19gebsrmvn_2xn_kernelILj128ELj10ELj64EfEEvi20rocsparse_direction_NS_24const_host_device_scalarIT2_EEPKiS6_PKS3_S8_S4_PS3_21rocsparse_index_base_b.num_agpr, 0
	.set _ZN9rocsparseL19gebsrmvn_2xn_kernelILj128ELj10ELj64EfEEvi20rocsparse_direction_NS_24const_host_device_scalarIT2_EEPKiS6_PKS3_S8_S4_PS3_21rocsparse_index_base_b.numbered_sgpr, 20
	.set _ZN9rocsparseL19gebsrmvn_2xn_kernelILj128ELj10ELj64EfEEvi20rocsparse_direction_NS_24const_host_device_scalarIT2_EEPKiS6_PKS3_S8_S4_PS3_21rocsparse_index_base_b.num_named_barrier, 0
	.set _ZN9rocsparseL19gebsrmvn_2xn_kernelILj128ELj10ELj64EfEEvi20rocsparse_direction_NS_24const_host_device_scalarIT2_EEPKiS6_PKS3_S8_S4_PS3_21rocsparse_index_base_b.private_seg_size, 0
	.set _ZN9rocsparseL19gebsrmvn_2xn_kernelILj128ELj10ELj64EfEEvi20rocsparse_direction_NS_24const_host_device_scalarIT2_EEPKiS6_PKS3_S8_S4_PS3_21rocsparse_index_base_b.uses_vcc, 1
	.set _ZN9rocsparseL19gebsrmvn_2xn_kernelILj128ELj10ELj64EfEEvi20rocsparse_direction_NS_24const_host_device_scalarIT2_EEPKiS6_PKS3_S8_S4_PS3_21rocsparse_index_base_b.uses_flat_scratch, 0
	.set _ZN9rocsparseL19gebsrmvn_2xn_kernelILj128ELj10ELj64EfEEvi20rocsparse_direction_NS_24const_host_device_scalarIT2_EEPKiS6_PKS3_S8_S4_PS3_21rocsparse_index_base_b.has_dyn_sized_stack, 0
	.set _ZN9rocsparseL19gebsrmvn_2xn_kernelILj128ELj10ELj64EfEEvi20rocsparse_direction_NS_24const_host_device_scalarIT2_EEPKiS6_PKS3_S8_S4_PS3_21rocsparse_index_base_b.has_recursion, 0
	.set _ZN9rocsparseL19gebsrmvn_2xn_kernelILj128ELj10ELj64EfEEvi20rocsparse_direction_NS_24const_host_device_scalarIT2_EEPKiS6_PKS3_S8_S4_PS3_21rocsparse_index_base_b.has_indirect_call, 0
	.section	.AMDGPU.csdata,"",@progbits
; Kernel info:
; codeLenInByte = 2048
; TotalNumSgprs: 24
; NumVgprs: 30
; ScratchSize: 0
; MemoryBound: 0
; FloatMode: 240
; IeeeMode: 1
; LDSByteSize: 0 bytes/workgroup (compile time only)
; SGPRBlocks: 2
; VGPRBlocks: 7
; NumSGPRsForWavesPerEU: 24
; NumVGPRsForWavesPerEU: 30
; Occupancy: 8
; WaveLimiterHint : 1
; COMPUTE_PGM_RSRC2:SCRATCH_EN: 0
; COMPUTE_PGM_RSRC2:USER_SGPR: 6
; COMPUTE_PGM_RSRC2:TRAP_HANDLER: 0
; COMPUTE_PGM_RSRC2:TGID_X_EN: 1
; COMPUTE_PGM_RSRC2:TGID_Y_EN: 0
; COMPUTE_PGM_RSRC2:TGID_Z_EN: 0
; COMPUTE_PGM_RSRC2:TIDIG_COMP_CNT: 0
	.section	.text._ZN9rocsparseL19gebsrmvn_2xn_kernelILj128ELj11ELj4EfEEvi20rocsparse_direction_NS_24const_host_device_scalarIT2_EEPKiS6_PKS3_S8_S4_PS3_21rocsparse_index_base_b,"axG",@progbits,_ZN9rocsparseL19gebsrmvn_2xn_kernelILj128ELj11ELj4EfEEvi20rocsparse_direction_NS_24const_host_device_scalarIT2_EEPKiS6_PKS3_S8_S4_PS3_21rocsparse_index_base_b,comdat
	.globl	_ZN9rocsparseL19gebsrmvn_2xn_kernelILj128ELj11ELj4EfEEvi20rocsparse_direction_NS_24const_host_device_scalarIT2_EEPKiS6_PKS3_S8_S4_PS3_21rocsparse_index_base_b ; -- Begin function _ZN9rocsparseL19gebsrmvn_2xn_kernelILj128ELj11ELj4EfEEvi20rocsparse_direction_NS_24const_host_device_scalarIT2_EEPKiS6_PKS3_S8_S4_PS3_21rocsparse_index_base_b
	.p2align	8
	.type	_ZN9rocsparseL19gebsrmvn_2xn_kernelILj128ELj11ELj4EfEEvi20rocsparse_direction_NS_24const_host_device_scalarIT2_EEPKiS6_PKS3_S8_S4_PS3_21rocsparse_index_base_b,@function
_ZN9rocsparseL19gebsrmvn_2xn_kernelILj128ELj11ELj4EfEEvi20rocsparse_direction_NS_24const_host_device_scalarIT2_EEPKiS6_PKS3_S8_S4_PS3_21rocsparse_index_base_b: ; @_ZN9rocsparseL19gebsrmvn_2xn_kernelILj128ELj11ELj4EfEEvi20rocsparse_direction_NS_24const_host_device_scalarIT2_EEPKiS6_PKS3_S8_S4_PS3_21rocsparse_index_base_b
; %bb.0:
	s_load_dwordx2 s[18:19], s[4:5], 0x40
	s_load_dwordx2 s[16:17], s[4:5], 0x8
	;; [unrolled: 1-line block ×3, first 2 shown]
	s_waitcnt lgkmcnt(0)
	s_bitcmp1_b32 s19, 0
	s_cselect_b64 s[8:9], -1, 0
	s_xor_b64 s[0:1], s[8:9], -1
	s_and_b64 vcc, exec, s[8:9]
	s_cbranch_vccnz .LBB45_2
; %bb.1:
	s_load_dword s16, s[16:17], 0x0
.LBB45_2:
	s_andn2_b64 vcc, exec, s[0:1]
	s_cbranch_vccnz .LBB45_4
; %bb.3:
	s_load_dword s2, s[2:3], 0x0
.LBB45_4:
	s_waitcnt lgkmcnt(0)
	v_cmp_eq_f32_e64 s[0:1], s16, 0
	v_cmp_eq_f32_e64 s[8:9], s2, 1.0
	s_and_b64 s[0:1], s[0:1], s[8:9]
	s_and_b64 vcc, exec, s[0:1]
	s_cbranch_vccnz .LBB45_22
; %bb.5:
	s_load_dwordx2 s[0:1], s[4:5], 0x0
	v_lshrrev_b32_e32 v1, 2, v0
	v_lshl_or_b32 v1, s6, 5, v1
	s_waitcnt lgkmcnt(0)
	v_cmp_gt_i32_e32 vcc, s0, v1
	s_and_saveexec_b64 s[6:7], vcc
	s_cbranch_execz .LBB45_22
; %bb.6:
	s_load_dwordx8 s[8:15], s[4:5], 0x10
	v_ashrrev_i32_e32 v2, 31, v1
	v_lshlrev_b64 v[2:3], 2, v[1:2]
	v_and_b32_e32 v0, 3, v0
	s_cmp_lg_u32 s1, 0
	s_waitcnt lgkmcnt(0)
	v_mov_b32_e32 v4, s9
	v_add_co_u32_e32 v2, vcc, s8, v2
	v_addc_co_u32_e32 v3, vcc, v4, v3, vcc
	global_load_dwordx2 v[2:3], v[2:3], off
	s_waitcnt vmcnt(0)
	v_subrev_u32_e32 v2, s18, v2
	v_subrev_u32_e32 v9, s18, v3
	v_add_u32_e32 v2, v2, v0
	v_cmp_lt_i32_e64 s[0:1], v2, v9
	s_cbranch_scc0 .LBB45_12
; %bb.7:
	v_mov_b32_e32 v10, 0
	v_mov_b32_e32 v11, 0
	s_and_saveexec_b64 s[6:7], s[0:1]
	s_cbranch_execz .LBB45_11
; %bb.8:
	v_mad_u64_u32 v[3:4], s[8:9], v2, 22, 20
	v_mov_b32_e32 v6, 0
	s_mov_b64 s[8:9], 0
	v_mov_b32_e32 v12, s11
	v_mov_b32_e32 v13, s13
	;; [unrolled: 1-line block ×6, first 2 shown]
.LBB45_9:                               ; =>This Inner Loop Header: Depth=1
	v_ashrrev_i32_e32 v8, 31, v7
	v_lshlrev_b64 v[17:18], 2, v[7:8]
	v_subrev_u32_e32 v5, 20, v3
	v_add_co_u32_e32 v17, vcc, s10, v17
	v_addc_co_u32_e32 v18, vcc, v12, v18, vcc
	global_load_dword v8, v[17:18], off
	v_lshlrev_b64 v[19:20], 2, v[5:6]
	v_mov_b32_e32 v16, v6
	v_add_co_u32_e32 v19, vcc, s12, v19
	v_addc_co_u32_e32 v20, vcc, v13, v20, vcc
	v_mov_b32_e32 v4, v6
	v_lshlrev_b64 v[21:22], 2, v[3:4]
	v_subrev_u32_e32 v5, 18, v3
	v_add_u32_e32 v7, 4, v7
	s_waitcnt vmcnt(0)
	v_subrev_u32_e32 v8, s18, v8
	v_mul_lo_u32 v15, v8, 11
	v_lshlrev_b64 v[16:17], 2, v[15:16]
	v_add_co_u32_e32 v16, vcc, s14, v16
	v_addc_co_u32_e32 v17, vcc, v14, v17, vcc
	global_load_dwordx2 v[23:24], v[19:20], off
	global_load_dword v4, v[16:17], off
	v_add_co_u32_e32 v16, vcc, s12, v21
	v_addc_co_u32_e32 v17, vcc, v13, v22, vcc
	s_waitcnt vmcnt(0)
	v_fmac_f32_e32 v10, v23, v4
	v_fmac_f32_e32 v11, v24, v4
	v_lshlrev_b64 v[4:5], 2, v[5:6]
	v_add_co_u32_e32 v18, vcc, s12, v4
	v_addc_co_u32_e32 v19, vcc, v13, v5, vcc
	v_add_u32_e32 v5, 1, v15
	v_lshlrev_b64 v[4:5], 2, v[5:6]
	global_load_dwordx2 v[18:19], v[18:19], off
	v_add_co_u32_e32 v20, vcc, s14, v4
	v_addc_co_u32_e32 v21, vcc, v14, v5, vcc
	global_load_dword v4, v[20:21], off
	v_add_u32_e32 v5, -16, v3
	s_waitcnt vmcnt(0)
	v_fmac_f32_e32 v10, v18, v4
	v_fmac_f32_e32 v11, v19, v4
	v_lshlrev_b64 v[18:19], 2, v[5:6]
	v_add_u32_e32 v5, 2, v15
	v_add_co_u32_e32 v18, vcc, s12, v18
	v_lshlrev_b64 v[4:5], 2, v[5:6]
	v_addc_co_u32_e32 v19, vcc, v13, v19, vcc
	v_add_co_u32_e32 v20, vcc, s14, v4
	v_addc_co_u32_e32 v21, vcc, v14, v5, vcc
	global_load_dwordx2 v[22:23], v[18:19], off
	global_load_dword v4, v[20:21], off
	v_add_u32_e32 v5, -14, v3
	v_lshlrev_b64 v[18:19], 2, v[5:6]
	v_add_u32_e32 v5, 3, v15
	v_add_co_u32_e32 v18, vcc, s12, v18
	v_addc_co_u32_e32 v19, vcc, v13, v19, vcc
	s_waitcnt vmcnt(0)
	v_fmac_f32_e32 v10, v22, v4
	v_fmac_f32_e32 v11, v23, v4
	v_lshlrev_b64 v[4:5], 2, v[5:6]
	v_add_co_u32_e32 v20, vcc, s14, v4
	v_addc_co_u32_e32 v21, vcc, v14, v5, vcc
	global_load_dwordx2 v[22:23], v[18:19], off
	global_load_dword v4, v[20:21], off
	v_add_u32_e32 v5, -12, v3
	v_lshlrev_b64 v[18:19], 2, v[5:6]
	v_add_u32_e32 v5, 4, v15
	v_add_co_u32_e32 v18, vcc, s12, v18
	v_addc_co_u32_e32 v19, vcc, v13, v19, vcc
	s_waitcnt vmcnt(0)
	v_fmac_f32_e32 v10, v22, v4
	v_fmac_f32_e32 v11, v23, v4
	v_lshlrev_b64 v[4:5], 2, v[5:6]
	;; [unrolled: 13-line block ×6, first 2 shown]
	v_add_co_u32_e32 v20, vcc, s14, v4
	v_addc_co_u32_e32 v21, vcc, v14, v5, vcc
	global_load_dwordx2 v[22:23], v[18:19], off
	global_load_dword v4, v[20:21], off
	v_add_u32_e32 v5, -2, v3
	v_lshlrev_b64 v[18:19], 2, v[5:6]
	v_add_u32_e32 v5, 9, v15
	v_lshlrev_b64 v[20:21], 2, v[5:6]
	v_add_co_u32_e32 v18, vcc, s12, v18
	v_add_u32_e32 v5, 10, v15
	v_addc_co_u32_e32 v19, vcc, v13, v19, vcc
	v_add_co_u32_e32 v20, vcc, s14, v20
	v_addc_co_u32_e32 v21, vcc, v14, v21, vcc
	v_add_u32_e32 v3, 0x58, v3
	s_waitcnt vmcnt(0)
	v_fmac_f32_e32 v10, v22, v4
	v_fmac_f32_e32 v11, v23, v4
	v_lshlrev_b64 v[4:5], 2, v[5:6]
	v_add_co_u32_e32 v4, vcc, s14, v4
	v_addc_co_u32_e32 v5, vcc, v14, v5, vcc
	global_load_dwordx2 v[22:23], v[16:17], off
	global_load_dwordx2 v[24:25], v[18:19], off
	global_load_dword v8, v[20:21], off
	global_load_dword v15, v[4:5], off
	v_cmp_ge_i32_e32 vcc, v7, v9
	s_or_b64 s[8:9], vcc, s[8:9]
	s_waitcnt vmcnt(1)
	v_fmac_f32_e32 v10, v24, v8
	v_fmac_f32_e32 v11, v25, v8
	s_waitcnt vmcnt(0)
	v_fmac_f32_e32 v10, v22, v15
	v_fmac_f32_e32 v11, v23, v15
	s_andn2_b64 exec, exec, s[8:9]
	s_cbranch_execnz .LBB45_9
; %bb.10:
	s_or_b64 exec, exec, s[8:9]
.LBB45_11:
	s_or_b64 exec, exec, s[6:7]
	s_cbranch_execz .LBB45_13
	s_branch .LBB45_18
.LBB45_12:
                                        ; implicit-def: $vgpr10
                                        ; implicit-def: $vgpr11
.LBB45_13:
	v_mov_b32_e32 v10, 0
	v_mov_b32_e32 v11, 0
	s_and_saveexec_b64 s[6:7], s[0:1]
	s_cbranch_execz .LBB45_17
; %bb.14:
	v_mad_u64_u32 v[4:5], s[0:1], v2, 22, 21
	v_mov_b32_e32 v6, 0
	s_mov_b64 s[0:1], 0
	v_mov_b32_e32 v7, s11
	v_mov_b32_e32 v8, s13
	;; [unrolled: 1-line block ×5, first 2 shown]
.LBB45_15:                              ; =>This Inner Loop Header: Depth=1
	v_ashrrev_i32_e32 v3, 31, v2
	v_lshlrev_b64 v[13:14], 2, v[2:3]
	v_subrev_u32_e32 v5, 21, v4
	v_add_co_u32_e32 v13, vcc, s10, v13
	v_addc_co_u32_e32 v14, vcc, v7, v14, vcc
	global_load_dword v3, v[13:14], off
	v_lshlrev_b64 v[16:17], 2, v[5:6]
	v_mov_b32_e32 v14, v6
	v_add_co_u32_e32 v16, vcc, s12, v16
	v_addc_co_u32_e32 v17, vcc, v8, v17, vcc
	global_load_dwordx2 v[16:17], v[16:17], off
	v_add_u32_e32 v15, -10, v4
	v_add_u32_e32 v2, 4, v2
	s_waitcnt vmcnt(1)
	v_subrev_u32_e32 v3, s18, v3
	v_mul_lo_u32 v13, v3, 11
	v_lshlrev_b64 v[18:19], 2, v[13:14]
	v_add_co_u32_e32 v18, vcc, s14, v18
	v_addc_co_u32_e32 v19, vcc, v12, v19, vcc
	global_load_dword v3, v[18:19], off
	s_waitcnt vmcnt(0)
	v_fmac_f32_e32 v10, v16, v3
	v_mov_b32_e32 v16, v6
	v_lshlrev_b64 v[14:15], 2, v[15:16]
	v_add_co_u32_e32 v14, vcc, s12, v14
	v_addc_co_u32_e32 v15, vcc, v8, v15, vcc
	global_load_dword v5, v[14:15], off
	s_waitcnt vmcnt(0)
	v_fmac_f32_e32 v11, v5, v3
	v_add_u32_e32 v5, 1, v13
	v_lshlrev_b64 v[14:15], 2, v[5:6]
	v_add_u32_e32 v5, -9, v4
	v_add_co_u32_e32 v14, vcc, s14, v14
	v_addc_co_u32_e32 v15, vcc, v12, v15, vcc
	global_load_dword v3, v[14:15], off
	v_lshlrev_b64 v[14:15], 2, v[5:6]
	v_add_co_u32_e32 v14, vcc, s12, v14
	v_addc_co_u32_e32 v15, vcc, v8, v15, vcc
	global_load_dword v5, v[14:15], off
	s_waitcnt vmcnt(1)
	v_fmac_f32_e32 v10, v17, v3
	s_waitcnt vmcnt(0)
	v_fmac_f32_e32 v11, v5, v3
	v_subrev_u32_e32 v5, 19, v4
	v_lshlrev_b64 v[14:15], 2, v[5:6]
	v_add_u32_e32 v5, 2, v13
	v_add_co_u32_e32 v14, vcc, s12, v14
	v_addc_co_u32_e32 v15, vcc, v8, v15, vcc
	global_load_dword v3, v[14:15], off
	v_lshlrev_b64 v[14:15], 2, v[5:6]
	v_add_u32_e32 v5, -8, v4
	v_add_co_u32_e32 v14, vcc, s14, v14
	v_addc_co_u32_e32 v15, vcc, v12, v15, vcc
	global_load_dword v16, v[14:15], off
	v_lshlrev_b64 v[14:15], 2, v[5:6]
	v_subrev_u32_e32 v5, 18, v4
	v_add_co_u32_e32 v14, vcc, s12, v14
	v_addc_co_u32_e32 v15, vcc, v8, v15, vcc
	s_waitcnt vmcnt(0)
	v_fmac_f32_e32 v10, v3, v16
	global_load_dword v3, v[14:15], off
	v_lshlrev_b64 v[14:15], 2, v[5:6]
	v_add_u32_e32 v5, 3, v13
	v_add_co_u32_e32 v14, vcc, s12, v14
	v_addc_co_u32_e32 v15, vcc, v8, v15, vcc
	s_waitcnt vmcnt(0)
	v_fmac_f32_e32 v11, v3, v16
	global_load_dword v3, v[14:15], off
	v_lshlrev_b64 v[14:15], 2, v[5:6]
	v_add_u32_e32 v5, -7, v4
	v_add_co_u32_e32 v14, vcc, s14, v14
	v_addc_co_u32_e32 v15, vcc, v12, v15, vcc
	global_load_dword v16, v[14:15], off
	v_lshlrev_b64 v[14:15], 2, v[5:6]
	v_subrev_u32_e32 v5, 17, v4
	v_add_co_u32_e32 v14, vcc, s12, v14
	v_addc_co_u32_e32 v15, vcc, v8, v15, vcc
	s_waitcnt vmcnt(0)
	v_fmac_f32_e32 v10, v3, v16
	global_load_dword v3, v[14:15], off
	v_lshlrev_b64 v[14:15], 2, v[5:6]
	v_add_u32_e32 v5, 4, v13
	v_add_co_u32_e32 v14, vcc, s12, v14
	v_addc_co_u32_e32 v15, vcc, v8, v15, vcc
	s_waitcnt vmcnt(0)
	v_fmac_f32_e32 v11, v3, v16
	global_load_dword v3, v[14:15], off
	v_lshlrev_b64 v[14:15], 2, v[5:6]
	v_add_u32_e32 v5, -6, v4
	v_add_co_u32_e32 v14, vcc, s14, v14
	v_addc_co_u32_e32 v15, vcc, v12, v15, vcc
	global_load_dword v16, v[14:15], off
	v_lshlrev_b64 v[14:15], 2, v[5:6]
	v_add_u32_e32 v5, -16, v4
	v_add_co_u32_e32 v14, vcc, s12, v14
	v_addc_co_u32_e32 v15, vcc, v8, v15, vcc
	s_waitcnt vmcnt(0)
	v_fmac_f32_e32 v10, v3, v16
	global_load_dword v3, v[14:15], off
	v_lshlrev_b64 v[14:15], 2, v[5:6]
	v_add_u32_e32 v5, 5, v13
	v_add_co_u32_e32 v14, vcc, s12, v14
	v_addc_co_u32_e32 v15, vcc, v8, v15, vcc
	s_waitcnt vmcnt(0)
	v_fmac_f32_e32 v11, v3, v16
	global_load_dword v3, v[14:15], off
	v_lshlrev_b64 v[14:15], 2, v[5:6]
	v_add_u32_e32 v5, -5, v4
	v_add_co_u32_e32 v14, vcc, s14, v14
	v_addc_co_u32_e32 v15, vcc, v12, v15, vcc
	global_load_dword v16, v[14:15], off
	v_lshlrev_b64 v[14:15], 2, v[5:6]
	v_add_u32_e32 v5, -15, v4
	;; [unrolled: 19-line block ×6, first 2 shown]
	v_add_co_u32_e32 v14, vcc, s12, v14
	v_addc_co_u32_e32 v15, vcc, v8, v15, vcc
	s_waitcnt vmcnt(0)
	v_fmac_f32_e32 v10, v3, v16
	global_load_dword v3, v[14:15], off
	v_lshlrev_b64 v[14:15], 2, v[5:6]
	v_add_u32_e32 v5, 10, v13
	v_add_co_u32_e32 v14, vcc, s12, v14
	v_addc_co_u32_e32 v15, vcc, v8, v15, vcc
	s_waitcnt vmcnt(0)
	v_fmac_f32_e32 v11, v3, v16
	global_load_dword v3, v[14:15], off
	v_lshlrev_b64 v[13:14], 2, v[5:6]
	v_mov_b32_e32 v5, v6
	v_add_co_u32_e32 v13, vcc, s14, v13
	v_addc_co_u32_e32 v14, vcc, v12, v14, vcc
	global_load_dword v15, v[13:14], off
	v_lshlrev_b64 v[13:14], 2, v[4:5]
	v_add_u32_e32 v4, 0x58, v4
	v_add_co_u32_e32 v13, vcc, s12, v13
	v_addc_co_u32_e32 v14, vcc, v8, v14, vcc
	v_cmp_ge_i32_e32 vcc, v2, v9
	s_or_b64 s[0:1], vcc, s[0:1]
	s_waitcnt vmcnt(0)
	v_fmac_f32_e32 v10, v3, v15
	global_load_dword v3, v[13:14], off
	s_waitcnt vmcnt(0)
	v_fmac_f32_e32 v11, v3, v15
	s_andn2_b64 exec, exec, s[0:1]
	s_cbranch_execnz .LBB45_15
; %bb.16:
	s_or_b64 exec, exec, s[0:1]
.LBB45_17:
	s_or_b64 exec, exec, s[6:7]
.LBB45_18:
	v_mov_b32_dpp v2, v10 row_shr:1 row_mask:0xf bank_mask:0xf
	v_mov_b32_dpp v4, v11 row_shr:1 row_mask:0xf bank_mask:0xf
	v_add_f32_e32 v2, v10, v2
	v_add_f32_e32 v4, v11, v4
	v_cmp_eq_u32_e32 vcc, 3, v0
	v_mov_b32_dpp v3, v2 row_shr:2 row_mask:0xf bank_mask:0xf
	v_mov_b32_dpp v5, v4 row_shr:2 row_mask:0xf bank_mask:0xf
	s_and_b64 exec, exec, vcc
	s_cbranch_execz .LBB45_22
; %bb.19:
	s_load_dwordx2 s[0:1], s[4:5], 0x38
	v_add_f32_e32 v0, v2, v3
	v_add_f32_e32 v3, v4, v5
	v_cmp_eq_f32_e64 s[4:5], s2, 0
	s_and_b64 vcc, exec, s[4:5]
	v_mul_f32_e32 v2, s16, v0
	v_mul_f32_e32 v3, s16, v3
	v_lshlrev_b32_e32 v0, 1, v1
	s_cbranch_vccz .LBB45_23
; %bb.20:
	v_ashrrev_i32_e32 v1, 31, v0
	v_lshlrev_b64 v[4:5], 2, v[0:1]
	s_waitcnt lgkmcnt(0)
	v_mov_b32_e32 v1, s1
	v_add_co_u32_e32 v4, vcc, s0, v4
	v_addc_co_u32_e32 v5, vcc, v1, v5, vcc
	global_store_dwordx2 v[4:5], v[2:3], off
	s_cbranch_execnz .LBB45_22
.LBB45_21:
	v_ashrrev_i32_e32 v1, 31, v0
	v_lshlrev_b64 v[0:1], 2, v[0:1]
	s_waitcnt lgkmcnt(0)
	v_mov_b32_e32 v4, s1
	v_add_co_u32_e32 v0, vcc, s0, v0
	v_addc_co_u32_e32 v1, vcc, v4, v1, vcc
	global_load_dwordx2 v[4:5], v[0:1], off
	s_waitcnt vmcnt(0)
	v_fmac_f32_e32 v2, s2, v4
	v_fmac_f32_e32 v3, s2, v5
	global_store_dwordx2 v[0:1], v[2:3], off
.LBB45_22:
	s_endpgm
.LBB45_23:
	s_branch .LBB45_21
	.section	.rodata,"a",@progbits
	.p2align	6, 0x0
	.amdhsa_kernel _ZN9rocsparseL19gebsrmvn_2xn_kernelILj128ELj11ELj4EfEEvi20rocsparse_direction_NS_24const_host_device_scalarIT2_EEPKiS6_PKS3_S8_S4_PS3_21rocsparse_index_base_b
		.amdhsa_group_segment_fixed_size 0
		.amdhsa_private_segment_fixed_size 0
		.amdhsa_kernarg_size 72
		.amdhsa_user_sgpr_count 6
		.amdhsa_user_sgpr_private_segment_buffer 1
		.amdhsa_user_sgpr_dispatch_ptr 0
		.amdhsa_user_sgpr_queue_ptr 0
		.amdhsa_user_sgpr_kernarg_segment_ptr 1
		.amdhsa_user_sgpr_dispatch_id 0
		.amdhsa_user_sgpr_flat_scratch_init 0
		.amdhsa_user_sgpr_private_segment_size 0
		.amdhsa_uses_dynamic_stack 0
		.amdhsa_system_sgpr_private_segment_wavefront_offset 0
		.amdhsa_system_sgpr_workgroup_id_x 1
		.amdhsa_system_sgpr_workgroup_id_y 0
		.amdhsa_system_sgpr_workgroup_id_z 0
		.amdhsa_system_sgpr_workgroup_info 0
		.amdhsa_system_vgpr_workitem_id 0
		.amdhsa_next_free_vgpr 26
		.amdhsa_next_free_sgpr 20
		.amdhsa_reserve_vcc 1
		.amdhsa_reserve_flat_scratch 0
		.amdhsa_float_round_mode_32 0
		.amdhsa_float_round_mode_16_64 0
		.amdhsa_float_denorm_mode_32 3
		.amdhsa_float_denorm_mode_16_64 3
		.amdhsa_dx10_clamp 1
		.amdhsa_ieee_mode 1
		.amdhsa_fp16_overflow 0
		.amdhsa_exception_fp_ieee_invalid_op 0
		.amdhsa_exception_fp_denorm_src 0
		.amdhsa_exception_fp_ieee_div_zero 0
		.amdhsa_exception_fp_ieee_overflow 0
		.amdhsa_exception_fp_ieee_underflow 0
		.amdhsa_exception_fp_ieee_inexact 0
		.amdhsa_exception_int_div_zero 0
	.end_amdhsa_kernel
	.section	.text._ZN9rocsparseL19gebsrmvn_2xn_kernelILj128ELj11ELj4EfEEvi20rocsparse_direction_NS_24const_host_device_scalarIT2_EEPKiS6_PKS3_S8_S4_PS3_21rocsparse_index_base_b,"axG",@progbits,_ZN9rocsparseL19gebsrmvn_2xn_kernelILj128ELj11ELj4EfEEvi20rocsparse_direction_NS_24const_host_device_scalarIT2_EEPKiS6_PKS3_S8_S4_PS3_21rocsparse_index_base_b,comdat
.Lfunc_end45:
	.size	_ZN9rocsparseL19gebsrmvn_2xn_kernelILj128ELj11ELj4EfEEvi20rocsparse_direction_NS_24const_host_device_scalarIT2_EEPKiS6_PKS3_S8_S4_PS3_21rocsparse_index_base_b, .Lfunc_end45-_ZN9rocsparseL19gebsrmvn_2xn_kernelILj128ELj11ELj4EfEEvi20rocsparse_direction_NS_24const_host_device_scalarIT2_EEPKiS6_PKS3_S8_S4_PS3_21rocsparse_index_base_b
                                        ; -- End function
	.set _ZN9rocsparseL19gebsrmvn_2xn_kernelILj128ELj11ELj4EfEEvi20rocsparse_direction_NS_24const_host_device_scalarIT2_EEPKiS6_PKS3_S8_S4_PS3_21rocsparse_index_base_b.num_vgpr, 26
	.set _ZN9rocsparseL19gebsrmvn_2xn_kernelILj128ELj11ELj4EfEEvi20rocsparse_direction_NS_24const_host_device_scalarIT2_EEPKiS6_PKS3_S8_S4_PS3_21rocsparse_index_base_b.num_agpr, 0
	.set _ZN9rocsparseL19gebsrmvn_2xn_kernelILj128ELj11ELj4EfEEvi20rocsparse_direction_NS_24const_host_device_scalarIT2_EEPKiS6_PKS3_S8_S4_PS3_21rocsparse_index_base_b.numbered_sgpr, 20
	.set _ZN9rocsparseL19gebsrmvn_2xn_kernelILj128ELj11ELj4EfEEvi20rocsparse_direction_NS_24const_host_device_scalarIT2_EEPKiS6_PKS3_S8_S4_PS3_21rocsparse_index_base_b.num_named_barrier, 0
	.set _ZN9rocsparseL19gebsrmvn_2xn_kernelILj128ELj11ELj4EfEEvi20rocsparse_direction_NS_24const_host_device_scalarIT2_EEPKiS6_PKS3_S8_S4_PS3_21rocsparse_index_base_b.private_seg_size, 0
	.set _ZN9rocsparseL19gebsrmvn_2xn_kernelILj128ELj11ELj4EfEEvi20rocsparse_direction_NS_24const_host_device_scalarIT2_EEPKiS6_PKS3_S8_S4_PS3_21rocsparse_index_base_b.uses_vcc, 1
	.set _ZN9rocsparseL19gebsrmvn_2xn_kernelILj128ELj11ELj4EfEEvi20rocsparse_direction_NS_24const_host_device_scalarIT2_EEPKiS6_PKS3_S8_S4_PS3_21rocsparse_index_base_b.uses_flat_scratch, 0
	.set _ZN9rocsparseL19gebsrmvn_2xn_kernelILj128ELj11ELj4EfEEvi20rocsparse_direction_NS_24const_host_device_scalarIT2_EEPKiS6_PKS3_S8_S4_PS3_21rocsparse_index_base_b.has_dyn_sized_stack, 0
	.set _ZN9rocsparseL19gebsrmvn_2xn_kernelILj128ELj11ELj4EfEEvi20rocsparse_direction_NS_24const_host_device_scalarIT2_EEPKiS6_PKS3_S8_S4_PS3_21rocsparse_index_base_b.has_recursion, 0
	.set _ZN9rocsparseL19gebsrmvn_2xn_kernelILj128ELj11ELj4EfEEvi20rocsparse_direction_NS_24const_host_device_scalarIT2_EEPKiS6_PKS3_S8_S4_PS3_21rocsparse_index_base_b.has_indirect_call, 0
	.section	.AMDGPU.csdata,"",@progbits
; Kernel info:
; codeLenInByte = 2520
; TotalNumSgprs: 24
; NumVgprs: 26
; ScratchSize: 0
; MemoryBound: 0
; FloatMode: 240
; IeeeMode: 1
; LDSByteSize: 0 bytes/workgroup (compile time only)
; SGPRBlocks: 2
; VGPRBlocks: 6
; NumSGPRsForWavesPerEU: 24
; NumVGPRsForWavesPerEU: 26
; Occupancy: 9
; WaveLimiterHint : 1
; COMPUTE_PGM_RSRC2:SCRATCH_EN: 0
; COMPUTE_PGM_RSRC2:USER_SGPR: 6
; COMPUTE_PGM_RSRC2:TRAP_HANDLER: 0
; COMPUTE_PGM_RSRC2:TGID_X_EN: 1
; COMPUTE_PGM_RSRC2:TGID_Y_EN: 0
; COMPUTE_PGM_RSRC2:TGID_Z_EN: 0
; COMPUTE_PGM_RSRC2:TIDIG_COMP_CNT: 0
	.section	.text._ZN9rocsparseL19gebsrmvn_2xn_kernelILj128ELj11ELj8EfEEvi20rocsparse_direction_NS_24const_host_device_scalarIT2_EEPKiS6_PKS3_S8_S4_PS3_21rocsparse_index_base_b,"axG",@progbits,_ZN9rocsparseL19gebsrmvn_2xn_kernelILj128ELj11ELj8EfEEvi20rocsparse_direction_NS_24const_host_device_scalarIT2_EEPKiS6_PKS3_S8_S4_PS3_21rocsparse_index_base_b,comdat
	.globl	_ZN9rocsparseL19gebsrmvn_2xn_kernelILj128ELj11ELj8EfEEvi20rocsparse_direction_NS_24const_host_device_scalarIT2_EEPKiS6_PKS3_S8_S4_PS3_21rocsparse_index_base_b ; -- Begin function _ZN9rocsparseL19gebsrmvn_2xn_kernelILj128ELj11ELj8EfEEvi20rocsparse_direction_NS_24const_host_device_scalarIT2_EEPKiS6_PKS3_S8_S4_PS3_21rocsparse_index_base_b
	.p2align	8
	.type	_ZN9rocsparseL19gebsrmvn_2xn_kernelILj128ELj11ELj8EfEEvi20rocsparse_direction_NS_24const_host_device_scalarIT2_EEPKiS6_PKS3_S8_S4_PS3_21rocsparse_index_base_b,@function
_ZN9rocsparseL19gebsrmvn_2xn_kernelILj128ELj11ELj8EfEEvi20rocsparse_direction_NS_24const_host_device_scalarIT2_EEPKiS6_PKS3_S8_S4_PS3_21rocsparse_index_base_b: ; @_ZN9rocsparseL19gebsrmvn_2xn_kernelILj128ELj11ELj8EfEEvi20rocsparse_direction_NS_24const_host_device_scalarIT2_EEPKiS6_PKS3_S8_S4_PS3_21rocsparse_index_base_b
; %bb.0:
	s_load_dwordx2 s[18:19], s[4:5], 0x40
	s_load_dwordx2 s[16:17], s[4:5], 0x8
	;; [unrolled: 1-line block ×3, first 2 shown]
	s_waitcnt lgkmcnt(0)
	s_bitcmp1_b32 s19, 0
	s_cselect_b64 s[8:9], -1, 0
	s_xor_b64 s[0:1], s[8:9], -1
	s_and_b64 vcc, exec, s[8:9]
	s_cbranch_vccnz .LBB46_2
; %bb.1:
	s_load_dword s16, s[16:17], 0x0
.LBB46_2:
	s_andn2_b64 vcc, exec, s[0:1]
	s_cbranch_vccnz .LBB46_4
; %bb.3:
	s_load_dword s2, s[2:3], 0x0
.LBB46_4:
	s_waitcnt lgkmcnt(0)
	v_cmp_eq_f32_e64 s[0:1], s16, 0
	v_cmp_eq_f32_e64 s[8:9], s2, 1.0
	s_and_b64 s[0:1], s[0:1], s[8:9]
	s_and_b64 vcc, exec, s[0:1]
	s_cbranch_vccnz .LBB46_22
; %bb.5:
	s_load_dwordx2 s[0:1], s[4:5], 0x0
	v_lshrrev_b32_e32 v1, 3, v0
	v_lshl_or_b32 v1, s6, 4, v1
	s_waitcnt lgkmcnt(0)
	v_cmp_gt_i32_e32 vcc, s0, v1
	s_and_saveexec_b64 s[6:7], vcc
	s_cbranch_execz .LBB46_22
; %bb.6:
	s_load_dwordx8 s[8:15], s[4:5], 0x10
	v_ashrrev_i32_e32 v2, 31, v1
	v_lshlrev_b64 v[2:3], 2, v[1:2]
	v_and_b32_e32 v0, 7, v0
	s_cmp_lg_u32 s1, 0
	s_waitcnt lgkmcnt(0)
	v_mov_b32_e32 v4, s9
	v_add_co_u32_e32 v2, vcc, s8, v2
	v_addc_co_u32_e32 v3, vcc, v4, v3, vcc
	global_load_dwordx2 v[2:3], v[2:3], off
	s_waitcnt vmcnt(0)
	v_subrev_u32_e32 v2, s18, v2
	v_subrev_u32_e32 v9, s18, v3
	v_add_u32_e32 v2, v2, v0
	v_cmp_lt_i32_e64 s[0:1], v2, v9
	s_cbranch_scc0 .LBB46_12
; %bb.7:
	v_mov_b32_e32 v10, 0
	v_mov_b32_e32 v11, 0
	s_and_saveexec_b64 s[6:7], s[0:1]
	s_cbranch_execz .LBB46_11
; %bb.8:
	v_mad_u64_u32 v[3:4], s[8:9], v2, 22, 20
	v_mov_b32_e32 v6, 0
	s_mov_b64 s[8:9], 0
	v_mov_b32_e32 v12, s11
	v_mov_b32_e32 v13, s13
	;; [unrolled: 1-line block ×6, first 2 shown]
.LBB46_9:                               ; =>This Inner Loop Header: Depth=1
	v_ashrrev_i32_e32 v8, 31, v7
	v_lshlrev_b64 v[17:18], 2, v[7:8]
	v_subrev_u32_e32 v5, 20, v3
	v_add_co_u32_e32 v17, vcc, s10, v17
	v_addc_co_u32_e32 v18, vcc, v12, v18, vcc
	global_load_dword v8, v[17:18], off
	v_lshlrev_b64 v[19:20], 2, v[5:6]
	v_mov_b32_e32 v16, v6
	v_add_co_u32_e32 v19, vcc, s12, v19
	v_addc_co_u32_e32 v20, vcc, v13, v20, vcc
	v_mov_b32_e32 v4, v6
	v_lshlrev_b64 v[21:22], 2, v[3:4]
	v_subrev_u32_e32 v5, 18, v3
	v_add_u32_e32 v7, 8, v7
	s_waitcnt vmcnt(0)
	v_subrev_u32_e32 v8, s18, v8
	v_mul_lo_u32 v15, v8, 11
	v_lshlrev_b64 v[16:17], 2, v[15:16]
	v_add_co_u32_e32 v16, vcc, s14, v16
	v_addc_co_u32_e32 v17, vcc, v14, v17, vcc
	global_load_dwordx2 v[23:24], v[19:20], off
	global_load_dword v4, v[16:17], off
	v_add_co_u32_e32 v16, vcc, s12, v21
	v_addc_co_u32_e32 v17, vcc, v13, v22, vcc
	s_waitcnt vmcnt(0)
	v_fmac_f32_e32 v10, v23, v4
	v_fmac_f32_e32 v11, v24, v4
	v_lshlrev_b64 v[4:5], 2, v[5:6]
	v_add_co_u32_e32 v18, vcc, s12, v4
	v_addc_co_u32_e32 v19, vcc, v13, v5, vcc
	v_add_u32_e32 v5, 1, v15
	v_lshlrev_b64 v[4:5], 2, v[5:6]
	global_load_dwordx2 v[18:19], v[18:19], off
	v_add_co_u32_e32 v20, vcc, s14, v4
	v_addc_co_u32_e32 v21, vcc, v14, v5, vcc
	global_load_dword v4, v[20:21], off
	v_add_u32_e32 v5, -16, v3
	s_waitcnt vmcnt(0)
	v_fmac_f32_e32 v10, v18, v4
	v_fmac_f32_e32 v11, v19, v4
	v_lshlrev_b64 v[18:19], 2, v[5:6]
	v_add_u32_e32 v5, 2, v15
	v_add_co_u32_e32 v18, vcc, s12, v18
	v_lshlrev_b64 v[4:5], 2, v[5:6]
	v_addc_co_u32_e32 v19, vcc, v13, v19, vcc
	v_add_co_u32_e32 v20, vcc, s14, v4
	v_addc_co_u32_e32 v21, vcc, v14, v5, vcc
	global_load_dwordx2 v[22:23], v[18:19], off
	global_load_dword v4, v[20:21], off
	v_add_u32_e32 v5, -14, v3
	v_lshlrev_b64 v[18:19], 2, v[5:6]
	v_add_u32_e32 v5, 3, v15
	v_add_co_u32_e32 v18, vcc, s12, v18
	v_addc_co_u32_e32 v19, vcc, v13, v19, vcc
	s_waitcnt vmcnt(0)
	v_fmac_f32_e32 v10, v22, v4
	v_fmac_f32_e32 v11, v23, v4
	v_lshlrev_b64 v[4:5], 2, v[5:6]
	v_add_co_u32_e32 v20, vcc, s14, v4
	v_addc_co_u32_e32 v21, vcc, v14, v5, vcc
	global_load_dwordx2 v[22:23], v[18:19], off
	global_load_dword v4, v[20:21], off
	v_add_u32_e32 v5, -12, v3
	v_lshlrev_b64 v[18:19], 2, v[5:6]
	v_add_u32_e32 v5, 4, v15
	v_add_co_u32_e32 v18, vcc, s12, v18
	v_addc_co_u32_e32 v19, vcc, v13, v19, vcc
	s_waitcnt vmcnt(0)
	v_fmac_f32_e32 v10, v22, v4
	v_fmac_f32_e32 v11, v23, v4
	v_lshlrev_b64 v[4:5], 2, v[5:6]
	;; [unrolled: 13-line block ×6, first 2 shown]
	v_add_co_u32_e32 v20, vcc, s14, v4
	v_addc_co_u32_e32 v21, vcc, v14, v5, vcc
	global_load_dwordx2 v[22:23], v[18:19], off
	global_load_dword v4, v[20:21], off
	v_add_u32_e32 v5, -2, v3
	v_lshlrev_b64 v[18:19], 2, v[5:6]
	v_add_u32_e32 v5, 9, v15
	v_lshlrev_b64 v[20:21], 2, v[5:6]
	v_add_co_u32_e32 v18, vcc, s12, v18
	v_add_u32_e32 v5, 10, v15
	v_addc_co_u32_e32 v19, vcc, v13, v19, vcc
	v_add_co_u32_e32 v20, vcc, s14, v20
	v_addc_co_u32_e32 v21, vcc, v14, v21, vcc
	v_add_u32_e32 v3, 0xb0, v3
	s_waitcnt vmcnt(0)
	v_fmac_f32_e32 v10, v22, v4
	v_fmac_f32_e32 v11, v23, v4
	v_lshlrev_b64 v[4:5], 2, v[5:6]
	v_add_co_u32_e32 v4, vcc, s14, v4
	v_addc_co_u32_e32 v5, vcc, v14, v5, vcc
	global_load_dwordx2 v[22:23], v[16:17], off
	global_load_dwordx2 v[24:25], v[18:19], off
	global_load_dword v8, v[20:21], off
	global_load_dword v15, v[4:5], off
	v_cmp_ge_i32_e32 vcc, v7, v9
	s_or_b64 s[8:9], vcc, s[8:9]
	s_waitcnt vmcnt(1)
	v_fmac_f32_e32 v10, v24, v8
	v_fmac_f32_e32 v11, v25, v8
	s_waitcnt vmcnt(0)
	v_fmac_f32_e32 v10, v22, v15
	v_fmac_f32_e32 v11, v23, v15
	s_andn2_b64 exec, exec, s[8:9]
	s_cbranch_execnz .LBB46_9
; %bb.10:
	s_or_b64 exec, exec, s[8:9]
.LBB46_11:
	s_or_b64 exec, exec, s[6:7]
	s_cbranch_execz .LBB46_13
	s_branch .LBB46_18
.LBB46_12:
                                        ; implicit-def: $vgpr10
                                        ; implicit-def: $vgpr11
.LBB46_13:
	v_mov_b32_e32 v10, 0
	v_mov_b32_e32 v11, 0
	s_and_saveexec_b64 s[6:7], s[0:1]
	s_cbranch_execz .LBB46_17
; %bb.14:
	v_mad_u64_u32 v[4:5], s[0:1], v2, 22, 21
	v_mov_b32_e32 v6, 0
	s_mov_b64 s[0:1], 0
	v_mov_b32_e32 v7, s11
	v_mov_b32_e32 v8, s13
	;; [unrolled: 1-line block ×5, first 2 shown]
.LBB46_15:                              ; =>This Inner Loop Header: Depth=1
	v_ashrrev_i32_e32 v3, 31, v2
	v_lshlrev_b64 v[13:14], 2, v[2:3]
	v_subrev_u32_e32 v5, 21, v4
	v_add_co_u32_e32 v13, vcc, s10, v13
	v_addc_co_u32_e32 v14, vcc, v7, v14, vcc
	global_load_dword v3, v[13:14], off
	v_lshlrev_b64 v[16:17], 2, v[5:6]
	v_mov_b32_e32 v14, v6
	v_add_co_u32_e32 v16, vcc, s12, v16
	v_addc_co_u32_e32 v17, vcc, v8, v17, vcc
	global_load_dwordx2 v[16:17], v[16:17], off
	v_add_u32_e32 v15, -10, v4
	v_add_u32_e32 v2, 8, v2
	s_waitcnt vmcnt(1)
	v_subrev_u32_e32 v3, s18, v3
	v_mul_lo_u32 v13, v3, 11
	v_lshlrev_b64 v[18:19], 2, v[13:14]
	v_add_co_u32_e32 v18, vcc, s14, v18
	v_addc_co_u32_e32 v19, vcc, v12, v19, vcc
	global_load_dword v3, v[18:19], off
	s_waitcnt vmcnt(0)
	v_fmac_f32_e32 v10, v16, v3
	v_mov_b32_e32 v16, v6
	v_lshlrev_b64 v[14:15], 2, v[15:16]
	v_add_co_u32_e32 v14, vcc, s12, v14
	v_addc_co_u32_e32 v15, vcc, v8, v15, vcc
	global_load_dword v5, v[14:15], off
	s_waitcnt vmcnt(0)
	v_fmac_f32_e32 v11, v5, v3
	v_add_u32_e32 v5, 1, v13
	v_lshlrev_b64 v[14:15], 2, v[5:6]
	v_add_u32_e32 v5, -9, v4
	v_add_co_u32_e32 v14, vcc, s14, v14
	v_addc_co_u32_e32 v15, vcc, v12, v15, vcc
	global_load_dword v3, v[14:15], off
	v_lshlrev_b64 v[14:15], 2, v[5:6]
	v_add_co_u32_e32 v14, vcc, s12, v14
	v_addc_co_u32_e32 v15, vcc, v8, v15, vcc
	global_load_dword v5, v[14:15], off
	s_waitcnt vmcnt(1)
	v_fmac_f32_e32 v10, v17, v3
	s_waitcnt vmcnt(0)
	v_fmac_f32_e32 v11, v5, v3
	v_subrev_u32_e32 v5, 19, v4
	v_lshlrev_b64 v[14:15], 2, v[5:6]
	v_add_u32_e32 v5, 2, v13
	v_add_co_u32_e32 v14, vcc, s12, v14
	v_addc_co_u32_e32 v15, vcc, v8, v15, vcc
	global_load_dword v3, v[14:15], off
	v_lshlrev_b64 v[14:15], 2, v[5:6]
	v_add_u32_e32 v5, -8, v4
	v_add_co_u32_e32 v14, vcc, s14, v14
	v_addc_co_u32_e32 v15, vcc, v12, v15, vcc
	global_load_dword v16, v[14:15], off
	v_lshlrev_b64 v[14:15], 2, v[5:6]
	v_subrev_u32_e32 v5, 18, v4
	v_add_co_u32_e32 v14, vcc, s12, v14
	v_addc_co_u32_e32 v15, vcc, v8, v15, vcc
	s_waitcnt vmcnt(0)
	v_fmac_f32_e32 v10, v3, v16
	global_load_dword v3, v[14:15], off
	v_lshlrev_b64 v[14:15], 2, v[5:6]
	v_add_u32_e32 v5, 3, v13
	v_add_co_u32_e32 v14, vcc, s12, v14
	v_addc_co_u32_e32 v15, vcc, v8, v15, vcc
	s_waitcnt vmcnt(0)
	v_fmac_f32_e32 v11, v3, v16
	global_load_dword v3, v[14:15], off
	v_lshlrev_b64 v[14:15], 2, v[5:6]
	v_add_u32_e32 v5, -7, v4
	v_add_co_u32_e32 v14, vcc, s14, v14
	v_addc_co_u32_e32 v15, vcc, v12, v15, vcc
	global_load_dword v16, v[14:15], off
	v_lshlrev_b64 v[14:15], 2, v[5:6]
	v_subrev_u32_e32 v5, 17, v4
	v_add_co_u32_e32 v14, vcc, s12, v14
	v_addc_co_u32_e32 v15, vcc, v8, v15, vcc
	s_waitcnt vmcnt(0)
	v_fmac_f32_e32 v10, v3, v16
	global_load_dword v3, v[14:15], off
	v_lshlrev_b64 v[14:15], 2, v[5:6]
	v_add_u32_e32 v5, 4, v13
	v_add_co_u32_e32 v14, vcc, s12, v14
	v_addc_co_u32_e32 v15, vcc, v8, v15, vcc
	s_waitcnt vmcnt(0)
	v_fmac_f32_e32 v11, v3, v16
	global_load_dword v3, v[14:15], off
	v_lshlrev_b64 v[14:15], 2, v[5:6]
	v_add_u32_e32 v5, -6, v4
	v_add_co_u32_e32 v14, vcc, s14, v14
	v_addc_co_u32_e32 v15, vcc, v12, v15, vcc
	global_load_dword v16, v[14:15], off
	v_lshlrev_b64 v[14:15], 2, v[5:6]
	v_add_u32_e32 v5, -16, v4
	v_add_co_u32_e32 v14, vcc, s12, v14
	v_addc_co_u32_e32 v15, vcc, v8, v15, vcc
	s_waitcnt vmcnt(0)
	v_fmac_f32_e32 v10, v3, v16
	global_load_dword v3, v[14:15], off
	v_lshlrev_b64 v[14:15], 2, v[5:6]
	v_add_u32_e32 v5, 5, v13
	v_add_co_u32_e32 v14, vcc, s12, v14
	v_addc_co_u32_e32 v15, vcc, v8, v15, vcc
	s_waitcnt vmcnt(0)
	v_fmac_f32_e32 v11, v3, v16
	global_load_dword v3, v[14:15], off
	v_lshlrev_b64 v[14:15], 2, v[5:6]
	v_add_u32_e32 v5, -5, v4
	v_add_co_u32_e32 v14, vcc, s14, v14
	v_addc_co_u32_e32 v15, vcc, v12, v15, vcc
	global_load_dword v16, v[14:15], off
	v_lshlrev_b64 v[14:15], 2, v[5:6]
	v_add_u32_e32 v5, -15, v4
	;; [unrolled: 19-line block ×6, first 2 shown]
	v_add_co_u32_e32 v14, vcc, s12, v14
	v_addc_co_u32_e32 v15, vcc, v8, v15, vcc
	s_waitcnt vmcnt(0)
	v_fmac_f32_e32 v10, v3, v16
	global_load_dword v3, v[14:15], off
	v_lshlrev_b64 v[14:15], 2, v[5:6]
	v_add_u32_e32 v5, 10, v13
	v_add_co_u32_e32 v14, vcc, s12, v14
	v_addc_co_u32_e32 v15, vcc, v8, v15, vcc
	s_waitcnt vmcnt(0)
	v_fmac_f32_e32 v11, v3, v16
	global_load_dword v3, v[14:15], off
	v_lshlrev_b64 v[13:14], 2, v[5:6]
	v_mov_b32_e32 v5, v6
	v_add_co_u32_e32 v13, vcc, s14, v13
	v_addc_co_u32_e32 v14, vcc, v12, v14, vcc
	global_load_dword v15, v[13:14], off
	v_lshlrev_b64 v[13:14], 2, v[4:5]
	v_add_u32_e32 v4, 0xb0, v4
	v_add_co_u32_e32 v13, vcc, s12, v13
	v_addc_co_u32_e32 v14, vcc, v8, v14, vcc
	v_cmp_ge_i32_e32 vcc, v2, v9
	s_or_b64 s[0:1], vcc, s[0:1]
	s_waitcnt vmcnt(0)
	v_fmac_f32_e32 v10, v3, v15
	global_load_dword v3, v[13:14], off
	s_waitcnt vmcnt(0)
	v_fmac_f32_e32 v11, v3, v15
	s_andn2_b64 exec, exec, s[0:1]
	s_cbranch_execnz .LBB46_15
; %bb.16:
	s_or_b64 exec, exec, s[0:1]
.LBB46_17:
	s_or_b64 exec, exec, s[6:7]
.LBB46_18:
	v_mov_b32_dpp v2, v10 row_shr:1 row_mask:0xf bank_mask:0xf
	v_mov_b32_dpp v4, v11 row_shr:1 row_mask:0xf bank_mask:0xf
	v_add_f32_e32 v2, v10, v2
	v_add_f32_e32 v4, v11, v4
	v_cmp_eq_u32_e32 vcc, 7, v0
	v_mov_b32_dpp v3, v2 row_shr:2 row_mask:0xf bank_mask:0xf
	v_mov_b32_dpp v5, v4 row_shr:2 row_mask:0xf bank_mask:0xf
	v_add_f32_e32 v2, v2, v3
	v_add_f32_e32 v4, v4, v5
	s_nop 0
	v_mov_b32_dpp v3, v2 row_shr:4 row_mask:0xf bank_mask:0xe
	v_mov_b32_dpp v5, v4 row_shr:4 row_mask:0xf bank_mask:0xe
	s_and_b64 exec, exec, vcc
	s_cbranch_execz .LBB46_22
; %bb.19:
	s_load_dwordx2 s[0:1], s[4:5], 0x38
	v_add_f32_e32 v0, v2, v3
	v_add_f32_e32 v3, v4, v5
	v_cmp_eq_f32_e64 s[4:5], s2, 0
	s_and_b64 vcc, exec, s[4:5]
	v_mul_f32_e32 v2, s16, v0
	v_mul_f32_e32 v3, s16, v3
	v_lshlrev_b32_e32 v0, 1, v1
	s_cbranch_vccz .LBB46_23
; %bb.20:
	v_ashrrev_i32_e32 v1, 31, v0
	v_lshlrev_b64 v[4:5], 2, v[0:1]
	s_waitcnt lgkmcnt(0)
	v_mov_b32_e32 v1, s1
	v_add_co_u32_e32 v4, vcc, s0, v4
	v_addc_co_u32_e32 v5, vcc, v1, v5, vcc
	global_store_dwordx2 v[4:5], v[2:3], off
	s_cbranch_execnz .LBB46_22
.LBB46_21:
	v_ashrrev_i32_e32 v1, 31, v0
	v_lshlrev_b64 v[0:1], 2, v[0:1]
	s_waitcnt lgkmcnt(0)
	v_mov_b32_e32 v4, s1
	v_add_co_u32_e32 v0, vcc, s0, v0
	v_addc_co_u32_e32 v1, vcc, v4, v1, vcc
	global_load_dwordx2 v[4:5], v[0:1], off
	s_waitcnt vmcnt(0)
	v_fmac_f32_e32 v2, s2, v4
	v_fmac_f32_e32 v3, s2, v5
	global_store_dwordx2 v[0:1], v[2:3], off
.LBB46_22:
	s_endpgm
.LBB46_23:
	s_branch .LBB46_21
	.section	.rodata,"a",@progbits
	.p2align	6, 0x0
	.amdhsa_kernel _ZN9rocsparseL19gebsrmvn_2xn_kernelILj128ELj11ELj8EfEEvi20rocsparse_direction_NS_24const_host_device_scalarIT2_EEPKiS6_PKS3_S8_S4_PS3_21rocsparse_index_base_b
		.amdhsa_group_segment_fixed_size 0
		.amdhsa_private_segment_fixed_size 0
		.amdhsa_kernarg_size 72
		.amdhsa_user_sgpr_count 6
		.amdhsa_user_sgpr_private_segment_buffer 1
		.amdhsa_user_sgpr_dispatch_ptr 0
		.amdhsa_user_sgpr_queue_ptr 0
		.amdhsa_user_sgpr_kernarg_segment_ptr 1
		.amdhsa_user_sgpr_dispatch_id 0
		.amdhsa_user_sgpr_flat_scratch_init 0
		.amdhsa_user_sgpr_private_segment_size 0
		.amdhsa_uses_dynamic_stack 0
		.amdhsa_system_sgpr_private_segment_wavefront_offset 0
		.amdhsa_system_sgpr_workgroup_id_x 1
		.amdhsa_system_sgpr_workgroup_id_y 0
		.amdhsa_system_sgpr_workgroup_id_z 0
		.amdhsa_system_sgpr_workgroup_info 0
		.amdhsa_system_vgpr_workitem_id 0
		.amdhsa_next_free_vgpr 26
		.amdhsa_next_free_sgpr 20
		.amdhsa_reserve_vcc 1
		.amdhsa_reserve_flat_scratch 0
		.amdhsa_float_round_mode_32 0
		.amdhsa_float_round_mode_16_64 0
		.amdhsa_float_denorm_mode_32 3
		.amdhsa_float_denorm_mode_16_64 3
		.amdhsa_dx10_clamp 1
		.amdhsa_ieee_mode 1
		.amdhsa_fp16_overflow 0
		.amdhsa_exception_fp_ieee_invalid_op 0
		.amdhsa_exception_fp_denorm_src 0
		.amdhsa_exception_fp_ieee_div_zero 0
		.amdhsa_exception_fp_ieee_overflow 0
		.amdhsa_exception_fp_ieee_underflow 0
		.amdhsa_exception_fp_ieee_inexact 0
		.amdhsa_exception_int_div_zero 0
	.end_amdhsa_kernel
	.section	.text._ZN9rocsparseL19gebsrmvn_2xn_kernelILj128ELj11ELj8EfEEvi20rocsparse_direction_NS_24const_host_device_scalarIT2_EEPKiS6_PKS3_S8_S4_PS3_21rocsparse_index_base_b,"axG",@progbits,_ZN9rocsparseL19gebsrmvn_2xn_kernelILj128ELj11ELj8EfEEvi20rocsparse_direction_NS_24const_host_device_scalarIT2_EEPKiS6_PKS3_S8_S4_PS3_21rocsparse_index_base_b,comdat
.Lfunc_end46:
	.size	_ZN9rocsparseL19gebsrmvn_2xn_kernelILj128ELj11ELj8EfEEvi20rocsparse_direction_NS_24const_host_device_scalarIT2_EEPKiS6_PKS3_S8_S4_PS3_21rocsparse_index_base_b, .Lfunc_end46-_ZN9rocsparseL19gebsrmvn_2xn_kernelILj128ELj11ELj8EfEEvi20rocsparse_direction_NS_24const_host_device_scalarIT2_EEPKiS6_PKS3_S8_S4_PS3_21rocsparse_index_base_b
                                        ; -- End function
	.set _ZN9rocsparseL19gebsrmvn_2xn_kernelILj128ELj11ELj8EfEEvi20rocsparse_direction_NS_24const_host_device_scalarIT2_EEPKiS6_PKS3_S8_S4_PS3_21rocsparse_index_base_b.num_vgpr, 26
	.set _ZN9rocsparseL19gebsrmvn_2xn_kernelILj128ELj11ELj8EfEEvi20rocsparse_direction_NS_24const_host_device_scalarIT2_EEPKiS6_PKS3_S8_S4_PS3_21rocsparse_index_base_b.num_agpr, 0
	.set _ZN9rocsparseL19gebsrmvn_2xn_kernelILj128ELj11ELj8EfEEvi20rocsparse_direction_NS_24const_host_device_scalarIT2_EEPKiS6_PKS3_S8_S4_PS3_21rocsparse_index_base_b.numbered_sgpr, 20
	.set _ZN9rocsparseL19gebsrmvn_2xn_kernelILj128ELj11ELj8EfEEvi20rocsparse_direction_NS_24const_host_device_scalarIT2_EEPKiS6_PKS3_S8_S4_PS3_21rocsparse_index_base_b.num_named_barrier, 0
	.set _ZN9rocsparseL19gebsrmvn_2xn_kernelILj128ELj11ELj8EfEEvi20rocsparse_direction_NS_24const_host_device_scalarIT2_EEPKiS6_PKS3_S8_S4_PS3_21rocsparse_index_base_b.private_seg_size, 0
	.set _ZN9rocsparseL19gebsrmvn_2xn_kernelILj128ELj11ELj8EfEEvi20rocsparse_direction_NS_24const_host_device_scalarIT2_EEPKiS6_PKS3_S8_S4_PS3_21rocsparse_index_base_b.uses_vcc, 1
	.set _ZN9rocsparseL19gebsrmvn_2xn_kernelILj128ELj11ELj8EfEEvi20rocsparse_direction_NS_24const_host_device_scalarIT2_EEPKiS6_PKS3_S8_S4_PS3_21rocsparse_index_base_b.uses_flat_scratch, 0
	.set _ZN9rocsparseL19gebsrmvn_2xn_kernelILj128ELj11ELj8EfEEvi20rocsparse_direction_NS_24const_host_device_scalarIT2_EEPKiS6_PKS3_S8_S4_PS3_21rocsparse_index_base_b.has_dyn_sized_stack, 0
	.set _ZN9rocsparseL19gebsrmvn_2xn_kernelILj128ELj11ELj8EfEEvi20rocsparse_direction_NS_24const_host_device_scalarIT2_EEPKiS6_PKS3_S8_S4_PS3_21rocsparse_index_base_b.has_recursion, 0
	.set _ZN9rocsparseL19gebsrmvn_2xn_kernelILj128ELj11ELj8EfEEvi20rocsparse_direction_NS_24const_host_device_scalarIT2_EEPKiS6_PKS3_S8_S4_PS3_21rocsparse_index_base_b.has_indirect_call, 0
	.section	.AMDGPU.csdata,"",@progbits
; Kernel info:
; codeLenInByte = 2548
; TotalNumSgprs: 24
; NumVgprs: 26
; ScratchSize: 0
; MemoryBound: 0
; FloatMode: 240
; IeeeMode: 1
; LDSByteSize: 0 bytes/workgroup (compile time only)
; SGPRBlocks: 2
; VGPRBlocks: 6
; NumSGPRsForWavesPerEU: 24
; NumVGPRsForWavesPerEU: 26
; Occupancy: 9
; WaveLimiterHint : 1
; COMPUTE_PGM_RSRC2:SCRATCH_EN: 0
; COMPUTE_PGM_RSRC2:USER_SGPR: 6
; COMPUTE_PGM_RSRC2:TRAP_HANDLER: 0
; COMPUTE_PGM_RSRC2:TGID_X_EN: 1
; COMPUTE_PGM_RSRC2:TGID_Y_EN: 0
; COMPUTE_PGM_RSRC2:TGID_Z_EN: 0
; COMPUTE_PGM_RSRC2:TIDIG_COMP_CNT: 0
	.section	.text._ZN9rocsparseL19gebsrmvn_2xn_kernelILj128ELj11ELj16EfEEvi20rocsparse_direction_NS_24const_host_device_scalarIT2_EEPKiS6_PKS3_S8_S4_PS3_21rocsparse_index_base_b,"axG",@progbits,_ZN9rocsparseL19gebsrmvn_2xn_kernelILj128ELj11ELj16EfEEvi20rocsparse_direction_NS_24const_host_device_scalarIT2_EEPKiS6_PKS3_S8_S4_PS3_21rocsparse_index_base_b,comdat
	.globl	_ZN9rocsparseL19gebsrmvn_2xn_kernelILj128ELj11ELj16EfEEvi20rocsparse_direction_NS_24const_host_device_scalarIT2_EEPKiS6_PKS3_S8_S4_PS3_21rocsparse_index_base_b ; -- Begin function _ZN9rocsparseL19gebsrmvn_2xn_kernelILj128ELj11ELj16EfEEvi20rocsparse_direction_NS_24const_host_device_scalarIT2_EEPKiS6_PKS3_S8_S4_PS3_21rocsparse_index_base_b
	.p2align	8
	.type	_ZN9rocsparseL19gebsrmvn_2xn_kernelILj128ELj11ELj16EfEEvi20rocsparse_direction_NS_24const_host_device_scalarIT2_EEPKiS6_PKS3_S8_S4_PS3_21rocsparse_index_base_b,@function
_ZN9rocsparseL19gebsrmvn_2xn_kernelILj128ELj11ELj16EfEEvi20rocsparse_direction_NS_24const_host_device_scalarIT2_EEPKiS6_PKS3_S8_S4_PS3_21rocsparse_index_base_b: ; @_ZN9rocsparseL19gebsrmvn_2xn_kernelILj128ELj11ELj16EfEEvi20rocsparse_direction_NS_24const_host_device_scalarIT2_EEPKiS6_PKS3_S8_S4_PS3_21rocsparse_index_base_b
; %bb.0:
	s_load_dwordx2 s[18:19], s[4:5], 0x40
	s_load_dwordx2 s[16:17], s[4:5], 0x8
	;; [unrolled: 1-line block ×3, first 2 shown]
	s_waitcnt lgkmcnt(0)
	s_bitcmp1_b32 s19, 0
	s_cselect_b64 s[8:9], -1, 0
	s_xor_b64 s[0:1], s[8:9], -1
	s_and_b64 vcc, exec, s[8:9]
	s_cbranch_vccnz .LBB47_2
; %bb.1:
	s_load_dword s16, s[16:17], 0x0
.LBB47_2:
	s_andn2_b64 vcc, exec, s[0:1]
	s_cbranch_vccnz .LBB47_4
; %bb.3:
	s_load_dword s2, s[2:3], 0x0
.LBB47_4:
	s_waitcnt lgkmcnt(0)
	v_cmp_eq_f32_e64 s[0:1], s16, 0
	v_cmp_eq_f32_e64 s[8:9], s2, 1.0
	s_and_b64 s[0:1], s[0:1], s[8:9]
	s_and_b64 vcc, exec, s[0:1]
	s_cbranch_vccnz .LBB47_22
; %bb.5:
	s_load_dwordx2 s[0:1], s[4:5], 0x0
	v_lshrrev_b32_e32 v1, 4, v0
	v_lshl_or_b32 v1, s6, 3, v1
	s_waitcnt lgkmcnt(0)
	v_cmp_gt_i32_e32 vcc, s0, v1
	s_and_saveexec_b64 s[6:7], vcc
	s_cbranch_execz .LBB47_22
; %bb.6:
	s_load_dwordx8 s[8:15], s[4:5], 0x10
	v_ashrrev_i32_e32 v2, 31, v1
	v_lshlrev_b64 v[2:3], 2, v[1:2]
	v_and_b32_e32 v0, 15, v0
	s_cmp_lg_u32 s1, 0
	s_waitcnt lgkmcnt(0)
	v_mov_b32_e32 v4, s9
	v_add_co_u32_e32 v2, vcc, s8, v2
	v_addc_co_u32_e32 v3, vcc, v4, v3, vcc
	global_load_dwordx2 v[2:3], v[2:3], off
	s_waitcnt vmcnt(0)
	v_subrev_u32_e32 v2, s18, v2
	v_subrev_u32_e32 v9, s18, v3
	v_add_u32_e32 v2, v2, v0
	v_cmp_lt_i32_e64 s[0:1], v2, v9
	s_cbranch_scc0 .LBB47_12
; %bb.7:
	v_mov_b32_e32 v10, 0
	v_mov_b32_e32 v11, 0
	s_and_saveexec_b64 s[6:7], s[0:1]
	s_cbranch_execz .LBB47_11
; %bb.8:
	v_mad_u64_u32 v[3:4], s[8:9], v2, 22, 20
	v_mov_b32_e32 v6, 0
	s_mov_b64 s[8:9], 0
	v_mov_b32_e32 v12, s11
	v_mov_b32_e32 v13, s13
	;; [unrolled: 1-line block ×6, first 2 shown]
.LBB47_9:                               ; =>This Inner Loop Header: Depth=1
	v_ashrrev_i32_e32 v8, 31, v7
	v_lshlrev_b64 v[17:18], 2, v[7:8]
	v_subrev_u32_e32 v5, 20, v3
	v_add_co_u32_e32 v17, vcc, s10, v17
	v_addc_co_u32_e32 v18, vcc, v12, v18, vcc
	global_load_dword v8, v[17:18], off
	v_lshlrev_b64 v[19:20], 2, v[5:6]
	v_mov_b32_e32 v16, v6
	v_add_co_u32_e32 v19, vcc, s12, v19
	v_addc_co_u32_e32 v20, vcc, v13, v20, vcc
	v_mov_b32_e32 v4, v6
	v_lshlrev_b64 v[21:22], 2, v[3:4]
	v_subrev_u32_e32 v5, 18, v3
	v_add_u32_e32 v7, 16, v7
	s_waitcnt vmcnt(0)
	v_subrev_u32_e32 v8, s18, v8
	v_mul_lo_u32 v15, v8, 11
	v_lshlrev_b64 v[16:17], 2, v[15:16]
	v_add_co_u32_e32 v16, vcc, s14, v16
	v_addc_co_u32_e32 v17, vcc, v14, v17, vcc
	global_load_dwordx2 v[23:24], v[19:20], off
	global_load_dword v4, v[16:17], off
	v_add_co_u32_e32 v16, vcc, s12, v21
	v_addc_co_u32_e32 v17, vcc, v13, v22, vcc
	s_waitcnt vmcnt(0)
	v_fmac_f32_e32 v10, v23, v4
	v_fmac_f32_e32 v11, v24, v4
	v_lshlrev_b64 v[4:5], 2, v[5:6]
	v_add_co_u32_e32 v18, vcc, s12, v4
	v_addc_co_u32_e32 v19, vcc, v13, v5, vcc
	v_add_u32_e32 v5, 1, v15
	v_lshlrev_b64 v[4:5], 2, v[5:6]
	global_load_dwordx2 v[18:19], v[18:19], off
	v_add_co_u32_e32 v20, vcc, s14, v4
	v_addc_co_u32_e32 v21, vcc, v14, v5, vcc
	global_load_dword v4, v[20:21], off
	v_add_u32_e32 v5, -16, v3
	s_waitcnt vmcnt(0)
	v_fmac_f32_e32 v10, v18, v4
	v_fmac_f32_e32 v11, v19, v4
	v_lshlrev_b64 v[18:19], 2, v[5:6]
	v_add_u32_e32 v5, 2, v15
	v_add_co_u32_e32 v18, vcc, s12, v18
	v_lshlrev_b64 v[4:5], 2, v[5:6]
	v_addc_co_u32_e32 v19, vcc, v13, v19, vcc
	v_add_co_u32_e32 v20, vcc, s14, v4
	v_addc_co_u32_e32 v21, vcc, v14, v5, vcc
	global_load_dwordx2 v[22:23], v[18:19], off
	global_load_dword v4, v[20:21], off
	v_add_u32_e32 v5, -14, v3
	v_lshlrev_b64 v[18:19], 2, v[5:6]
	v_add_u32_e32 v5, 3, v15
	v_add_co_u32_e32 v18, vcc, s12, v18
	v_addc_co_u32_e32 v19, vcc, v13, v19, vcc
	s_waitcnt vmcnt(0)
	v_fmac_f32_e32 v10, v22, v4
	v_fmac_f32_e32 v11, v23, v4
	v_lshlrev_b64 v[4:5], 2, v[5:6]
	v_add_co_u32_e32 v20, vcc, s14, v4
	v_addc_co_u32_e32 v21, vcc, v14, v5, vcc
	global_load_dwordx2 v[22:23], v[18:19], off
	global_load_dword v4, v[20:21], off
	v_add_u32_e32 v5, -12, v3
	v_lshlrev_b64 v[18:19], 2, v[5:6]
	v_add_u32_e32 v5, 4, v15
	v_add_co_u32_e32 v18, vcc, s12, v18
	v_addc_co_u32_e32 v19, vcc, v13, v19, vcc
	s_waitcnt vmcnt(0)
	v_fmac_f32_e32 v10, v22, v4
	v_fmac_f32_e32 v11, v23, v4
	v_lshlrev_b64 v[4:5], 2, v[5:6]
	v_add_co_u32_e32 v20, vcc, s14, v4
	v_addc_co_u32_e32 v21, vcc, v14, v5, vcc
	global_load_dwordx2 v[22:23], v[18:19], off
	global_load_dword v4, v[20:21], off
	v_add_u32_e32 v5, -10, v3
	v_lshlrev_b64 v[18:19], 2, v[5:6]
	v_add_u32_e32 v5, 5, v15
	v_add_co_u32_e32 v18, vcc, s12, v18
	v_addc_co_u32_e32 v19, vcc, v13, v19, vcc
	s_waitcnt vmcnt(0)
	v_fmac_f32_e32 v10, v22, v4
	v_fmac_f32_e32 v11, v23, v4
	v_lshlrev_b64 v[4:5], 2, v[5:6]
	v_add_co_u32_e32 v20, vcc, s14, v4
	v_addc_co_u32_e32 v21, vcc, v14, v5, vcc
	global_load_dwordx2 v[22:23], v[18:19], off
	global_load_dword v4, v[20:21], off
	v_add_u32_e32 v5, -8, v3
	v_lshlrev_b64 v[18:19], 2, v[5:6]
	v_add_u32_e32 v5, 6, v15
	v_add_co_u32_e32 v18, vcc, s12, v18
	v_addc_co_u32_e32 v19, vcc, v13, v19, vcc
	s_waitcnt vmcnt(0)
	v_fmac_f32_e32 v10, v22, v4
	v_fmac_f32_e32 v11, v23, v4
	v_lshlrev_b64 v[4:5], 2, v[5:6]
	v_add_co_u32_e32 v20, vcc, s14, v4
	v_addc_co_u32_e32 v21, vcc, v14, v5, vcc
	global_load_dwordx2 v[22:23], v[18:19], off
	global_load_dword v4, v[20:21], off
	v_add_u32_e32 v5, -6, v3
	v_lshlrev_b64 v[18:19], 2, v[5:6]
	v_add_u32_e32 v5, 7, v15
	v_add_co_u32_e32 v18, vcc, s12, v18
	v_addc_co_u32_e32 v19, vcc, v13, v19, vcc
	s_waitcnt vmcnt(0)
	v_fmac_f32_e32 v10, v22, v4
	v_fmac_f32_e32 v11, v23, v4
	v_lshlrev_b64 v[4:5], 2, v[5:6]
	v_add_co_u32_e32 v20, vcc, s14, v4
	v_addc_co_u32_e32 v21, vcc, v14, v5, vcc
	global_load_dwordx2 v[22:23], v[18:19], off
	global_load_dword v4, v[20:21], off
	v_add_u32_e32 v5, -4, v3
	v_lshlrev_b64 v[18:19], 2, v[5:6]
	v_add_u32_e32 v5, 8, v15
	v_add_co_u32_e32 v18, vcc, s12, v18
	v_addc_co_u32_e32 v19, vcc, v13, v19, vcc
	s_waitcnt vmcnt(0)
	v_fmac_f32_e32 v10, v22, v4
	v_fmac_f32_e32 v11, v23, v4
	v_lshlrev_b64 v[4:5], 2, v[5:6]
	v_add_co_u32_e32 v20, vcc, s14, v4
	v_addc_co_u32_e32 v21, vcc, v14, v5, vcc
	global_load_dwordx2 v[22:23], v[18:19], off
	global_load_dword v4, v[20:21], off
	v_add_u32_e32 v5, -2, v3
	v_lshlrev_b64 v[18:19], 2, v[5:6]
	v_add_u32_e32 v5, 9, v15
	v_lshlrev_b64 v[20:21], 2, v[5:6]
	v_add_co_u32_e32 v18, vcc, s12, v18
	v_add_u32_e32 v5, 10, v15
	v_addc_co_u32_e32 v19, vcc, v13, v19, vcc
	v_add_co_u32_e32 v20, vcc, s14, v20
	v_addc_co_u32_e32 v21, vcc, v14, v21, vcc
	v_add_u32_e32 v3, 0x160, v3
	s_waitcnt vmcnt(0)
	v_fmac_f32_e32 v10, v22, v4
	v_fmac_f32_e32 v11, v23, v4
	v_lshlrev_b64 v[4:5], 2, v[5:6]
	v_add_co_u32_e32 v4, vcc, s14, v4
	v_addc_co_u32_e32 v5, vcc, v14, v5, vcc
	global_load_dwordx2 v[22:23], v[16:17], off
	global_load_dwordx2 v[24:25], v[18:19], off
	global_load_dword v8, v[20:21], off
	global_load_dword v15, v[4:5], off
	v_cmp_ge_i32_e32 vcc, v7, v9
	s_or_b64 s[8:9], vcc, s[8:9]
	s_waitcnt vmcnt(1)
	v_fmac_f32_e32 v10, v24, v8
	v_fmac_f32_e32 v11, v25, v8
	s_waitcnt vmcnt(0)
	v_fmac_f32_e32 v10, v22, v15
	v_fmac_f32_e32 v11, v23, v15
	s_andn2_b64 exec, exec, s[8:9]
	s_cbranch_execnz .LBB47_9
; %bb.10:
	s_or_b64 exec, exec, s[8:9]
.LBB47_11:
	s_or_b64 exec, exec, s[6:7]
	s_cbranch_execz .LBB47_13
	s_branch .LBB47_18
.LBB47_12:
                                        ; implicit-def: $vgpr10
                                        ; implicit-def: $vgpr11
.LBB47_13:
	v_mov_b32_e32 v10, 0
	v_mov_b32_e32 v11, 0
	s_and_saveexec_b64 s[6:7], s[0:1]
	s_cbranch_execz .LBB47_17
; %bb.14:
	v_mad_u64_u32 v[4:5], s[0:1], v2, 22, 21
	v_mov_b32_e32 v6, 0
	s_mov_b64 s[0:1], 0
	v_mov_b32_e32 v7, s11
	v_mov_b32_e32 v8, s13
	;; [unrolled: 1-line block ×5, first 2 shown]
.LBB47_15:                              ; =>This Inner Loop Header: Depth=1
	v_ashrrev_i32_e32 v3, 31, v2
	v_lshlrev_b64 v[13:14], 2, v[2:3]
	v_subrev_u32_e32 v5, 21, v4
	v_add_co_u32_e32 v13, vcc, s10, v13
	v_addc_co_u32_e32 v14, vcc, v7, v14, vcc
	global_load_dword v3, v[13:14], off
	v_lshlrev_b64 v[16:17], 2, v[5:6]
	v_mov_b32_e32 v14, v6
	v_add_co_u32_e32 v16, vcc, s12, v16
	v_addc_co_u32_e32 v17, vcc, v8, v17, vcc
	global_load_dwordx2 v[16:17], v[16:17], off
	v_add_u32_e32 v15, -10, v4
	v_add_u32_e32 v2, 16, v2
	s_waitcnt vmcnt(1)
	v_subrev_u32_e32 v3, s18, v3
	v_mul_lo_u32 v13, v3, 11
	v_lshlrev_b64 v[18:19], 2, v[13:14]
	v_add_co_u32_e32 v18, vcc, s14, v18
	v_addc_co_u32_e32 v19, vcc, v12, v19, vcc
	global_load_dword v3, v[18:19], off
	s_waitcnt vmcnt(0)
	v_fmac_f32_e32 v10, v16, v3
	v_mov_b32_e32 v16, v6
	v_lshlrev_b64 v[14:15], 2, v[15:16]
	v_add_co_u32_e32 v14, vcc, s12, v14
	v_addc_co_u32_e32 v15, vcc, v8, v15, vcc
	global_load_dword v5, v[14:15], off
	s_waitcnt vmcnt(0)
	v_fmac_f32_e32 v11, v5, v3
	v_add_u32_e32 v5, 1, v13
	v_lshlrev_b64 v[14:15], 2, v[5:6]
	v_add_u32_e32 v5, -9, v4
	v_add_co_u32_e32 v14, vcc, s14, v14
	v_addc_co_u32_e32 v15, vcc, v12, v15, vcc
	global_load_dword v3, v[14:15], off
	v_lshlrev_b64 v[14:15], 2, v[5:6]
	v_add_co_u32_e32 v14, vcc, s12, v14
	v_addc_co_u32_e32 v15, vcc, v8, v15, vcc
	global_load_dword v5, v[14:15], off
	s_waitcnt vmcnt(1)
	v_fmac_f32_e32 v10, v17, v3
	s_waitcnt vmcnt(0)
	v_fmac_f32_e32 v11, v5, v3
	v_subrev_u32_e32 v5, 19, v4
	v_lshlrev_b64 v[14:15], 2, v[5:6]
	v_add_u32_e32 v5, 2, v13
	v_add_co_u32_e32 v14, vcc, s12, v14
	v_addc_co_u32_e32 v15, vcc, v8, v15, vcc
	global_load_dword v3, v[14:15], off
	v_lshlrev_b64 v[14:15], 2, v[5:6]
	v_add_u32_e32 v5, -8, v4
	v_add_co_u32_e32 v14, vcc, s14, v14
	v_addc_co_u32_e32 v15, vcc, v12, v15, vcc
	global_load_dword v16, v[14:15], off
	v_lshlrev_b64 v[14:15], 2, v[5:6]
	v_subrev_u32_e32 v5, 18, v4
	v_add_co_u32_e32 v14, vcc, s12, v14
	v_addc_co_u32_e32 v15, vcc, v8, v15, vcc
	s_waitcnt vmcnt(0)
	v_fmac_f32_e32 v10, v3, v16
	global_load_dword v3, v[14:15], off
	v_lshlrev_b64 v[14:15], 2, v[5:6]
	v_add_u32_e32 v5, 3, v13
	v_add_co_u32_e32 v14, vcc, s12, v14
	v_addc_co_u32_e32 v15, vcc, v8, v15, vcc
	s_waitcnt vmcnt(0)
	v_fmac_f32_e32 v11, v3, v16
	global_load_dword v3, v[14:15], off
	v_lshlrev_b64 v[14:15], 2, v[5:6]
	v_add_u32_e32 v5, -7, v4
	v_add_co_u32_e32 v14, vcc, s14, v14
	v_addc_co_u32_e32 v15, vcc, v12, v15, vcc
	global_load_dword v16, v[14:15], off
	v_lshlrev_b64 v[14:15], 2, v[5:6]
	v_subrev_u32_e32 v5, 17, v4
	v_add_co_u32_e32 v14, vcc, s12, v14
	v_addc_co_u32_e32 v15, vcc, v8, v15, vcc
	s_waitcnt vmcnt(0)
	v_fmac_f32_e32 v10, v3, v16
	global_load_dword v3, v[14:15], off
	v_lshlrev_b64 v[14:15], 2, v[5:6]
	v_add_u32_e32 v5, 4, v13
	v_add_co_u32_e32 v14, vcc, s12, v14
	v_addc_co_u32_e32 v15, vcc, v8, v15, vcc
	s_waitcnt vmcnt(0)
	v_fmac_f32_e32 v11, v3, v16
	global_load_dword v3, v[14:15], off
	v_lshlrev_b64 v[14:15], 2, v[5:6]
	v_add_u32_e32 v5, -6, v4
	v_add_co_u32_e32 v14, vcc, s14, v14
	v_addc_co_u32_e32 v15, vcc, v12, v15, vcc
	global_load_dword v16, v[14:15], off
	v_lshlrev_b64 v[14:15], 2, v[5:6]
	v_add_u32_e32 v5, -16, v4
	v_add_co_u32_e32 v14, vcc, s12, v14
	v_addc_co_u32_e32 v15, vcc, v8, v15, vcc
	s_waitcnt vmcnt(0)
	v_fmac_f32_e32 v10, v3, v16
	global_load_dword v3, v[14:15], off
	v_lshlrev_b64 v[14:15], 2, v[5:6]
	v_add_u32_e32 v5, 5, v13
	v_add_co_u32_e32 v14, vcc, s12, v14
	v_addc_co_u32_e32 v15, vcc, v8, v15, vcc
	s_waitcnt vmcnt(0)
	v_fmac_f32_e32 v11, v3, v16
	global_load_dword v3, v[14:15], off
	v_lshlrev_b64 v[14:15], 2, v[5:6]
	v_add_u32_e32 v5, -5, v4
	v_add_co_u32_e32 v14, vcc, s14, v14
	v_addc_co_u32_e32 v15, vcc, v12, v15, vcc
	global_load_dword v16, v[14:15], off
	v_lshlrev_b64 v[14:15], 2, v[5:6]
	v_add_u32_e32 v5, -15, v4
	;; [unrolled: 19-line block ×6, first 2 shown]
	v_add_co_u32_e32 v14, vcc, s12, v14
	v_addc_co_u32_e32 v15, vcc, v8, v15, vcc
	s_waitcnt vmcnt(0)
	v_fmac_f32_e32 v10, v3, v16
	global_load_dword v3, v[14:15], off
	v_lshlrev_b64 v[14:15], 2, v[5:6]
	v_add_u32_e32 v5, 10, v13
	v_add_co_u32_e32 v14, vcc, s12, v14
	v_addc_co_u32_e32 v15, vcc, v8, v15, vcc
	s_waitcnt vmcnt(0)
	v_fmac_f32_e32 v11, v3, v16
	global_load_dword v3, v[14:15], off
	v_lshlrev_b64 v[13:14], 2, v[5:6]
	v_mov_b32_e32 v5, v6
	v_add_co_u32_e32 v13, vcc, s14, v13
	v_addc_co_u32_e32 v14, vcc, v12, v14, vcc
	global_load_dword v15, v[13:14], off
	v_lshlrev_b64 v[13:14], 2, v[4:5]
	v_add_u32_e32 v4, 0x160, v4
	v_add_co_u32_e32 v13, vcc, s12, v13
	v_addc_co_u32_e32 v14, vcc, v8, v14, vcc
	v_cmp_ge_i32_e32 vcc, v2, v9
	s_or_b64 s[0:1], vcc, s[0:1]
	s_waitcnt vmcnt(0)
	v_fmac_f32_e32 v10, v3, v15
	global_load_dword v3, v[13:14], off
	s_waitcnt vmcnt(0)
	v_fmac_f32_e32 v11, v3, v15
	s_andn2_b64 exec, exec, s[0:1]
	s_cbranch_execnz .LBB47_15
; %bb.16:
	s_or_b64 exec, exec, s[0:1]
.LBB47_17:
	s_or_b64 exec, exec, s[6:7]
.LBB47_18:
	v_mov_b32_dpp v2, v10 row_shr:1 row_mask:0xf bank_mask:0xf
	v_mov_b32_dpp v4, v11 row_shr:1 row_mask:0xf bank_mask:0xf
	v_add_f32_e32 v2, v10, v2
	v_add_f32_e32 v4, v11, v4
	v_cmp_eq_u32_e32 vcc, 15, v0
	v_mov_b32_dpp v3, v2 row_shr:2 row_mask:0xf bank_mask:0xf
	v_mov_b32_dpp v5, v4 row_shr:2 row_mask:0xf bank_mask:0xf
	v_add_f32_e32 v2, v2, v3
	v_add_f32_e32 v4, v4, v5
	s_nop 0
	v_mov_b32_dpp v3, v2 row_shr:4 row_mask:0xf bank_mask:0xe
	v_mov_b32_dpp v5, v4 row_shr:4 row_mask:0xf bank_mask:0xe
	v_add_f32_e32 v2, v2, v3
	v_add_f32_e32 v4, v4, v5
	s_nop 0
	v_mov_b32_dpp v3, v2 row_shr:8 row_mask:0xf bank_mask:0xc
	v_mov_b32_dpp v5, v4 row_shr:8 row_mask:0xf bank_mask:0xc
	s_and_b64 exec, exec, vcc
	s_cbranch_execz .LBB47_22
; %bb.19:
	s_load_dwordx2 s[0:1], s[4:5], 0x38
	v_add_f32_e32 v0, v2, v3
	v_add_f32_e32 v3, v4, v5
	v_cmp_eq_f32_e64 s[4:5], s2, 0
	s_and_b64 vcc, exec, s[4:5]
	v_mul_f32_e32 v2, s16, v0
	v_mul_f32_e32 v3, s16, v3
	v_lshlrev_b32_e32 v0, 1, v1
	s_cbranch_vccz .LBB47_23
; %bb.20:
	v_ashrrev_i32_e32 v1, 31, v0
	v_lshlrev_b64 v[4:5], 2, v[0:1]
	s_waitcnt lgkmcnt(0)
	v_mov_b32_e32 v1, s1
	v_add_co_u32_e32 v4, vcc, s0, v4
	v_addc_co_u32_e32 v5, vcc, v1, v5, vcc
	global_store_dwordx2 v[4:5], v[2:3], off
	s_cbranch_execnz .LBB47_22
.LBB47_21:
	v_ashrrev_i32_e32 v1, 31, v0
	v_lshlrev_b64 v[0:1], 2, v[0:1]
	s_waitcnt lgkmcnt(0)
	v_mov_b32_e32 v4, s1
	v_add_co_u32_e32 v0, vcc, s0, v0
	v_addc_co_u32_e32 v1, vcc, v4, v1, vcc
	global_load_dwordx2 v[4:5], v[0:1], off
	s_waitcnt vmcnt(0)
	v_fmac_f32_e32 v2, s2, v4
	v_fmac_f32_e32 v3, s2, v5
	global_store_dwordx2 v[0:1], v[2:3], off
.LBB47_22:
	s_endpgm
.LBB47_23:
	s_branch .LBB47_21
	.section	.rodata,"a",@progbits
	.p2align	6, 0x0
	.amdhsa_kernel _ZN9rocsparseL19gebsrmvn_2xn_kernelILj128ELj11ELj16EfEEvi20rocsparse_direction_NS_24const_host_device_scalarIT2_EEPKiS6_PKS3_S8_S4_PS3_21rocsparse_index_base_b
		.amdhsa_group_segment_fixed_size 0
		.amdhsa_private_segment_fixed_size 0
		.amdhsa_kernarg_size 72
		.amdhsa_user_sgpr_count 6
		.amdhsa_user_sgpr_private_segment_buffer 1
		.amdhsa_user_sgpr_dispatch_ptr 0
		.amdhsa_user_sgpr_queue_ptr 0
		.amdhsa_user_sgpr_kernarg_segment_ptr 1
		.amdhsa_user_sgpr_dispatch_id 0
		.amdhsa_user_sgpr_flat_scratch_init 0
		.amdhsa_user_sgpr_private_segment_size 0
		.amdhsa_uses_dynamic_stack 0
		.amdhsa_system_sgpr_private_segment_wavefront_offset 0
		.amdhsa_system_sgpr_workgroup_id_x 1
		.amdhsa_system_sgpr_workgroup_id_y 0
		.amdhsa_system_sgpr_workgroup_id_z 0
		.amdhsa_system_sgpr_workgroup_info 0
		.amdhsa_system_vgpr_workitem_id 0
		.amdhsa_next_free_vgpr 26
		.amdhsa_next_free_sgpr 20
		.amdhsa_reserve_vcc 1
		.amdhsa_reserve_flat_scratch 0
		.amdhsa_float_round_mode_32 0
		.amdhsa_float_round_mode_16_64 0
		.amdhsa_float_denorm_mode_32 3
		.amdhsa_float_denorm_mode_16_64 3
		.amdhsa_dx10_clamp 1
		.amdhsa_ieee_mode 1
		.amdhsa_fp16_overflow 0
		.amdhsa_exception_fp_ieee_invalid_op 0
		.amdhsa_exception_fp_denorm_src 0
		.amdhsa_exception_fp_ieee_div_zero 0
		.amdhsa_exception_fp_ieee_overflow 0
		.amdhsa_exception_fp_ieee_underflow 0
		.amdhsa_exception_fp_ieee_inexact 0
		.amdhsa_exception_int_div_zero 0
	.end_amdhsa_kernel
	.section	.text._ZN9rocsparseL19gebsrmvn_2xn_kernelILj128ELj11ELj16EfEEvi20rocsparse_direction_NS_24const_host_device_scalarIT2_EEPKiS6_PKS3_S8_S4_PS3_21rocsparse_index_base_b,"axG",@progbits,_ZN9rocsparseL19gebsrmvn_2xn_kernelILj128ELj11ELj16EfEEvi20rocsparse_direction_NS_24const_host_device_scalarIT2_EEPKiS6_PKS3_S8_S4_PS3_21rocsparse_index_base_b,comdat
.Lfunc_end47:
	.size	_ZN9rocsparseL19gebsrmvn_2xn_kernelILj128ELj11ELj16EfEEvi20rocsparse_direction_NS_24const_host_device_scalarIT2_EEPKiS6_PKS3_S8_S4_PS3_21rocsparse_index_base_b, .Lfunc_end47-_ZN9rocsparseL19gebsrmvn_2xn_kernelILj128ELj11ELj16EfEEvi20rocsparse_direction_NS_24const_host_device_scalarIT2_EEPKiS6_PKS3_S8_S4_PS3_21rocsparse_index_base_b
                                        ; -- End function
	.set _ZN9rocsparseL19gebsrmvn_2xn_kernelILj128ELj11ELj16EfEEvi20rocsparse_direction_NS_24const_host_device_scalarIT2_EEPKiS6_PKS3_S8_S4_PS3_21rocsparse_index_base_b.num_vgpr, 26
	.set _ZN9rocsparseL19gebsrmvn_2xn_kernelILj128ELj11ELj16EfEEvi20rocsparse_direction_NS_24const_host_device_scalarIT2_EEPKiS6_PKS3_S8_S4_PS3_21rocsparse_index_base_b.num_agpr, 0
	.set _ZN9rocsparseL19gebsrmvn_2xn_kernelILj128ELj11ELj16EfEEvi20rocsparse_direction_NS_24const_host_device_scalarIT2_EEPKiS6_PKS3_S8_S4_PS3_21rocsparse_index_base_b.numbered_sgpr, 20
	.set _ZN9rocsparseL19gebsrmvn_2xn_kernelILj128ELj11ELj16EfEEvi20rocsparse_direction_NS_24const_host_device_scalarIT2_EEPKiS6_PKS3_S8_S4_PS3_21rocsparse_index_base_b.num_named_barrier, 0
	.set _ZN9rocsparseL19gebsrmvn_2xn_kernelILj128ELj11ELj16EfEEvi20rocsparse_direction_NS_24const_host_device_scalarIT2_EEPKiS6_PKS3_S8_S4_PS3_21rocsparse_index_base_b.private_seg_size, 0
	.set _ZN9rocsparseL19gebsrmvn_2xn_kernelILj128ELj11ELj16EfEEvi20rocsparse_direction_NS_24const_host_device_scalarIT2_EEPKiS6_PKS3_S8_S4_PS3_21rocsparse_index_base_b.uses_vcc, 1
	.set _ZN9rocsparseL19gebsrmvn_2xn_kernelILj128ELj11ELj16EfEEvi20rocsparse_direction_NS_24const_host_device_scalarIT2_EEPKiS6_PKS3_S8_S4_PS3_21rocsparse_index_base_b.uses_flat_scratch, 0
	.set _ZN9rocsparseL19gebsrmvn_2xn_kernelILj128ELj11ELj16EfEEvi20rocsparse_direction_NS_24const_host_device_scalarIT2_EEPKiS6_PKS3_S8_S4_PS3_21rocsparse_index_base_b.has_dyn_sized_stack, 0
	.set _ZN9rocsparseL19gebsrmvn_2xn_kernelILj128ELj11ELj16EfEEvi20rocsparse_direction_NS_24const_host_device_scalarIT2_EEPKiS6_PKS3_S8_S4_PS3_21rocsparse_index_base_b.has_recursion, 0
	.set _ZN9rocsparseL19gebsrmvn_2xn_kernelILj128ELj11ELj16EfEEvi20rocsparse_direction_NS_24const_host_device_scalarIT2_EEPKiS6_PKS3_S8_S4_PS3_21rocsparse_index_base_b.has_indirect_call, 0
	.section	.AMDGPU.csdata,"",@progbits
; Kernel info:
; codeLenInByte = 2576
; TotalNumSgprs: 24
; NumVgprs: 26
; ScratchSize: 0
; MemoryBound: 0
; FloatMode: 240
; IeeeMode: 1
; LDSByteSize: 0 bytes/workgroup (compile time only)
; SGPRBlocks: 2
; VGPRBlocks: 6
; NumSGPRsForWavesPerEU: 24
; NumVGPRsForWavesPerEU: 26
; Occupancy: 9
; WaveLimiterHint : 1
; COMPUTE_PGM_RSRC2:SCRATCH_EN: 0
; COMPUTE_PGM_RSRC2:USER_SGPR: 6
; COMPUTE_PGM_RSRC2:TRAP_HANDLER: 0
; COMPUTE_PGM_RSRC2:TGID_X_EN: 1
; COMPUTE_PGM_RSRC2:TGID_Y_EN: 0
; COMPUTE_PGM_RSRC2:TGID_Z_EN: 0
; COMPUTE_PGM_RSRC2:TIDIG_COMP_CNT: 0
	.section	.text._ZN9rocsparseL19gebsrmvn_2xn_kernelILj128ELj11ELj32EfEEvi20rocsparse_direction_NS_24const_host_device_scalarIT2_EEPKiS6_PKS3_S8_S4_PS3_21rocsparse_index_base_b,"axG",@progbits,_ZN9rocsparseL19gebsrmvn_2xn_kernelILj128ELj11ELj32EfEEvi20rocsparse_direction_NS_24const_host_device_scalarIT2_EEPKiS6_PKS3_S8_S4_PS3_21rocsparse_index_base_b,comdat
	.globl	_ZN9rocsparseL19gebsrmvn_2xn_kernelILj128ELj11ELj32EfEEvi20rocsparse_direction_NS_24const_host_device_scalarIT2_EEPKiS6_PKS3_S8_S4_PS3_21rocsparse_index_base_b ; -- Begin function _ZN9rocsparseL19gebsrmvn_2xn_kernelILj128ELj11ELj32EfEEvi20rocsparse_direction_NS_24const_host_device_scalarIT2_EEPKiS6_PKS3_S8_S4_PS3_21rocsparse_index_base_b
	.p2align	8
	.type	_ZN9rocsparseL19gebsrmvn_2xn_kernelILj128ELj11ELj32EfEEvi20rocsparse_direction_NS_24const_host_device_scalarIT2_EEPKiS6_PKS3_S8_S4_PS3_21rocsparse_index_base_b,@function
_ZN9rocsparseL19gebsrmvn_2xn_kernelILj128ELj11ELj32EfEEvi20rocsparse_direction_NS_24const_host_device_scalarIT2_EEPKiS6_PKS3_S8_S4_PS3_21rocsparse_index_base_b: ; @_ZN9rocsparseL19gebsrmvn_2xn_kernelILj128ELj11ELj32EfEEvi20rocsparse_direction_NS_24const_host_device_scalarIT2_EEPKiS6_PKS3_S8_S4_PS3_21rocsparse_index_base_b
; %bb.0:
	s_load_dwordx2 s[18:19], s[4:5], 0x40
	s_load_dwordx2 s[16:17], s[4:5], 0x8
	;; [unrolled: 1-line block ×3, first 2 shown]
	s_waitcnt lgkmcnt(0)
	s_bitcmp1_b32 s19, 0
	s_cselect_b64 s[8:9], -1, 0
	s_xor_b64 s[0:1], s[8:9], -1
	s_and_b64 vcc, exec, s[8:9]
	s_cbranch_vccnz .LBB48_2
; %bb.1:
	s_load_dword s16, s[16:17], 0x0
.LBB48_2:
	s_andn2_b64 vcc, exec, s[0:1]
	s_cbranch_vccnz .LBB48_4
; %bb.3:
	s_load_dword s2, s[2:3], 0x0
.LBB48_4:
	s_waitcnt lgkmcnt(0)
	v_cmp_eq_f32_e64 s[0:1], s16, 0
	v_cmp_eq_f32_e64 s[8:9], s2, 1.0
	s_and_b64 s[0:1], s[0:1], s[8:9]
	s_and_b64 vcc, exec, s[0:1]
	s_cbranch_vccnz .LBB48_22
; %bb.5:
	s_load_dwordx2 s[0:1], s[4:5], 0x0
	v_lshrrev_b32_e32 v1, 5, v0
	v_lshl_or_b32 v1, s6, 2, v1
	s_waitcnt lgkmcnt(0)
	v_cmp_gt_i32_e32 vcc, s0, v1
	s_and_saveexec_b64 s[6:7], vcc
	s_cbranch_execz .LBB48_22
; %bb.6:
	s_load_dwordx8 s[8:15], s[4:5], 0x10
	v_ashrrev_i32_e32 v2, 31, v1
	v_lshlrev_b64 v[2:3], 2, v[1:2]
	v_and_b32_e32 v0, 31, v0
	s_cmp_lg_u32 s1, 0
	s_waitcnt lgkmcnt(0)
	v_mov_b32_e32 v4, s9
	v_add_co_u32_e32 v2, vcc, s8, v2
	v_addc_co_u32_e32 v3, vcc, v4, v3, vcc
	global_load_dwordx2 v[2:3], v[2:3], off
	s_waitcnt vmcnt(0)
	v_subrev_u32_e32 v2, s18, v2
	v_subrev_u32_e32 v9, s18, v3
	v_add_u32_e32 v2, v2, v0
	v_cmp_lt_i32_e64 s[0:1], v2, v9
	s_cbranch_scc0 .LBB48_12
; %bb.7:
	v_mov_b32_e32 v11, 0
	v_mov_b32_e32 v10, 0
	s_and_saveexec_b64 s[6:7], s[0:1]
	s_cbranch_execz .LBB48_11
; %bb.8:
	v_mad_u64_u32 v[3:4], s[8:9], v2, 22, 20
	v_mov_b32_e32 v6, 0
	s_mov_b64 s[8:9], 0
	v_mov_b32_e32 v12, s11
	v_mov_b32_e32 v13, s13
	;; [unrolled: 1-line block ×6, first 2 shown]
.LBB48_9:                               ; =>This Inner Loop Header: Depth=1
	v_ashrrev_i32_e32 v8, 31, v7
	v_lshlrev_b64 v[17:18], 2, v[7:8]
	v_subrev_u32_e32 v5, 20, v3
	v_add_co_u32_e32 v17, vcc, s10, v17
	v_addc_co_u32_e32 v18, vcc, v12, v18, vcc
	global_load_dword v8, v[17:18], off
	v_lshlrev_b64 v[19:20], 2, v[5:6]
	v_mov_b32_e32 v16, v6
	v_add_co_u32_e32 v19, vcc, s12, v19
	v_addc_co_u32_e32 v20, vcc, v13, v20, vcc
	v_mov_b32_e32 v4, v6
	v_lshlrev_b64 v[21:22], 2, v[3:4]
	v_subrev_u32_e32 v5, 18, v3
	v_add_u32_e32 v7, 32, v7
	s_waitcnt vmcnt(0)
	v_subrev_u32_e32 v8, s18, v8
	v_mul_lo_u32 v15, v8, 11
	v_lshlrev_b64 v[16:17], 2, v[15:16]
	v_add_co_u32_e32 v16, vcc, s14, v16
	v_addc_co_u32_e32 v17, vcc, v14, v17, vcc
	global_load_dwordx2 v[23:24], v[19:20], off
	global_load_dword v4, v[16:17], off
	v_add_co_u32_e32 v16, vcc, s12, v21
	v_addc_co_u32_e32 v17, vcc, v13, v22, vcc
	s_waitcnt vmcnt(0)
	v_fmac_f32_e32 v11, v23, v4
	v_fmac_f32_e32 v10, v24, v4
	v_lshlrev_b64 v[4:5], 2, v[5:6]
	v_add_co_u32_e32 v18, vcc, s12, v4
	v_addc_co_u32_e32 v19, vcc, v13, v5, vcc
	v_add_u32_e32 v5, 1, v15
	v_lshlrev_b64 v[4:5], 2, v[5:6]
	global_load_dwordx2 v[18:19], v[18:19], off
	v_add_co_u32_e32 v20, vcc, s14, v4
	v_addc_co_u32_e32 v21, vcc, v14, v5, vcc
	global_load_dword v4, v[20:21], off
	v_add_u32_e32 v5, -16, v3
	s_waitcnt vmcnt(0)
	v_fmac_f32_e32 v11, v18, v4
	v_fmac_f32_e32 v10, v19, v4
	v_lshlrev_b64 v[18:19], 2, v[5:6]
	v_add_u32_e32 v5, 2, v15
	v_add_co_u32_e32 v18, vcc, s12, v18
	v_lshlrev_b64 v[4:5], 2, v[5:6]
	v_addc_co_u32_e32 v19, vcc, v13, v19, vcc
	v_add_co_u32_e32 v20, vcc, s14, v4
	v_addc_co_u32_e32 v21, vcc, v14, v5, vcc
	global_load_dwordx2 v[22:23], v[18:19], off
	global_load_dword v4, v[20:21], off
	v_add_u32_e32 v5, -14, v3
	v_lshlrev_b64 v[18:19], 2, v[5:6]
	v_add_u32_e32 v5, 3, v15
	v_add_co_u32_e32 v18, vcc, s12, v18
	v_addc_co_u32_e32 v19, vcc, v13, v19, vcc
	s_waitcnt vmcnt(0)
	v_fmac_f32_e32 v11, v22, v4
	v_fmac_f32_e32 v10, v23, v4
	v_lshlrev_b64 v[4:5], 2, v[5:6]
	v_add_co_u32_e32 v20, vcc, s14, v4
	v_addc_co_u32_e32 v21, vcc, v14, v5, vcc
	global_load_dwordx2 v[22:23], v[18:19], off
	global_load_dword v4, v[20:21], off
	v_add_u32_e32 v5, -12, v3
	v_lshlrev_b64 v[18:19], 2, v[5:6]
	v_add_u32_e32 v5, 4, v15
	v_add_co_u32_e32 v18, vcc, s12, v18
	v_addc_co_u32_e32 v19, vcc, v13, v19, vcc
	s_waitcnt vmcnt(0)
	v_fmac_f32_e32 v11, v22, v4
	v_fmac_f32_e32 v10, v23, v4
	v_lshlrev_b64 v[4:5], 2, v[5:6]
	;; [unrolled: 13-line block ×6, first 2 shown]
	v_add_co_u32_e32 v20, vcc, s14, v4
	v_addc_co_u32_e32 v21, vcc, v14, v5, vcc
	global_load_dwordx2 v[22:23], v[18:19], off
	global_load_dword v4, v[20:21], off
	v_add_u32_e32 v5, -2, v3
	v_lshlrev_b64 v[18:19], 2, v[5:6]
	v_add_u32_e32 v5, 9, v15
	v_lshlrev_b64 v[20:21], 2, v[5:6]
	v_add_co_u32_e32 v18, vcc, s12, v18
	v_add_u32_e32 v5, 10, v15
	v_addc_co_u32_e32 v19, vcc, v13, v19, vcc
	v_add_co_u32_e32 v20, vcc, s14, v20
	v_addc_co_u32_e32 v21, vcc, v14, v21, vcc
	v_add_u32_e32 v3, 0x2c0, v3
	s_waitcnt vmcnt(0)
	v_fmac_f32_e32 v11, v22, v4
	v_fmac_f32_e32 v10, v23, v4
	v_lshlrev_b64 v[4:5], 2, v[5:6]
	v_add_co_u32_e32 v4, vcc, s14, v4
	v_addc_co_u32_e32 v5, vcc, v14, v5, vcc
	global_load_dwordx2 v[22:23], v[16:17], off
	global_load_dwordx2 v[24:25], v[18:19], off
	global_load_dword v8, v[20:21], off
	global_load_dword v15, v[4:5], off
	v_cmp_ge_i32_e32 vcc, v7, v9
	s_or_b64 s[8:9], vcc, s[8:9]
	s_waitcnt vmcnt(1)
	v_fmac_f32_e32 v11, v24, v8
	v_fmac_f32_e32 v10, v25, v8
	s_waitcnt vmcnt(0)
	v_fmac_f32_e32 v11, v22, v15
	v_fmac_f32_e32 v10, v23, v15
	s_andn2_b64 exec, exec, s[8:9]
	s_cbranch_execnz .LBB48_9
; %bb.10:
	s_or_b64 exec, exec, s[8:9]
.LBB48_11:
	s_or_b64 exec, exec, s[6:7]
	s_cbranch_execz .LBB48_13
	s_branch .LBB48_18
.LBB48_12:
                                        ; implicit-def: $vgpr11
                                        ; implicit-def: $vgpr10
.LBB48_13:
	v_mov_b32_e32 v11, 0
	v_mov_b32_e32 v10, 0
	s_and_saveexec_b64 s[6:7], s[0:1]
	s_cbranch_execz .LBB48_17
; %bb.14:
	v_mad_u64_u32 v[4:5], s[0:1], v2, 22, 21
	v_mov_b32_e32 v6, 0
	s_mov_b64 s[0:1], 0
	v_mov_b32_e32 v7, s11
	v_mov_b32_e32 v8, s13
	v_mov_b32_e32 v12, s15
	v_mov_b32_e32 v11, 0
	v_mov_b32_e32 v10, 0
.LBB48_15:                              ; =>This Inner Loop Header: Depth=1
	v_ashrrev_i32_e32 v3, 31, v2
	v_lshlrev_b64 v[13:14], 2, v[2:3]
	v_subrev_u32_e32 v5, 21, v4
	v_add_co_u32_e32 v13, vcc, s10, v13
	v_addc_co_u32_e32 v14, vcc, v7, v14, vcc
	global_load_dword v3, v[13:14], off
	v_lshlrev_b64 v[16:17], 2, v[5:6]
	v_mov_b32_e32 v14, v6
	v_add_co_u32_e32 v16, vcc, s12, v16
	v_addc_co_u32_e32 v17, vcc, v8, v17, vcc
	global_load_dwordx2 v[16:17], v[16:17], off
	v_add_u32_e32 v15, -10, v4
	v_add_u32_e32 v2, 32, v2
	s_waitcnt vmcnt(1)
	v_subrev_u32_e32 v3, s18, v3
	v_mul_lo_u32 v13, v3, 11
	v_lshlrev_b64 v[18:19], 2, v[13:14]
	v_add_co_u32_e32 v18, vcc, s14, v18
	v_addc_co_u32_e32 v19, vcc, v12, v19, vcc
	global_load_dword v3, v[18:19], off
	s_waitcnt vmcnt(0)
	v_fmac_f32_e32 v11, v16, v3
	v_mov_b32_e32 v16, v6
	v_lshlrev_b64 v[14:15], 2, v[15:16]
	v_add_co_u32_e32 v14, vcc, s12, v14
	v_addc_co_u32_e32 v15, vcc, v8, v15, vcc
	global_load_dword v5, v[14:15], off
	s_waitcnt vmcnt(0)
	v_fmac_f32_e32 v10, v5, v3
	v_add_u32_e32 v5, 1, v13
	v_lshlrev_b64 v[14:15], 2, v[5:6]
	v_add_u32_e32 v5, -9, v4
	v_add_co_u32_e32 v14, vcc, s14, v14
	v_addc_co_u32_e32 v15, vcc, v12, v15, vcc
	global_load_dword v3, v[14:15], off
	v_lshlrev_b64 v[14:15], 2, v[5:6]
	v_add_co_u32_e32 v14, vcc, s12, v14
	v_addc_co_u32_e32 v15, vcc, v8, v15, vcc
	global_load_dword v5, v[14:15], off
	s_waitcnt vmcnt(1)
	v_fmac_f32_e32 v11, v17, v3
	s_waitcnt vmcnt(0)
	v_fmac_f32_e32 v10, v5, v3
	v_subrev_u32_e32 v5, 19, v4
	v_lshlrev_b64 v[14:15], 2, v[5:6]
	v_add_u32_e32 v5, 2, v13
	v_add_co_u32_e32 v14, vcc, s12, v14
	v_addc_co_u32_e32 v15, vcc, v8, v15, vcc
	global_load_dword v3, v[14:15], off
	v_lshlrev_b64 v[14:15], 2, v[5:6]
	v_add_u32_e32 v5, -8, v4
	v_add_co_u32_e32 v14, vcc, s14, v14
	v_addc_co_u32_e32 v15, vcc, v12, v15, vcc
	global_load_dword v16, v[14:15], off
	v_lshlrev_b64 v[14:15], 2, v[5:6]
	v_subrev_u32_e32 v5, 18, v4
	v_add_co_u32_e32 v14, vcc, s12, v14
	v_addc_co_u32_e32 v15, vcc, v8, v15, vcc
	s_waitcnt vmcnt(0)
	v_fmac_f32_e32 v11, v3, v16
	global_load_dword v3, v[14:15], off
	v_lshlrev_b64 v[14:15], 2, v[5:6]
	v_add_u32_e32 v5, 3, v13
	v_add_co_u32_e32 v14, vcc, s12, v14
	v_addc_co_u32_e32 v15, vcc, v8, v15, vcc
	s_waitcnt vmcnt(0)
	v_fmac_f32_e32 v10, v3, v16
	global_load_dword v3, v[14:15], off
	v_lshlrev_b64 v[14:15], 2, v[5:6]
	v_add_u32_e32 v5, -7, v4
	v_add_co_u32_e32 v14, vcc, s14, v14
	v_addc_co_u32_e32 v15, vcc, v12, v15, vcc
	global_load_dword v16, v[14:15], off
	v_lshlrev_b64 v[14:15], 2, v[5:6]
	v_subrev_u32_e32 v5, 17, v4
	v_add_co_u32_e32 v14, vcc, s12, v14
	v_addc_co_u32_e32 v15, vcc, v8, v15, vcc
	s_waitcnt vmcnt(0)
	v_fmac_f32_e32 v11, v3, v16
	global_load_dword v3, v[14:15], off
	v_lshlrev_b64 v[14:15], 2, v[5:6]
	v_add_u32_e32 v5, 4, v13
	v_add_co_u32_e32 v14, vcc, s12, v14
	v_addc_co_u32_e32 v15, vcc, v8, v15, vcc
	s_waitcnt vmcnt(0)
	v_fmac_f32_e32 v10, v3, v16
	global_load_dword v3, v[14:15], off
	v_lshlrev_b64 v[14:15], 2, v[5:6]
	v_add_u32_e32 v5, -6, v4
	v_add_co_u32_e32 v14, vcc, s14, v14
	v_addc_co_u32_e32 v15, vcc, v12, v15, vcc
	global_load_dword v16, v[14:15], off
	v_lshlrev_b64 v[14:15], 2, v[5:6]
	v_add_u32_e32 v5, -16, v4
	v_add_co_u32_e32 v14, vcc, s12, v14
	v_addc_co_u32_e32 v15, vcc, v8, v15, vcc
	s_waitcnt vmcnt(0)
	v_fmac_f32_e32 v11, v3, v16
	global_load_dword v3, v[14:15], off
	v_lshlrev_b64 v[14:15], 2, v[5:6]
	v_add_u32_e32 v5, 5, v13
	v_add_co_u32_e32 v14, vcc, s12, v14
	v_addc_co_u32_e32 v15, vcc, v8, v15, vcc
	s_waitcnt vmcnt(0)
	v_fmac_f32_e32 v10, v3, v16
	global_load_dword v3, v[14:15], off
	v_lshlrev_b64 v[14:15], 2, v[5:6]
	v_add_u32_e32 v5, -5, v4
	v_add_co_u32_e32 v14, vcc, s14, v14
	v_addc_co_u32_e32 v15, vcc, v12, v15, vcc
	global_load_dword v16, v[14:15], off
	v_lshlrev_b64 v[14:15], 2, v[5:6]
	v_add_u32_e32 v5, -15, v4
	;; [unrolled: 19-line block ×6, first 2 shown]
	v_add_co_u32_e32 v14, vcc, s12, v14
	v_addc_co_u32_e32 v15, vcc, v8, v15, vcc
	s_waitcnt vmcnt(0)
	v_fmac_f32_e32 v11, v3, v16
	global_load_dword v3, v[14:15], off
	v_lshlrev_b64 v[14:15], 2, v[5:6]
	v_add_u32_e32 v5, 10, v13
	v_add_co_u32_e32 v14, vcc, s12, v14
	v_addc_co_u32_e32 v15, vcc, v8, v15, vcc
	s_waitcnt vmcnt(0)
	v_fmac_f32_e32 v10, v3, v16
	global_load_dword v3, v[14:15], off
	v_lshlrev_b64 v[13:14], 2, v[5:6]
	v_mov_b32_e32 v5, v6
	v_add_co_u32_e32 v13, vcc, s14, v13
	v_addc_co_u32_e32 v14, vcc, v12, v14, vcc
	global_load_dword v15, v[13:14], off
	v_lshlrev_b64 v[13:14], 2, v[4:5]
	v_add_u32_e32 v4, 0x2c0, v4
	v_add_co_u32_e32 v13, vcc, s12, v13
	v_addc_co_u32_e32 v14, vcc, v8, v14, vcc
	v_cmp_ge_i32_e32 vcc, v2, v9
	s_or_b64 s[0:1], vcc, s[0:1]
	s_waitcnt vmcnt(0)
	v_fmac_f32_e32 v11, v3, v15
	global_load_dword v3, v[13:14], off
	s_waitcnt vmcnt(0)
	v_fmac_f32_e32 v10, v3, v15
	s_andn2_b64 exec, exec, s[0:1]
	s_cbranch_execnz .LBB48_15
; %bb.16:
	s_or_b64 exec, exec, s[0:1]
.LBB48_17:
	s_or_b64 exec, exec, s[6:7]
.LBB48_18:
	v_mov_b32_dpp v2, v11 row_shr:1 row_mask:0xf bank_mask:0xf
	v_mov_b32_dpp v4, v10 row_shr:1 row_mask:0xf bank_mask:0xf
	v_add_f32_e32 v2, v11, v2
	v_add_f32_e32 v4, v10, v4
	v_cmp_eq_u32_e32 vcc, 31, v0
	v_mov_b32_dpp v3, v2 row_shr:2 row_mask:0xf bank_mask:0xf
	v_mov_b32_dpp v5, v4 row_shr:2 row_mask:0xf bank_mask:0xf
	v_add_f32_e32 v2, v2, v3
	v_add_f32_e32 v4, v4, v5
	s_nop 0
	v_mov_b32_dpp v3, v2 row_shr:4 row_mask:0xf bank_mask:0xe
	v_mov_b32_dpp v5, v4 row_shr:4 row_mask:0xf bank_mask:0xe
	v_add_f32_e32 v2, v2, v3
	v_add_f32_e32 v4, v4, v5
	s_nop 0
	;; [unrolled: 5-line block ×3, first 2 shown]
	v_mov_b32_dpp v3, v2 row_bcast:15 row_mask:0xa bank_mask:0xf
	v_mov_b32_dpp v5, v4 row_bcast:15 row_mask:0xa bank_mask:0xf
	s_and_b64 exec, exec, vcc
	s_cbranch_execz .LBB48_22
; %bb.19:
	s_load_dwordx2 s[0:1], s[4:5], 0x38
	v_add_f32_e32 v0, v2, v3
	v_add_f32_e32 v3, v4, v5
	v_cmp_eq_f32_e64 s[4:5], s2, 0
	s_and_b64 vcc, exec, s[4:5]
	v_mul_f32_e32 v2, s16, v0
	v_mul_f32_e32 v3, s16, v3
	v_lshlrev_b32_e32 v0, 1, v1
	s_cbranch_vccz .LBB48_23
; %bb.20:
	v_ashrrev_i32_e32 v1, 31, v0
	v_lshlrev_b64 v[4:5], 2, v[0:1]
	s_waitcnt lgkmcnt(0)
	v_mov_b32_e32 v1, s1
	v_add_co_u32_e32 v4, vcc, s0, v4
	v_addc_co_u32_e32 v5, vcc, v1, v5, vcc
	global_store_dwordx2 v[4:5], v[2:3], off
	s_cbranch_execnz .LBB48_22
.LBB48_21:
	v_ashrrev_i32_e32 v1, 31, v0
	v_lshlrev_b64 v[0:1], 2, v[0:1]
	s_waitcnt lgkmcnt(0)
	v_mov_b32_e32 v4, s1
	v_add_co_u32_e32 v0, vcc, s0, v0
	v_addc_co_u32_e32 v1, vcc, v4, v1, vcc
	global_load_dwordx2 v[4:5], v[0:1], off
	s_waitcnt vmcnt(0)
	v_fmac_f32_e32 v2, s2, v4
	v_fmac_f32_e32 v3, s2, v5
	global_store_dwordx2 v[0:1], v[2:3], off
.LBB48_22:
	s_endpgm
.LBB48_23:
	s_branch .LBB48_21
	.section	.rodata,"a",@progbits
	.p2align	6, 0x0
	.amdhsa_kernel _ZN9rocsparseL19gebsrmvn_2xn_kernelILj128ELj11ELj32EfEEvi20rocsparse_direction_NS_24const_host_device_scalarIT2_EEPKiS6_PKS3_S8_S4_PS3_21rocsparse_index_base_b
		.amdhsa_group_segment_fixed_size 0
		.amdhsa_private_segment_fixed_size 0
		.amdhsa_kernarg_size 72
		.amdhsa_user_sgpr_count 6
		.amdhsa_user_sgpr_private_segment_buffer 1
		.amdhsa_user_sgpr_dispatch_ptr 0
		.amdhsa_user_sgpr_queue_ptr 0
		.amdhsa_user_sgpr_kernarg_segment_ptr 1
		.amdhsa_user_sgpr_dispatch_id 0
		.amdhsa_user_sgpr_flat_scratch_init 0
		.amdhsa_user_sgpr_private_segment_size 0
		.amdhsa_uses_dynamic_stack 0
		.amdhsa_system_sgpr_private_segment_wavefront_offset 0
		.amdhsa_system_sgpr_workgroup_id_x 1
		.amdhsa_system_sgpr_workgroup_id_y 0
		.amdhsa_system_sgpr_workgroup_id_z 0
		.amdhsa_system_sgpr_workgroup_info 0
		.amdhsa_system_vgpr_workitem_id 0
		.amdhsa_next_free_vgpr 26
		.amdhsa_next_free_sgpr 20
		.amdhsa_reserve_vcc 1
		.amdhsa_reserve_flat_scratch 0
		.amdhsa_float_round_mode_32 0
		.amdhsa_float_round_mode_16_64 0
		.amdhsa_float_denorm_mode_32 3
		.amdhsa_float_denorm_mode_16_64 3
		.amdhsa_dx10_clamp 1
		.amdhsa_ieee_mode 1
		.amdhsa_fp16_overflow 0
		.amdhsa_exception_fp_ieee_invalid_op 0
		.amdhsa_exception_fp_denorm_src 0
		.amdhsa_exception_fp_ieee_div_zero 0
		.amdhsa_exception_fp_ieee_overflow 0
		.amdhsa_exception_fp_ieee_underflow 0
		.amdhsa_exception_fp_ieee_inexact 0
		.amdhsa_exception_int_div_zero 0
	.end_amdhsa_kernel
	.section	.text._ZN9rocsparseL19gebsrmvn_2xn_kernelILj128ELj11ELj32EfEEvi20rocsparse_direction_NS_24const_host_device_scalarIT2_EEPKiS6_PKS3_S8_S4_PS3_21rocsparse_index_base_b,"axG",@progbits,_ZN9rocsparseL19gebsrmvn_2xn_kernelILj128ELj11ELj32EfEEvi20rocsparse_direction_NS_24const_host_device_scalarIT2_EEPKiS6_PKS3_S8_S4_PS3_21rocsparse_index_base_b,comdat
.Lfunc_end48:
	.size	_ZN9rocsparseL19gebsrmvn_2xn_kernelILj128ELj11ELj32EfEEvi20rocsparse_direction_NS_24const_host_device_scalarIT2_EEPKiS6_PKS3_S8_S4_PS3_21rocsparse_index_base_b, .Lfunc_end48-_ZN9rocsparseL19gebsrmvn_2xn_kernelILj128ELj11ELj32EfEEvi20rocsparse_direction_NS_24const_host_device_scalarIT2_EEPKiS6_PKS3_S8_S4_PS3_21rocsparse_index_base_b
                                        ; -- End function
	.set _ZN9rocsparseL19gebsrmvn_2xn_kernelILj128ELj11ELj32EfEEvi20rocsparse_direction_NS_24const_host_device_scalarIT2_EEPKiS6_PKS3_S8_S4_PS3_21rocsparse_index_base_b.num_vgpr, 26
	.set _ZN9rocsparseL19gebsrmvn_2xn_kernelILj128ELj11ELj32EfEEvi20rocsparse_direction_NS_24const_host_device_scalarIT2_EEPKiS6_PKS3_S8_S4_PS3_21rocsparse_index_base_b.num_agpr, 0
	.set _ZN9rocsparseL19gebsrmvn_2xn_kernelILj128ELj11ELj32EfEEvi20rocsparse_direction_NS_24const_host_device_scalarIT2_EEPKiS6_PKS3_S8_S4_PS3_21rocsparse_index_base_b.numbered_sgpr, 20
	.set _ZN9rocsparseL19gebsrmvn_2xn_kernelILj128ELj11ELj32EfEEvi20rocsparse_direction_NS_24const_host_device_scalarIT2_EEPKiS6_PKS3_S8_S4_PS3_21rocsparse_index_base_b.num_named_barrier, 0
	.set _ZN9rocsparseL19gebsrmvn_2xn_kernelILj128ELj11ELj32EfEEvi20rocsparse_direction_NS_24const_host_device_scalarIT2_EEPKiS6_PKS3_S8_S4_PS3_21rocsparse_index_base_b.private_seg_size, 0
	.set _ZN9rocsparseL19gebsrmvn_2xn_kernelILj128ELj11ELj32EfEEvi20rocsparse_direction_NS_24const_host_device_scalarIT2_EEPKiS6_PKS3_S8_S4_PS3_21rocsparse_index_base_b.uses_vcc, 1
	.set _ZN9rocsparseL19gebsrmvn_2xn_kernelILj128ELj11ELj32EfEEvi20rocsparse_direction_NS_24const_host_device_scalarIT2_EEPKiS6_PKS3_S8_S4_PS3_21rocsparse_index_base_b.uses_flat_scratch, 0
	.set _ZN9rocsparseL19gebsrmvn_2xn_kernelILj128ELj11ELj32EfEEvi20rocsparse_direction_NS_24const_host_device_scalarIT2_EEPKiS6_PKS3_S8_S4_PS3_21rocsparse_index_base_b.has_dyn_sized_stack, 0
	.set _ZN9rocsparseL19gebsrmvn_2xn_kernelILj128ELj11ELj32EfEEvi20rocsparse_direction_NS_24const_host_device_scalarIT2_EEPKiS6_PKS3_S8_S4_PS3_21rocsparse_index_base_b.has_recursion, 0
	.set _ZN9rocsparseL19gebsrmvn_2xn_kernelILj128ELj11ELj32EfEEvi20rocsparse_direction_NS_24const_host_device_scalarIT2_EEPKiS6_PKS3_S8_S4_PS3_21rocsparse_index_base_b.has_indirect_call, 0
	.section	.AMDGPU.csdata,"",@progbits
; Kernel info:
; codeLenInByte = 2604
; TotalNumSgprs: 24
; NumVgprs: 26
; ScratchSize: 0
; MemoryBound: 0
; FloatMode: 240
; IeeeMode: 1
; LDSByteSize: 0 bytes/workgroup (compile time only)
; SGPRBlocks: 2
; VGPRBlocks: 6
; NumSGPRsForWavesPerEU: 24
; NumVGPRsForWavesPerEU: 26
; Occupancy: 9
; WaveLimiterHint : 1
; COMPUTE_PGM_RSRC2:SCRATCH_EN: 0
; COMPUTE_PGM_RSRC2:USER_SGPR: 6
; COMPUTE_PGM_RSRC2:TRAP_HANDLER: 0
; COMPUTE_PGM_RSRC2:TGID_X_EN: 1
; COMPUTE_PGM_RSRC2:TGID_Y_EN: 0
; COMPUTE_PGM_RSRC2:TGID_Z_EN: 0
; COMPUTE_PGM_RSRC2:TIDIG_COMP_CNT: 0
	.section	.text._ZN9rocsparseL19gebsrmvn_2xn_kernelILj128ELj11ELj64EfEEvi20rocsparse_direction_NS_24const_host_device_scalarIT2_EEPKiS6_PKS3_S8_S4_PS3_21rocsparse_index_base_b,"axG",@progbits,_ZN9rocsparseL19gebsrmvn_2xn_kernelILj128ELj11ELj64EfEEvi20rocsparse_direction_NS_24const_host_device_scalarIT2_EEPKiS6_PKS3_S8_S4_PS3_21rocsparse_index_base_b,comdat
	.globl	_ZN9rocsparseL19gebsrmvn_2xn_kernelILj128ELj11ELj64EfEEvi20rocsparse_direction_NS_24const_host_device_scalarIT2_EEPKiS6_PKS3_S8_S4_PS3_21rocsparse_index_base_b ; -- Begin function _ZN9rocsparseL19gebsrmvn_2xn_kernelILj128ELj11ELj64EfEEvi20rocsparse_direction_NS_24const_host_device_scalarIT2_EEPKiS6_PKS3_S8_S4_PS3_21rocsparse_index_base_b
	.p2align	8
	.type	_ZN9rocsparseL19gebsrmvn_2xn_kernelILj128ELj11ELj64EfEEvi20rocsparse_direction_NS_24const_host_device_scalarIT2_EEPKiS6_PKS3_S8_S4_PS3_21rocsparse_index_base_b,@function
_ZN9rocsparseL19gebsrmvn_2xn_kernelILj128ELj11ELj64EfEEvi20rocsparse_direction_NS_24const_host_device_scalarIT2_EEPKiS6_PKS3_S8_S4_PS3_21rocsparse_index_base_b: ; @_ZN9rocsparseL19gebsrmvn_2xn_kernelILj128ELj11ELj64EfEEvi20rocsparse_direction_NS_24const_host_device_scalarIT2_EEPKiS6_PKS3_S8_S4_PS3_21rocsparse_index_base_b
; %bb.0:
	s_load_dwordx2 s[18:19], s[4:5], 0x40
	s_load_dwordx2 s[16:17], s[4:5], 0x8
	;; [unrolled: 1-line block ×3, first 2 shown]
	s_waitcnt lgkmcnt(0)
	s_bitcmp1_b32 s19, 0
	s_cselect_b64 s[8:9], -1, 0
	s_xor_b64 s[0:1], s[8:9], -1
	s_and_b64 vcc, exec, s[8:9]
	s_cbranch_vccnz .LBB49_2
; %bb.1:
	s_load_dword s16, s[16:17], 0x0
.LBB49_2:
	s_andn2_b64 vcc, exec, s[0:1]
	s_cbranch_vccnz .LBB49_4
; %bb.3:
	s_load_dword s2, s[2:3], 0x0
.LBB49_4:
	s_waitcnt lgkmcnt(0)
	v_cmp_eq_f32_e64 s[0:1], s16, 0
	v_cmp_eq_f32_e64 s[8:9], s2, 1.0
	s_and_b64 s[0:1], s[0:1], s[8:9]
	s_and_b64 vcc, exec, s[0:1]
	s_cbranch_vccnz .LBB49_22
; %bb.5:
	s_load_dwordx2 s[0:1], s[4:5], 0x0
	v_lshrrev_b32_e32 v1, 6, v0
	v_lshl_or_b32 v1, s6, 1, v1
	s_waitcnt lgkmcnt(0)
	v_cmp_gt_i32_e32 vcc, s0, v1
	s_and_saveexec_b64 s[6:7], vcc
	s_cbranch_execz .LBB49_22
; %bb.6:
	s_load_dwordx8 s[8:15], s[4:5], 0x10
	v_ashrrev_i32_e32 v2, 31, v1
	v_lshlrev_b64 v[2:3], 2, v[1:2]
	v_and_b32_e32 v0, 63, v0
	s_cmp_lg_u32 s1, 0
	s_waitcnt lgkmcnt(0)
	v_mov_b32_e32 v4, s9
	v_add_co_u32_e32 v2, vcc, s8, v2
	v_addc_co_u32_e32 v3, vcc, v4, v3, vcc
	global_load_dwordx2 v[2:3], v[2:3], off
	s_waitcnt vmcnt(0)
	v_subrev_u32_e32 v2, s18, v2
	v_subrev_u32_e32 v9, s18, v3
	v_add_u32_e32 v2, v2, v0
	v_cmp_lt_i32_e64 s[0:1], v2, v9
	s_cbranch_scc0 .LBB49_12
; %bb.7:
	v_mov_b32_e32 v11, 0
	v_mov_b32_e32 v10, 0
	s_and_saveexec_b64 s[6:7], s[0:1]
	s_cbranch_execz .LBB49_11
; %bb.8:
	v_mad_u64_u32 v[3:4], s[8:9], v2, 22, 20
	v_mov_b32_e32 v6, 0
	s_mov_b64 s[8:9], 0
	v_mov_b32_e32 v12, s11
	v_mov_b32_e32 v13, s13
	;; [unrolled: 1-line block ×6, first 2 shown]
.LBB49_9:                               ; =>This Inner Loop Header: Depth=1
	v_ashrrev_i32_e32 v8, 31, v7
	v_lshlrev_b64 v[17:18], 2, v[7:8]
	v_subrev_u32_e32 v5, 20, v3
	v_add_co_u32_e32 v17, vcc, s10, v17
	v_addc_co_u32_e32 v18, vcc, v12, v18, vcc
	global_load_dword v8, v[17:18], off
	v_lshlrev_b64 v[19:20], 2, v[5:6]
	v_mov_b32_e32 v16, v6
	v_add_co_u32_e32 v19, vcc, s12, v19
	v_addc_co_u32_e32 v20, vcc, v13, v20, vcc
	v_mov_b32_e32 v4, v6
	v_lshlrev_b64 v[21:22], 2, v[3:4]
	v_subrev_u32_e32 v5, 18, v3
	v_add_u32_e32 v7, 64, v7
	s_waitcnt vmcnt(0)
	v_subrev_u32_e32 v8, s18, v8
	v_mul_lo_u32 v15, v8, 11
	v_lshlrev_b64 v[16:17], 2, v[15:16]
	v_add_co_u32_e32 v16, vcc, s14, v16
	v_addc_co_u32_e32 v17, vcc, v14, v17, vcc
	global_load_dwordx2 v[23:24], v[19:20], off
	global_load_dword v4, v[16:17], off
	v_add_co_u32_e32 v16, vcc, s12, v21
	v_addc_co_u32_e32 v17, vcc, v13, v22, vcc
	s_waitcnt vmcnt(0)
	v_fmac_f32_e32 v11, v23, v4
	v_fmac_f32_e32 v10, v24, v4
	v_lshlrev_b64 v[4:5], 2, v[5:6]
	v_add_co_u32_e32 v18, vcc, s12, v4
	v_addc_co_u32_e32 v19, vcc, v13, v5, vcc
	v_add_u32_e32 v5, 1, v15
	v_lshlrev_b64 v[4:5], 2, v[5:6]
	global_load_dwordx2 v[18:19], v[18:19], off
	v_add_co_u32_e32 v20, vcc, s14, v4
	v_addc_co_u32_e32 v21, vcc, v14, v5, vcc
	global_load_dword v4, v[20:21], off
	v_add_u32_e32 v5, -16, v3
	s_waitcnt vmcnt(0)
	v_fmac_f32_e32 v11, v18, v4
	v_fmac_f32_e32 v10, v19, v4
	v_lshlrev_b64 v[18:19], 2, v[5:6]
	v_add_u32_e32 v5, 2, v15
	v_add_co_u32_e32 v18, vcc, s12, v18
	v_lshlrev_b64 v[4:5], 2, v[5:6]
	v_addc_co_u32_e32 v19, vcc, v13, v19, vcc
	v_add_co_u32_e32 v20, vcc, s14, v4
	v_addc_co_u32_e32 v21, vcc, v14, v5, vcc
	global_load_dwordx2 v[22:23], v[18:19], off
	global_load_dword v4, v[20:21], off
	v_add_u32_e32 v5, -14, v3
	v_lshlrev_b64 v[18:19], 2, v[5:6]
	v_add_u32_e32 v5, 3, v15
	v_add_co_u32_e32 v18, vcc, s12, v18
	v_addc_co_u32_e32 v19, vcc, v13, v19, vcc
	s_waitcnt vmcnt(0)
	v_fmac_f32_e32 v11, v22, v4
	v_fmac_f32_e32 v10, v23, v4
	v_lshlrev_b64 v[4:5], 2, v[5:6]
	v_add_co_u32_e32 v20, vcc, s14, v4
	v_addc_co_u32_e32 v21, vcc, v14, v5, vcc
	global_load_dwordx2 v[22:23], v[18:19], off
	global_load_dword v4, v[20:21], off
	v_add_u32_e32 v5, -12, v3
	v_lshlrev_b64 v[18:19], 2, v[5:6]
	v_add_u32_e32 v5, 4, v15
	v_add_co_u32_e32 v18, vcc, s12, v18
	v_addc_co_u32_e32 v19, vcc, v13, v19, vcc
	s_waitcnt vmcnt(0)
	v_fmac_f32_e32 v11, v22, v4
	v_fmac_f32_e32 v10, v23, v4
	v_lshlrev_b64 v[4:5], 2, v[5:6]
	;; [unrolled: 13-line block ×6, first 2 shown]
	v_add_co_u32_e32 v20, vcc, s14, v4
	v_addc_co_u32_e32 v21, vcc, v14, v5, vcc
	global_load_dwordx2 v[22:23], v[18:19], off
	global_load_dword v4, v[20:21], off
	v_add_u32_e32 v5, -2, v3
	v_lshlrev_b64 v[18:19], 2, v[5:6]
	v_add_u32_e32 v5, 9, v15
	v_lshlrev_b64 v[20:21], 2, v[5:6]
	v_add_co_u32_e32 v18, vcc, s12, v18
	v_add_u32_e32 v5, 10, v15
	v_addc_co_u32_e32 v19, vcc, v13, v19, vcc
	v_add_co_u32_e32 v20, vcc, s14, v20
	v_addc_co_u32_e32 v21, vcc, v14, v21, vcc
	v_add_u32_e32 v3, 0x580, v3
	s_waitcnt vmcnt(0)
	v_fmac_f32_e32 v11, v22, v4
	v_fmac_f32_e32 v10, v23, v4
	v_lshlrev_b64 v[4:5], 2, v[5:6]
	v_add_co_u32_e32 v4, vcc, s14, v4
	v_addc_co_u32_e32 v5, vcc, v14, v5, vcc
	global_load_dwordx2 v[22:23], v[16:17], off
	global_load_dwordx2 v[24:25], v[18:19], off
	global_load_dword v8, v[20:21], off
	global_load_dword v15, v[4:5], off
	v_cmp_ge_i32_e32 vcc, v7, v9
	s_or_b64 s[8:9], vcc, s[8:9]
	s_waitcnt vmcnt(1)
	v_fmac_f32_e32 v11, v24, v8
	v_fmac_f32_e32 v10, v25, v8
	s_waitcnt vmcnt(0)
	v_fmac_f32_e32 v11, v22, v15
	v_fmac_f32_e32 v10, v23, v15
	s_andn2_b64 exec, exec, s[8:9]
	s_cbranch_execnz .LBB49_9
; %bb.10:
	s_or_b64 exec, exec, s[8:9]
.LBB49_11:
	s_or_b64 exec, exec, s[6:7]
	s_cbranch_execz .LBB49_13
	s_branch .LBB49_18
.LBB49_12:
                                        ; implicit-def: $vgpr11
                                        ; implicit-def: $vgpr10
.LBB49_13:
	v_mov_b32_e32 v11, 0
	v_mov_b32_e32 v10, 0
	s_and_saveexec_b64 s[6:7], s[0:1]
	s_cbranch_execz .LBB49_17
; %bb.14:
	v_mad_u64_u32 v[4:5], s[0:1], v2, 22, 21
	v_mov_b32_e32 v6, 0
	s_mov_b64 s[0:1], 0
	v_mov_b32_e32 v7, s11
	v_mov_b32_e32 v8, s13
	;; [unrolled: 1-line block ×5, first 2 shown]
.LBB49_15:                              ; =>This Inner Loop Header: Depth=1
	v_ashrrev_i32_e32 v3, 31, v2
	v_lshlrev_b64 v[13:14], 2, v[2:3]
	v_subrev_u32_e32 v5, 21, v4
	v_add_co_u32_e32 v13, vcc, s10, v13
	v_addc_co_u32_e32 v14, vcc, v7, v14, vcc
	global_load_dword v3, v[13:14], off
	v_lshlrev_b64 v[16:17], 2, v[5:6]
	v_mov_b32_e32 v14, v6
	v_add_co_u32_e32 v16, vcc, s12, v16
	v_addc_co_u32_e32 v17, vcc, v8, v17, vcc
	global_load_dwordx2 v[16:17], v[16:17], off
	v_add_u32_e32 v15, -10, v4
	v_add_u32_e32 v2, 64, v2
	s_waitcnt vmcnt(1)
	v_subrev_u32_e32 v3, s18, v3
	v_mul_lo_u32 v13, v3, 11
	v_lshlrev_b64 v[18:19], 2, v[13:14]
	v_add_co_u32_e32 v18, vcc, s14, v18
	v_addc_co_u32_e32 v19, vcc, v12, v19, vcc
	global_load_dword v3, v[18:19], off
	s_waitcnt vmcnt(0)
	v_fmac_f32_e32 v11, v16, v3
	v_mov_b32_e32 v16, v6
	v_lshlrev_b64 v[14:15], 2, v[15:16]
	v_add_co_u32_e32 v14, vcc, s12, v14
	v_addc_co_u32_e32 v15, vcc, v8, v15, vcc
	global_load_dword v5, v[14:15], off
	s_waitcnt vmcnt(0)
	v_fmac_f32_e32 v10, v5, v3
	v_add_u32_e32 v5, 1, v13
	v_lshlrev_b64 v[14:15], 2, v[5:6]
	v_add_u32_e32 v5, -9, v4
	v_add_co_u32_e32 v14, vcc, s14, v14
	v_addc_co_u32_e32 v15, vcc, v12, v15, vcc
	global_load_dword v3, v[14:15], off
	v_lshlrev_b64 v[14:15], 2, v[5:6]
	v_add_co_u32_e32 v14, vcc, s12, v14
	v_addc_co_u32_e32 v15, vcc, v8, v15, vcc
	global_load_dword v5, v[14:15], off
	s_waitcnt vmcnt(1)
	v_fmac_f32_e32 v11, v17, v3
	s_waitcnt vmcnt(0)
	v_fmac_f32_e32 v10, v5, v3
	v_subrev_u32_e32 v5, 19, v4
	v_lshlrev_b64 v[14:15], 2, v[5:6]
	v_add_u32_e32 v5, 2, v13
	v_add_co_u32_e32 v14, vcc, s12, v14
	v_addc_co_u32_e32 v15, vcc, v8, v15, vcc
	global_load_dword v3, v[14:15], off
	v_lshlrev_b64 v[14:15], 2, v[5:6]
	v_add_u32_e32 v5, -8, v4
	v_add_co_u32_e32 v14, vcc, s14, v14
	v_addc_co_u32_e32 v15, vcc, v12, v15, vcc
	global_load_dword v16, v[14:15], off
	v_lshlrev_b64 v[14:15], 2, v[5:6]
	v_subrev_u32_e32 v5, 18, v4
	v_add_co_u32_e32 v14, vcc, s12, v14
	v_addc_co_u32_e32 v15, vcc, v8, v15, vcc
	s_waitcnt vmcnt(0)
	v_fmac_f32_e32 v11, v3, v16
	global_load_dword v3, v[14:15], off
	v_lshlrev_b64 v[14:15], 2, v[5:6]
	v_add_u32_e32 v5, 3, v13
	v_add_co_u32_e32 v14, vcc, s12, v14
	v_addc_co_u32_e32 v15, vcc, v8, v15, vcc
	s_waitcnt vmcnt(0)
	v_fmac_f32_e32 v10, v3, v16
	global_load_dword v3, v[14:15], off
	v_lshlrev_b64 v[14:15], 2, v[5:6]
	v_add_u32_e32 v5, -7, v4
	v_add_co_u32_e32 v14, vcc, s14, v14
	v_addc_co_u32_e32 v15, vcc, v12, v15, vcc
	global_load_dword v16, v[14:15], off
	v_lshlrev_b64 v[14:15], 2, v[5:6]
	v_subrev_u32_e32 v5, 17, v4
	v_add_co_u32_e32 v14, vcc, s12, v14
	v_addc_co_u32_e32 v15, vcc, v8, v15, vcc
	s_waitcnt vmcnt(0)
	v_fmac_f32_e32 v11, v3, v16
	global_load_dword v3, v[14:15], off
	v_lshlrev_b64 v[14:15], 2, v[5:6]
	v_add_u32_e32 v5, 4, v13
	v_add_co_u32_e32 v14, vcc, s12, v14
	v_addc_co_u32_e32 v15, vcc, v8, v15, vcc
	s_waitcnt vmcnt(0)
	v_fmac_f32_e32 v10, v3, v16
	global_load_dword v3, v[14:15], off
	v_lshlrev_b64 v[14:15], 2, v[5:6]
	v_add_u32_e32 v5, -6, v4
	v_add_co_u32_e32 v14, vcc, s14, v14
	v_addc_co_u32_e32 v15, vcc, v12, v15, vcc
	global_load_dword v16, v[14:15], off
	v_lshlrev_b64 v[14:15], 2, v[5:6]
	v_add_u32_e32 v5, -16, v4
	v_add_co_u32_e32 v14, vcc, s12, v14
	v_addc_co_u32_e32 v15, vcc, v8, v15, vcc
	s_waitcnt vmcnt(0)
	v_fmac_f32_e32 v11, v3, v16
	global_load_dword v3, v[14:15], off
	v_lshlrev_b64 v[14:15], 2, v[5:6]
	v_add_u32_e32 v5, 5, v13
	v_add_co_u32_e32 v14, vcc, s12, v14
	v_addc_co_u32_e32 v15, vcc, v8, v15, vcc
	s_waitcnt vmcnt(0)
	v_fmac_f32_e32 v10, v3, v16
	global_load_dword v3, v[14:15], off
	v_lshlrev_b64 v[14:15], 2, v[5:6]
	v_add_u32_e32 v5, -5, v4
	v_add_co_u32_e32 v14, vcc, s14, v14
	v_addc_co_u32_e32 v15, vcc, v12, v15, vcc
	global_load_dword v16, v[14:15], off
	v_lshlrev_b64 v[14:15], 2, v[5:6]
	v_add_u32_e32 v5, -15, v4
	;; [unrolled: 19-line block ×6, first 2 shown]
	v_add_co_u32_e32 v14, vcc, s12, v14
	v_addc_co_u32_e32 v15, vcc, v8, v15, vcc
	s_waitcnt vmcnt(0)
	v_fmac_f32_e32 v11, v3, v16
	global_load_dword v3, v[14:15], off
	v_lshlrev_b64 v[14:15], 2, v[5:6]
	v_add_u32_e32 v5, 10, v13
	v_add_co_u32_e32 v14, vcc, s12, v14
	v_addc_co_u32_e32 v15, vcc, v8, v15, vcc
	s_waitcnt vmcnt(0)
	v_fmac_f32_e32 v10, v3, v16
	global_load_dword v3, v[14:15], off
	v_lshlrev_b64 v[13:14], 2, v[5:6]
	v_mov_b32_e32 v5, v6
	v_add_co_u32_e32 v13, vcc, s14, v13
	v_addc_co_u32_e32 v14, vcc, v12, v14, vcc
	global_load_dword v15, v[13:14], off
	v_lshlrev_b64 v[13:14], 2, v[4:5]
	v_add_u32_e32 v4, 0x580, v4
	v_add_co_u32_e32 v13, vcc, s12, v13
	v_addc_co_u32_e32 v14, vcc, v8, v14, vcc
	v_cmp_ge_i32_e32 vcc, v2, v9
	s_or_b64 s[0:1], vcc, s[0:1]
	s_waitcnt vmcnt(0)
	v_fmac_f32_e32 v11, v3, v15
	global_load_dword v3, v[13:14], off
	s_waitcnt vmcnt(0)
	v_fmac_f32_e32 v10, v3, v15
	s_andn2_b64 exec, exec, s[0:1]
	s_cbranch_execnz .LBB49_15
; %bb.16:
	s_or_b64 exec, exec, s[0:1]
.LBB49_17:
	s_or_b64 exec, exec, s[6:7]
.LBB49_18:
	v_mov_b32_dpp v2, v11 row_shr:1 row_mask:0xf bank_mask:0xf
	v_mov_b32_dpp v4, v10 row_shr:1 row_mask:0xf bank_mask:0xf
	v_add_f32_e32 v2, v11, v2
	v_add_f32_e32 v4, v10, v4
	v_cmp_eq_u32_e32 vcc, 63, v0
	v_mov_b32_dpp v3, v2 row_shr:2 row_mask:0xf bank_mask:0xf
	v_mov_b32_dpp v5, v4 row_shr:2 row_mask:0xf bank_mask:0xf
	v_add_f32_e32 v2, v2, v3
	v_add_f32_e32 v4, v4, v5
	s_nop 0
	v_mov_b32_dpp v3, v2 row_shr:4 row_mask:0xf bank_mask:0xe
	v_mov_b32_dpp v5, v4 row_shr:4 row_mask:0xf bank_mask:0xe
	v_add_f32_e32 v2, v2, v3
	v_add_f32_e32 v4, v4, v5
	s_nop 0
	v_mov_b32_dpp v3, v2 row_shr:8 row_mask:0xf bank_mask:0xc
	v_mov_b32_dpp v5, v4 row_shr:8 row_mask:0xf bank_mask:0xc
	v_add_f32_e32 v2, v2, v3
	v_add_f32_e32 v4, v4, v5
	s_nop 0
	v_mov_b32_dpp v3, v2 row_bcast:15 row_mask:0xa bank_mask:0xf
	v_mov_b32_dpp v5, v4 row_bcast:15 row_mask:0xa bank_mask:0xf
	v_add_f32_e32 v2, v2, v3
	v_add_f32_e32 v4, v4, v5
	s_nop 0
	v_mov_b32_dpp v3, v2 row_bcast:31 row_mask:0xc bank_mask:0xf
	v_mov_b32_dpp v5, v4 row_bcast:31 row_mask:0xc bank_mask:0xf
	s_and_b64 exec, exec, vcc
	s_cbranch_execz .LBB49_22
; %bb.19:
	s_load_dwordx2 s[0:1], s[4:5], 0x38
	v_add_f32_e32 v0, v2, v3
	v_add_f32_e32 v3, v4, v5
	v_cmp_eq_f32_e64 s[4:5], s2, 0
	s_and_b64 vcc, exec, s[4:5]
	v_mul_f32_e32 v2, s16, v0
	v_mul_f32_e32 v3, s16, v3
	v_lshlrev_b32_e32 v0, 1, v1
	s_cbranch_vccz .LBB49_23
; %bb.20:
	v_ashrrev_i32_e32 v1, 31, v0
	v_lshlrev_b64 v[4:5], 2, v[0:1]
	s_waitcnt lgkmcnt(0)
	v_mov_b32_e32 v1, s1
	v_add_co_u32_e32 v4, vcc, s0, v4
	v_addc_co_u32_e32 v5, vcc, v1, v5, vcc
	global_store_dwordx2 v[4:5], v[2:3], off
	s_cbranch_execnz .LBB49_22
.LBB49_21:
	v_ashrrev_i32_e32 v1, 31, v0
	v_lshlrev_b64 v[0:1], 2, v[0:1]
	s_waitcnt lgkmcnt(0)
	v_mov_b32_e32 v4, s1
	v_add_co_u32_e32 v0, vcc, s0, v0
	v_addc_co_u32_e32 v1, vcc, v4, v1, vcc
	global_load_dwordx2 v[4:5], v[0:1], off
	s_waitcnt vmcnt(0)
	v_fmac_f32_e32 v2, s2, v4
	v_fmac_f32_e32 v3, s2, v5
	global_store_dwordx2 v[0:1], v[2:3], off
.LBB49_22:
	s_endpgm
.LBB49_23:
	s_branch .LBB49_21
	.section	.rodata,"a",@progbits
	.p2align	6, 0x0
	.amdhsa_kernel _ZN9rocsparseL19gebsrmvn_2xn_kernelILj128ELj11ELj64EfEEvi20rocsparse_direction_NS_24const_host_device_scalarIT2_EEPKiS6_PKS3_S8_S4_PS3_21rocsparse_index_base_b
		.amdhsa_group_segment_fixed_size 0
		.amdhsa_private_segment_fixed_size 0
		.amdhsa_kernarg_size 72
		.amdhsa_user_sgpr_count 6
		.amdhsa_user_sgpr_private_segment_buffer 1
		.amdhsa_user_sgpr_dispatch_ptr 0
		.amdhsa_user_sgpr_queue_ptr 0
		.amdhsa_user_sgpr_kernarg_segment_ptr 1
		.amdhsa_user_sgpr_dispatch_id 0
		.amdhsa_user_sgpr_flat_scratch_init 0
		.amdhsa_user_sgpr_private_segment_size 0
		.amdhsa_uses_dynamic_stack 0
		.amdhsa_system_sgpr_private_segment_wavefront_offset 0
		.amdhsa_system_sgpr_workgroup_id_x 1
		.amdhsa_system_sgpr_workgroup_id_y 0
		.amdhsa_system_sgpr_workgroup_id_z 0
		.amdhsa_system_sgpr_workgroup_info 0
		.amdhsa_system_vgpr_workitem_id 0
		.amdhsa_next_free_vgpr 26
		.amdhsa_next_free_sgpr 20
		.amdhsa_reserve_vcc 1
		.amdhsa_reserve_flat_scratch 0
		.amdhsa_float_round_mode_32 0
		.amdhsa_float_round_mode_16_64 0
		.amdhsa_float_denorm_mode_32 3
		.amdhsa_float_denorm_mode_16_64 3
		.amdhsa_dx10_clamp 1
		.amdhsa_ieee_mode 1
		.amdhsa_fp16_overflow 0
		.amdhsa_exception_fp_ieee_invalid_op 0
		.amdhsa_exception_fp_denorm_src 0
		.amdhsa_exception_fp_ieee_div_zero 0
		.amdhsa_exception_fp_ieee_overflow 0
		.amdhsa_exception_fp_ieee_underflow 0
		.amdhsa_exception_fp_ieee_inexact 0
		.amdhsa_exception_int_div_zero 0
	.end_amdhsa_kernel
	.section	.text._ZN9rocsparseL19gebsrmvn_2xn_kernelILj128ELj11ELj64EfEEvi20rocsparse_direction_NS_24const_host_device_scalarIT2_EEPKiS6_PKS3_S8_S4_PS3_21rocsparse_index_base_b,"axG",@progbits,_ZN9rocsparseL19gebsrmvn_2xn_kernelILj128ELj11ELj64EfEEvi20rocsparse_direction_NS_24const_host_device_scalarIT2_EEPKiS6_PKS3_S8_S4_PS3_21rocsparse_index_base_b,comdat
.Lfunc_end49:
	.size	_ZN9rocsparseL19gebsrmvn_2xn_kernelILj128ELj11ELj64EfEEvi20rocsparse_direction_NS_24const_host_device_scalarIT2_EEPKiS6_PKS3_S8_S4_PS3_21rocsparse_index_base_b, .Lfunc_end49-_ZN9rocsparseL19gebsrmvn_2xn_kernelILj128ELj11ELj64EfEEvi20rocsparse_direction_NS_24const_host_device_scalarIT2_EEPKiS6_PKS3_S8_S4_PS3_21rocsparse_index_base_b
                                        ; -- End function
	.set _ZN9rocsparseL19gebsrmvn_2xn_kernelILj128ELj11ELj64EfEEvi20rocsparse_direction_NS_24const_host_device_scalarIT2_EEPKiS6_PKS3_S8_S4_PS3_21rocsparse_index_base_b.num_vgpr, 26
	.set _ZN9rocsparseL19gebsrmvn_2xn_kernelILj128ELj11ELj64EfEEvi20rocsparse_direction_NS_24const_host_device_scalarIT2_EEPKiS6_PKS3_S8_S4_PS3_21rocsparse_index_base_b.num_agpr, 0
	.set _ZN9rocsparseL19gebsrmvn_2xn_kernelILj128ELj11ELj64EfEEvi20rocsparse_direction_NS_24const_host_device_scalarIT2_EEPKiS6_PKS3_S8_S4_PS3_21rocsparse_index_base_b.numbered_sgpr, 20
	.set _ZN9rocsparseL19gebsrmvn_2xn_kernelILj128ELj11ELj64EfEEvi20rocsparse_direction_NS_24const_host_device_scalarIT2_EEPKiS6_PKS3_S8_S4_PS3_21rocsparse_index_base_b.num_named_barrier, 0
	.set _ZN9rocsparseL19gebsrmvn_2xn_kernelILj128ELj11ELj64EfEEvi20rocsparse_direction_NS_24const_host_device_scalarIT2_EEPKiS6_PKS3_S8_S4_PS3_21rocsparse_index_base_b.private_seg_size, 0
	.set _ZN9rocsparseL19gebsrmvn_2xn_kernelILj128ELj11ELj64EfEEvi20rocsparse_direction_NS_24const_host_device_scalarIT2_EEPKiS6_PKS3_S8_S4_PS3_21rocsparse_index_base_b.uses_vcc, 1
	.set _ZN9rocsparseL19gebsrmvn_2xn_kernelILj128ELj11ELj64EfEEvi20rocsparse_direction_NS_24const_host_device_scalarIT2_EEPKiS6_PKS3_S8_S4_PS3_21rocsparse_index_base_b.uses_flat_scratch, 0
	.set _ZN9rocsparseL19gebsrmvn_2xn_kernelILj128ELj11ELj64EfEEvi20rocsparse_direction_NS_24const_host_device_scalarIT2_EEPKiS6_PKS3_S8_S4_PS3_21rocsparse_index_base_b.has_dyn_sized_stack, 0
	.set _ZN9rocsparseL19gebsrmvn_2xn_kernelILj128ELj11ELj64EfEEvi20rocsparse_direction_NS_24const_host_device_scalarIT2_EEPKiS6_PKS3_S8_S4_PS3_21rocsparse_index_base_b.has_recursion, 0
	.set _ZN9rocsparseL19gebsrmvn_2xn_kernelILj128ELj11ELj64EfEEvi20rocsparse_direction_NS_24const_host_device_scalarIT2_EEPKiS6_PKS3_S8_S4_PS3_21rocsparse_index_base_b.has_indirect_call, 0
	.section	.AMDGPU.csdata,"",@progbits
; Kernel info:
; codeLenInByte = 2632
; TotalNumSgprs: 24
; NumVgprs: 26
; ScratchSize: 0
; MemoryBound: 0
; FloatMode: 240
; IeeeMode: 1
; LDSByteSize: 0 bytes/workgroup (compile time only)
; SGPRBlocks: 2
; VGPRBlocks: 6
; NumSGPRsForWavesPerEU: 24
; NumVGPRsForWavesPerEU: 26
; Occupancy: 9
; WaveLimiterHint : 1
; COMPUTE_PGM_RSRC2:SCRATCH_EN: 0
; COMPUTE_PGM_RSRC2:USER_SGPR: 6
; COMPUTE_PGM_RSRC2:TRAP_HANDLER: 0
; COMPUTE_PGM_RSRC2:TGID_X_EN: 1
; COMPUTE_PGM_RSRC2:TGID_Y_EN: 0
; COMPUTE_PGM_RSRC2:TGID_Z_EN: 0
; COMPUTE_PGM_RSRC2:TIDIG_COMP_CNT: 0
	.section	.text._ZN9rocsparseL19gebsrmvn_2xn_kernelILj128ELj12ELj4EfEEvi20rocsparse_direction_NS_24const_host_device_scalarIT2_EEPKiS6_PKS3_S8_S4_PS3_21rocsparse_index_base_b,"axG",@progbits,_ZN9rocsparseL19gebsrmvn_2xn_kernelILj128ELj12ELj4EfEEvi20rocsparse_direction_NS_24const_host_device_scalarIT2_EEPKiS6_PKS3_S8_S4_PS3_21rocsparse_index_base_b,comdat
	.globl	_ZN9rocsparseL19gebsrmvn_2xn_kernelILj128ELj12ELj4EfEEvi20rocsparse_direction_NS_24const_host_device_scalarIT2_EEPKiS6_PKS3_S8_S4_PS3_21rocsparse_index_base_b ; -- Begin function _ZN9rocsparseL19gebsrmvn_2xn_kernelILj128ELj12ELj4EfEEvi20rocsparse_direction_NS_24const_host_device_scalarIT2_EEPKiS6_PKS3_S8_S4_PS3_21rocsparse_index_base_b
	.p2align	8
	.type	_ZN9rocsparseL19gebsrmvn_2xn_kernelILj128ELj12ELj4EfEEvi20rocsparse_direction_NS_24const_host_device_scalarIT2_EEPKiS6_PKS3_S8_S4_PS3_21rocsparse_index_base_b,@function
_ZN9rocsparseL19gebsrmvn_2xn_kernelILj128ELj12ELj4EfEEvi20rocsparse_direction_NS_24const_host_device_scalarIT2_EEPKiS6_PKS3_S8_S4_PS3_21rocsparse_index_base_b: ; @_ZN9rocsparseL19gebsrmvn_2xn_kernelILj128ELj12ELj4EfEEvi20rocsparse_direction_NS_24const_host_device_scalarIT2_EEPKiS6_PKS3_S8_S4_PS3_21rocsparse_index_base_b
; %bb.0:
	s_load_dwordx2 s[18:19], s[4:5], 0x40
	s_load_dwordx2 s[16:17], s[4:5], 0x8
	;; [unrolled: 1-line block ×3, first 2 shown]
	s_waitcnt lgkmcnt(0)
	s_bitcmp1_b32 s19, 0
	s_cselect_b64 s[8:9], -1, 0
	s_xor_b64 s[0:1], s[8:9], -1
	s_and_b64 vcc, exec, s[8:9]
	s_cbranch_vccnz .LBB50_2
; %bb.1:
	s_load_dword s16, s[16:17], 0x0
.LBB50_2:
	s_andn2_b64 vcc, exec, s[0:1]
	s_cbranch_vccnz .LBB50_4
; %bb.3:
	s_load_dword s2, s[2:3], 0x0
.LBB50_4:
	s_waitcnt lgkmcnt(0)
	v_cmp_eq_f32_e64 s[0:1], s16, 0
	v_cmp_eq_f32_e64 s[8:9], s2, 1.0
	s_and_b64 s[0:1], s[0:1], s[8:9]
	s_and_b64 vcc, exec, s[0:1]
	s_cbranch_vccnz .LBB50_22
; %bb.5:
	s_load_dwordx2 s[0:1], s[4:5], 0x0
	v_lshrrev_b32_e32 v1, 2, v0
	v_lshl_or_b32 v1, s6, 5, v1
	s_waitcnt lgkmcnt(0)
	v_cmp_gt_i32_e32 vcc, s0, v1
	s_and_saveexec_b64 s[6:7], vcc
	s_cbranch_execz .LBB50_22
; %bb.6:
	s_load_dwordx8 s[8:15], s[4:5], 0x10
	v_ashrrev_i32_e32 v2, 31, v1
	v_lshlrev_b64 v[2:3], 2, v[1:2]
	v_and_b32_e32 v0, 3, v0
	s_cmp_lg_u32 s1, 0
	s_waitcnt lgkmcnt(0)
	v_mov_b32_e32 v4, s9
	v_add_co_u32_e32 v2, vcc, s8, v2
	v_addc_co_u32_e32 v3, vcc, v4, v3, vcc
	global_load_dwordx2 v[2:3], v[2:3], off
	s_waitcnt vmcnt(0)
	v_subrev_u32_e32 v2, s18, v2
	v_subrev_u32_e32 v9, s18, v3
	v_add_u32_e32 v2, v2, v0
	v_cmp_lt_i32_e64 s[0:1], v2, v9
	s_cbranch_scc0 .LBB50_12
; %bb.7:
	v_mov_b32_e32 v10, 0
	v_mov_b32_e32 v11, 0
	s_and_saveexec_b64 s[6:7], s[0:1]
	s_cbranch_execz .LBB50_11
; %bb.8:
	v_mad_u64_u32 v[3:4], s[8:9], v2, 24, 22
	v_mov_b32_e32 v6, 0
	s_mov_b64 s[8:9], 0
	v_mov_b32_e32 v12, s11
	v_mov_b32_e32 v13, s13
	;; [unrolled: 1-line block ×6, first 2 shown]
.LBB50_9:                               ; =>This Inner Loop Header: Depth=1
	v_ashrrev_i32_e32 v8, 31, v7
	v_lshlrev_b64 v[15:16], 2, v[7:8]
	v_subrev_u32_e32 v5, 22, v3
	v_lshlrev_b64 v[17:18], 2, v[5:6]
	v_add_co_u32_e32 v23, vcc, s10, v15
	v_mov_b32_e32 v4, v6
	v_addc_co_u32_e32 v24, vcc, v12, v16, vcc
	v_lshlrev_b64 v[19:20], 2, v[3:4]
	v_add_co_u32_e32 v25, vcc, s12, v17
	v_addc_co_u32_e32 v26, vcc, v13, v18, vcc
	v_add_co_u32_e32 v29, vcc, s12, v19
	v_addc_co_u32_e32 v30, vcc, v13, v20, vcc
	global_load_dword v8, v[23:24], off
	global_load_dwordx4 v[15:18], v[25:26], off
	global_load_dwordx4 v[19:22], v[25:26], off offset:16
	v_add_u32_e32 v5, -14, v3
	v_lshlrev_b64 v[4:5], 2, v[5:6]
	v_mov_b32_e32 v28, v6
	v_add_co_u32_e32 v31, vcc, s12, v4
	v_addc_co_u32_e32 v32, vcc, v13, v5, vcc
	v_add_u32_e32 v7, 4, v7
	s_waitcnt vmcnt(2)
	v_subrev_u32_e32 v4, s18, v8
	v_mul_lo_u32 v27, v4, 12
	v_lshlrev_b64 v[23:24], 2, v[27:28]
	v_add_u32_e32 v5, 4, v27
	v_add_co_u32_e32 v23, vcc, s14, v23
	v_addc_co_u32_e32 v24, vcc, v14, v24, vcc
	global_load_dwordx4 v[23:26], v[23:24], off
	v_lshlrev_b64 v[33:34], 2, v[5:6]
	v_add_u32_e32 v5, -12, v3
	s_waitcnt vmcnt(0)
	v_fmac_f32_e32 v10, v15, v23
	v_fmac_f32_e32 v11, v16, v23
	v_lshlrev_b64 v[15:16], 2, v[5:6]
	v_add_co_u32_e32 v23, vcc, s14, v33
	v_fmac_f32_e32 v10, v17, v24
	v_fmac_f32_e32 v11, v18, v24
	v_addc_co_u32_e32 v24, vcc, v14, v34, vcc
	v_add_u32_e32 v5, -10, v3
	v_add_co_u32_e32 v33, vcc, s12, v15
	v_addc_co_u32_e32 v34, vcc, v13, v16, vcc
	v_lshlrev_b64 v[15:16], 2, v[5:6]
	v_add_u32_e32 v5, -8, v3
	v_fmac_f32_e32 v10, v19, v25
	v_lshlrev_b64 v[17:18], 2, v[5:6]
	v_add_co_u32_e32 v19, vcc, s12, v15
	v_fmac_f32_e32 v11, v20, v25
	v_add_u32_e32 v5, -6, v3
	v_addc_co_u32_e32 v20, vcc, v13, v16, vcc
	v_fmac_f32_e32 v10, v21, v26
	v_lshlrev_b64 v[15:16], 2, v[5:6]
	v_add_co_u32_e32 v21, vcc, s12, v17
	v_fmac_f32_e32 v11, v22, v26
	v_add_u32_e32 v5, 8, v27
	v_addc_co_u32_e32 v22, vcc, v13, v18, vcc
	v_lshlrev_b64 v[17:18], 2, v[5:6]
	v_add_co_u32_e32 v25, vcc, s12, v15
	v_add_u32_e32 v5, -4, v3
	v_addc_co_u32_e32 v26, vcc, v13, v16, vcc
	v_lshlrev_b64 v[15:16], 2, v[5:6]
	v_add_co_u32_e32 v27, vcc, s14, v17
	v_addc_co_u32_e32 v28, vcc, v14, v18, vcc
	v_add_co_u32_e32 v35, vcc, s12, v15
	v_addc_co_u32_e32 v36, vcc, v13, v16, vcc
	global_load_dwordx2 v[37:38], v[31:32], off
	global_load_dwordx4 v[15:18], v[23:24], off
	v_add_u32_e32 v5, -2, v3
	v_lshlrev_b64 v[4:5], 2, v[5:6]
	v_add_u32_e32 v3, 0x60, v3
	v_add_co_u32_e32 v4, vcc, s12, v4
	v_addc_co_u32_e32 v5, vcc, v13, v5, vcc
	v_cmp_ge_i32_e32 vcc, v7, v9
	s_or_b64 s[8:9], vcc, s[8:9]
	s_waitcnt vmcnt(0)
	v_fmac_f32_e32 v10, v37, v15
	v_fmac_f32_e32 v11, v38, v15
	global_load_dwordx2 v[23:24], v[33:34], off
	global_load_dwordx2 v[31:32], v[19:20], off
	;; [unrolled: 1-line block ×4, first 2 shown]
	s_waitcnt vmcnt(3)
	v_fmac_f32_e32 v10, v23, v16
	v_fmac_f32_e32 v11, v24, v16
	global_load_dwordx4 v[19:22], v[27:28], off
	global_load_dwordx2 v[15:16], v[35:36], off
	global_load_dwordx2 v[23:24], v[4:5], off
	;; [unrolled: 1-line block ×3, first 2 shown]
	s_waitcnt vmcnt(6)
	v_fmac_f32_e32 v10, v31, v17
	v_fmac_f32_e32 v11, v32, v17
	s_waitcnt vmcnt(5)
	v_fmac_f32_e32 v10, v37, v18
	v_fmac_f32_e32 v11, v38, v18
	;; [unrolled: 3-line block ×6, first 2 shown]
	s_andn2_b64 exec, exec, s[8:9]
	s_cbranch_execnz .LBB50_9
; %bb.10:
	s_or_b64 exec, exec, s[8:9]
.LBB50_11:
	s_or_b64 exec, exec, s[6:7]
	s_cbranch_execz .LBB50_13
	s_branch .LBB50_18
.LBB50_12:
                                        ; implicit-def: $vgpr10
                                        ; implicit-def: $vgpr11
.LBB50_13:
	v_mov_b32_e32 v10, 0
	v_mov_b32_e32 v11, 0
	s_and_saveexec_b64 s[6:7], s[0:1]
	s_cbranch_execz .LBB50_17
; %bb.14:
	v_mad_u64_u32 v[4:5], s[0:1], v2, 24, 23
	v_mov_b32_e32 v7, 0
	s_mov_b64 s[0:1], 0
	v_mov_b32_e32 v8, s11
	v_mov_b32_e32 v12, s13
	;; [unrolled: 1-line block ×5, first 2 shown]
.LBB50_15:                              ; =>This Inner Loop Header: Depth=1
	v_ashrrev_i32_e32 v3, 31, v2
	v_lshlrev_b64 v[16:17], 2, v[2:3]
	v_subrev_u32_e32 v6, 23, v4
	v_lshlrev_b64 v[18:19], 2, v[6:7]
	v_add_co_u32_e32 v22, vcc, s10, v16
	v_addc_co_u32_e32 v23, vcc, v8, v17, vcc
	v_add_u32_e32 v14, -11, v4
	v_mov_b32_e32 v15, v7
	v_add_co_u32_e32 v24, vcc, s12, v18
	v_lshlrev_b64 v[28:29], 2, v[14:15]
	v_addc_co_u32_e32 v25, vcc, v12, v19, vcc
	global_load_dword v3, v[22:23], off
	global_load_dwordx4 v[14:17], v[24:25], off
	global_load_dwordx4 v[18:21], v[24:25], off offset:16
	v_mov_b32_e32 v27, v7
	v_mov_b32_e32 v5, v7
	v_add_u32_e32 v6, -10, v4
	v_add_u32_e32 v2, 4, v2
	s_waitcnt vmcnt(2)
	v_subrev_u32_e32 v3, s18, v3
	v_mul_lo_u32 v26, v3, 12
	v_lshlrev_b64 v[22:23], 2, v[26:27]
	v_add_co_u32_e32 v22, vcc, s14, v22
	v_addc_co_u32_e32 v23, vcc, v13, v23, vcc
	global_load_dwordx4 v[22:25], v[22:23], off
	s_waitcnt vmcnt(0)
	v_fmac_f32_e32 v10, v14, v22
	v_fmac_f32_e32 v10, v15, v23
	;; [unrolled: 1-line block ×3, first 2 shown]
	v_lshlrev_b64 v[14:15], 2, v[4:5]
	v_add_co_u32_e32 v16, vcc, s12, v28
	v_fmac_f32_e32 v10, v17, v25
	v_addc_co_u32_e32 v17, vcc, v12, v29, vcc
	v_add_co_u32_e32 v14, vcc, s12, v14
	v_lshlrev_b64 v[5:6], 2, v[6:7]
	v_addc_co_u32_e32 v15, vcc, v12, v15, vcc
	v_add_co_u32_e32 v27, vcc, s12, v5
	v_addc_co_u32_e32 v28, vcc, v12, v6, vcc
	v_add_u32_e32 v6, -9, v4
	v_lshlrev_b64 v[5:6], 2, v[6:7]
	v_add_co_u32_e32 v29, vcc, s12, v5
	v_addc_co_u32_e32 v30, vcc, v12, v6, vcc
	v_add_u32_e32 v6, -8, v4
	v_lshlrev_b64 v[5:6], 2, v[6:7]
	v_add_co_u32_e32 v31, vcc, s12, v5
	v_addc_co_u32_e32 v32, vcc, v12, v6, vcc
	v_add_u32_e32 v6, 4, v26
	v_lshlrev_b64 v[5:6], 2, v[6:7]
	v_add_co_u32_e32 v33, vcc, s14, v5
	global_load_dword v3, v[16:17], off
	global_load_dword v35, v[14:15], off
	;; [unrolled: 1-line block ×5, first 2 shown]
	v_addc_co_u32_e32 v34, vcc, v13, v6, vcc
	v_add_u32_e32 v6, -7, v4
	v_lshlrev_b64 v[14:15], 2, v[6:7]
	v_add_u32_e32 v6, -6, v4
	s_waitcnt vmcnt(4)
	v_fmac_f32_e32 v11, v3, v22
	s_waitcnt vmcnt(2)
	v_fmac_f32_e32 v11, v5, v23
	;; [unrolled: 2-line block ×3, first 2 shown]
	v_add_co_u32_e32 v24, vcc, s12, v14
	s_waitcnt vmcnt(0)
	v_fmac_f32_e32 v11, v37, v25
	v_addc_co_u32_e32 v25, vcc, v12, v15, vcc
	global_load_dwordx4 v[14:17], v[33:34], off
	v_lshlrev_b64 v[22:23], 2, v[6:7]
	v_add_u32_e32 v6, -5, v4
	global_load_dword v3, v[24:25], off
	s_waitcnt vmcnt(1)
	v_fmac_f32_e32 v10, v18, v14
	v_fmac_f32_e32 v10, v19, v15
	;; [unrolled: 1-line block ×3, first 2 shown]
	v_lshlrev_b64 v[18:19], 2, v[6:7]
	v_add_co_u32_e32 v20, vcc, s12, v22
	v_fmac_f32_e32 v10, v21, v17
	v_add_u32_e32 v6, -4, v4
	v_addc_co_u32_e32 v21, vcc, v12, v23, vcc
	v_lshlrev_b64 v[22:23], 2, v[6:7]
	v_add_co_u32_e32 v18, vcc, s12, v18
	v_addc_co_u32_e32 v19, vcc, v12, v19, vcc
	global_load_dword v5, v[20:21], off
	v_add_u32_e32 v6, -15, v4
	v_add_co_u32_e32 v22, vcc, s12, v22
	v_lshlrev_b64 v[20:21], 2, v[6:7]
	v_add_u32_e32 v6, 8, v26
	v_addc_co_u32_e32 v23, vcc, v12, v23, vcc
	global_load_dword v26, v[18:19], off
	global_load_dword v27, v[22:23], off
	v_lshlrev_b64 v[24:25], 2, v[6:7]
	v_add_co_u32_e32 v18, vcc, s12, v20
	v_add_u32_e32 v6, -3, v4
	v_addc_co_u32_e32 v19, vcc, v12, v21, vcc
	v_add_co_u32_e32 v20, vcc, s14, v24
	v_lshlrev_b64 v[22:23], 2, v[6:7]
	v_addc_co_u32_e32 v21, vcc, v13, v25, vcc
	v_add_u32_e32 v6, -14, v4
	global_load_dword v28, v[18:19], off
	v_add_co_u32_e32 v18, vcc, s12, v22
	s_waitcnt vmcnt(4)
	v_fmac_f32_e32 v11, v3, v14
	v_addc_co_u32_e32 v19, vcc, v12, v23, vcc
	v_lshlrev_b64 v[22:23], 2, v[6:7]
	v_add_u32_e32 v6, -2, v4
	v_lshlrev_b64 v[24:25], 2, v[6:7]
	v_add_u32_e32 v6, -13, v4
	global_load_dword v3, v[18:19], off
	s_waitcnt vmcnt(4)
	v_fmac_f32_e32 v11, v5, v15
	s_waitcnt vmcnt(3)
	v_fmac_f32_e32 v11, v26, v16
	;; [unrolled: 2-line block ×3, first 2 shown]
	global_load_dwordx4 v[14:17], v[20:21], off
	v_add_co_u32_e32 v20, vcc, s12, v22
	v_addc_co_u32_e32 v21, vcc, v12, v23, vcc
	v_lshlrev_b64 v[22:23], 2, v[6:7]
	v_add_co_u32_e32 v18, vcc, s12, v24
	v_add_u32_e32 v6, -1, v4
	v_addc_co_u32_e32 v19, vcc, v12, v25, vcc
	v_lshlrev_b64 v[24:25], 2, v[6:7]
	global_load_dword v26, v[20:21], off
	v_add_co_u32_e32 v20, vcc, s12, v22
	v_add_u32_e32 v6, -12, v4
	v_addc_co_u32_e32 v21, vcc, v12, v23, vcc
	v_add_co_u32_e32 v22, vcc, s12, v24
	v_lshlrev_b64 v[5:6], 2, v[6:7]
	v_addc_co_u32_e32 v23, vcc, v12, v25, vcc
	global_load_dword v24, v[18:19], off
	global_load_dword v25, v[20:21], off
	v_add_co_u32_e32 v5, vcc, s12, v5
	v_addc_co_u32_e32 v6, vcc, v12, v6, vcc
	global_load_dword v18, v[22:23], off
	global_load_dword v19, v[5:6], off
	v_cmp_ge_i32_e32 vcc, v2, v9
	s_or_b64 s[0:1], vcc, s[0:1]
	v_add_u32_e32 v4, 0x60, v4
	s_waitcnt vmcnt(5)
	v_fmac_f32_e32 v10, v28, v14
	v_fmac_f32_e32 v11, v3, v14
	s_waitcnt vmcnt(4)
	v_fmac_f32_e32 v10, v26, v15
	s_waitcnt vmcnt(3)
	;; [unrolled: 2-line block ×5, first 2 shown]
	v_fmac_f32_e32 v10, v19, v17
	v_fmac_f32_e32 v11, v35, v17
	s_andn2_b64 exec, exec, s[0:1]
	s_cbranch_execnz .LBB50_15
; %bb.16:
	s_or_b64 exec, exec, s[0:1]
.LBB50_17:
	s_or_b64 exec, exec, s[6:7]
.LBB50_18:
	v_mov_b32_dpp v2, v10 row_shr:1 row_mask:0xf bank_mask:0xf
	v_mov_b32_dpp v4, v11 row_shr:1 row_mask:0xf bank_mask:0xf
	v_add_f32_e32 v2, v10, v2
	v_add_f32_e32 v4, v11, v4
	v_cmp_eq_u32_e32 vcc, 3, v0
	v_mov_b32_dpp v3, v2 row_shr:2 row_mask:0xf bank_mask:0xf
	v_mov_b32_dpp v5, v4 row_shr:2 row_mask:0xf bank_mask:0xf
	s_and_b64 exec, exec, vcc
	s_cbranch_execz .LBB50_22
; %bb.19:
	s_load_dwordx2 s[0:1], s[4:5], 0x38
	v_add_f32_e32 v0, v2, v3
	v_add_f32_e32 v3, v4, v5
	v_cmp_eq_f32_e64 s[4:5], s2, 0
	s_and_b64 vcc, exec, s[4:5]
	v_mul_f32_e32 v2, s16, v0
	v_mul_f32_e32 v3, s16, v3
	v_lshlrev_b32_e32 v0, 1, v1
	s_cbranch_vccz .LBB50_23
; %bb.20:
	v_ashrrev_i32_e32 v1, 31, v0
	v_lshlrev_b64 v[4:5], 2, v[0:1]
	s_waitcnt lgkmcnt(0)
	v_mov_b32_e32 v1, s1
	v_add_co_u32_e32 v4, vcc, s0, v4
	v_addc_co_u32_e32 v5, vcc, v1, v5, vcc
	global_store_dwordx2 v[4:5], v[2:3], off
	s_cbranch_execnz .LBB50_22
.LBB50_21:
	v_ashrrev_i32_e32 v1, 31, v0
	v_lshlrev_b64 v[0:1], 2, v[0:1]
	s_waitcnt lgkmcnt(0)
	v_mov_b32_e32 v4, s1
	v_add_co_u32_e32 v0, vcc, s0, v0
	v_addc_co_u32_e32 v1, vcc, v4, v1, vcc
	global_load_dwordx2 v[4:5], v[0:1], off
	s_waitcnt vmcnt(0)
	v_fmac_f32_e32 v2, s2, v4
	v_fmac_f32_e32 v3, s2, v5
	global_store_dwordx2 v[0:1], v[2:3], off
.LBB50_22:
	s_endpgm
.LBB50_23:
	s_branch .LBB50_21
	.section	.rodata,"a",@progbits
	.p2align	6, 0x0
	.amdhsa_kernel _ZN9rocsparseL19gebsrmvn_2xn_kernelILj128ELj12ELj4EfEEvi20rocsparse_direction_NS_24const_host_device_scalarIT2_EEPKiS6_PKS3_S8_S4_PS3_21rocsparse_index_base_b
		.amdhsa_group_segment_fixed_size 0
		.amdhsa_private_segment_fixed_size 0
		.amdhsa_kernarg_size 72
		.amdhsa_user_sgpr_count 6
		.amdhsa_user_sgpr_private_segment_buffer 1
		.amdhsa_user_sgpr_dispatch_ptr 0
		.amdhsa_user_sgpr_queue_ptr 0
		.amdhsa_user_sgpr_kernarg_segment_ptr 1
		.amdhsa_user_sgpr_dispatch_id 0
		.amdhsa_user_sgpr_flat_scratch_init 0
		.amdhsa_user_sgpr_private_segment_size 0
		.amdhsa_uses_dynamic_stack 0
		.amdhsa_system_sgpr_private_segment_wavefront_offset 0
		.amdhsa_system_sgpr_workgroup_id_x 1
		.amdhsa_system_sgpr_workgroup_id_y 0
		.amdhsa_system_sgpr_workgroup_id_z 0
		.amdhsa_system_sgpr_workgroup_info 0
		.amdhsa_system_vgpr_workitem_id 0
		.amdhsa_next_free_vgpr 41
		.amdhsa_next_free_sgpr 20
		.amdhsa_reserve_vcc 1
		.amdhsa_reserve_flat_scratch 0
		.amdhsa_float_round_mode_32 0
		.amdhsa_float_round_mode_16_64 0
		.amdhsa_float_denorm_mode_32 3
		.amdhsa_float_denorm_mode_16_64 3
		.amdhsa_dx10_clamp 1
		.amdhsa_ieee_mode 1
		.amdhsa_fp16_overflow 0
		.amdhsa_exception_fp_ieee_invalid_op 0
		.amdhsa_exception_fp_denorm_src 0
		.amdhsa_exception_fp_ieee_div_zero 0
		.amdhsa_exception_fp_ieee_overflow 0
		.amdhsa_exception_fp_ieee_underflow 0
		.amdhsa_exception_fp_ieee_inexact 0
		.amdhsa_exception_int_div_zero 0
	.end_amdhsa_kernel
	.section	.text._ZN9rocsparseL19gebsrmvn_2xn_kernelILj128ELj12ELj4EfEEvi20rocsparse_direction_NS_24const_host_device_scalarIT2_EEPKiS6_PKS3_S8_S4_PS3_21rocsparse_index_base_b,"axG",@progbits,_ZN9rocsparseL19gebsrmvn_2xn_kernelILj128ELj12ELj4EfEEvi20rocsparse_direction_NS_24const_host_device_scalarIT2_EEPKiS6_PKS3_S8_S4_PS3_21rocsparse_index_base_b,comdat
.Lfunc_end50:
	.size	_ZN9rocsparseL19gebsrmvn_2xn_kernelILj128ELj12ELj4EfEEvi20rocsparse_direction_NS_24const_host_device_scalarIT2_EEPKiS6_PKS3_S8_S4_PS3_21rocsparse_index_base_b, .Lfunc_end50-_ZN9rocsparseL19gebsrmvn_2xn_kernelILj128ELj12ELj4EfEEvi20rocsparse_direction_NS_24const_host_device_scalarIT2_EEPKiS6_PKS3_S8_S4_PS3_21rocsparse_index_base_b
                                        ; -- End function
	.set _ZN9rocsparseL19gebsrmvn_2xn_kernelILj128ELj12ELj4EfEEvi20rocsparse_direction_NS_24const_host_device_scalarIT2_EEPKiS6_PKS3_S8_S4_PS3_21rocsparse_index_base_b.num_vgpr, 41
	.set _ZN9rocsparseL19gebsrmvn_2xn_kernelILj128ELj12ELj4EfEEvi20rocsparse_direction_NS_24const_host_device_scalarIT2_EEPKiS6_PKS3_S8_S4_PS3_21rocsparse_index_base_b.num_agpr, 0
	.set _ZN9rocsparseL19gebsrmvn_2xn_kernelILj128ELj12ELj4EfEEvi20rocsparse_direction_NS_24const_host_device_scalarIT2_EEPKiS6_PKS3_S8_S4_PS3_21rocsparse_index_base_b.numbered_sgpr, 20
	.set _ZN9rocsparseL19gebsrmvn_2xn_kernelILj128ELj12ELj4EfEEvi20rocsparse_direction_NS_24const_host_device_scalarIT2_EEPKiS6_PKS3_S8_S4_PS3_21rocsparse_index_base_b.num_named_barrier, 0
	.set _ZN9rocsparseL19gebsrmvn_2xn_kernelILj128ELj12ELj4EfEEvi20rocsparse_direction_NS_24const_host_device_scalarIT2_EEPKiS6_PKS3_S8_S4_PS3_21rocsparse_index_base_b.private_seg_size, 0
	.set _ZN9rocsparseL19gebsrmvn_2xn_kernelILj128ELj12ELj4EfEEvi20rocsparse_direction_NS_24const_host_device_scalarIT2_EEPKiS6_PKS3_S8_S4_PS3_21rocsparse_index_base_b.uses_vcc, 1
	.set _ZN9rocsparseL19gebsrmvn_2xn_kernelILj128ELj12ELj4EfEEvi20rocsparse_direction_NS_24const_host_device_scalarIT2_EEPKiS6_PKS3_S8_S4_PS3_21rocsparse_index_base_b.uses_flat_scratch, 0
	.set _ZN9rocsparseL19gebsrmvn_2xn_kernelILj128ELj12ELj4EfEEvi20rocsparse_direction_NS_24const_host_device_scalarIT2_EEPKiS6_PKS3_S8_S4_PS3_21rocsparse_index_base_b.has_dyn_sized_stack, 0
	.set _ZN9rocsparseL19gebsrmvn_2xn_kernelILj128ELj12ELj4EfEEvi20rocsparse_direction_NS_24const_host_device_scalarIT2_EEPKiS6_PKS3_S8_S4_PS3_21rocsparse_index_base_b.has_recursion, 0
	.set _ZN9rocsparseL19gebsrmvn_2xn_kernelILj128ELj12ELj4EfEEvi20rocsparse_direction_NS_24const_host_device_scalarIT2_EEPKiS6_PKS3_S8_S4_PS3_21rocsparse_index_base_b.has_indirect_call, 0
	.section	.AMDGPU.csdata,"",@progbits
; Kernel info:
; codeLenInByte = 1904
; TotalNumSgprs: 24
; NumVgprs: 41
; ScratchSize: 0
; MemoryBound: 0
; FloatMode: 240
; IeeeMode: 1
; LDSByteSize: 0 bytes/workgroup (compile time only)
; SGPRBlocks: 2
; VGPRBlocks: 10
; NumSGPRsForWavesPerEU: 24
; NumVGPRsForWavesPerEU: 41
; Occupancy: 5
; WaveLimiterHint : 1
; COMPUTE_PGM_RSRC2:SCRATCH_EN: 0
; COMPUTE_PGM_RSRC2:USER_SGPR: 6
; COMPUTE_PGM_RSRC2:TRAP_HANDLER: 0
; COMPUTE_PGM_RSRC2:TGID_X_EN: 1
; COMPUTE_PGM_RSRC2:TGID_Y_EN: 0
; COMPUTE_PGM_RSRC2:TGID_Z_EN: 0
; COMPUTE_PGM_RSRC2:TIDIG_COMP_CNT: 0
	.section	.text._ZN9rocsparseL19gebsrmvn_2xn_kernelILj128ELj12ELj8EfEEvi20rocsparse_direction_NS_24const_host_device_scalarIT2_EEPKiS6_PKS3_S8_S4_PS3_21rocsparse_index_base_b,"axG",@progbits,_ZN9rocsparseL19gebsrmvn_2xn_kernelILj128ELj12ELj8EfEEvi20rocsparse_direction_NS_24const_host_device_scalarIT2_EEPKiS6_PKS3_S8_S4_PS3_21rocsparse_index_base_b,comdat
	.globl	_ZN9rocsparseL19gebsrmvn_2xn_kernelILj128ELj12ELj8EfEEvi20rocsparse_direction_NS_24const_host_device_scalarIT2_EEPKiS6_PKS3_S8_S4_PS3_21rocsparse_index_base_b ; -- Begin function _ZN9rocsparseL19gebsrmvn_2xn_kernelILj128ELj12ELj8EfEEvi20rocsparse_direction_NS_24const_host_device_scalarIT2_EEPKiS6_PKS3_S8_S4_PS3_21rocsparse_index_base_b
	.p2align	8
	.type	_ZN9rocsparseL19gebsrmvn_2xn_kernelILj128ELj12ELj8EfEEvi20rocsparse_direction_NS_24const_host_device_scalarIT2_EEPKiS6_PKS3_S8_S4_PS3_21rocsparse_index_base_b,@function
_ZN9rocsparseL19gebsrmvn_2xn_kernelILj128ELj12ELj8EfEEvi20rocsparse_direction_NS_24const_host_device_scalarIT2_EEPKiS6_PKS3_S8_S4_PS3_21rocsparse_index_base_b: ; @_ZN9rocsparseL19gebsrmvn_2xn_kernelILj128ELj12ELj8EfEEvi20rocsparse_direction_NS_24const_host_device_scalarIT2_EEPKiS6_PKS3_S8_S4_PS3_21rocsparse_index_base_b
; %bb.0:
	s_load_dwordx2 s[18:19], s[4:5], 0x40
	s_load_dwordx2 s[16:17], s[4:5], 0x8
	;; [unrolled: 1-line block ×3, first 2 shown]
	s_waitcnt lgkmcnt(0)
	s_bitcmp1_b32 s19, 0
	s_cselect_b64 s[8:9], -1, 0
	s_xor_b64 s[0:1], s[8:9], -1
	s_and_b64 vcc, exec, s[8:9]
	s_cbranch_vccnz .LBB51_2
; %bb.1:
	s_load_dword s16, s[16:17], 0x0
.LBB51_2:
	s_andn2_b64 vcc, exec, s[0:1]
	s_cbranch_vccnz .LBB51_4
; %bb.3:
	s_load_dword s2, s[2:3], 0x0
.LBB51_4:
	s_waitcnt lgkmcnt(0)
	v_cmp_eq_f32_e64 s[0:1], s16, 0
	v_cmp_eq_f32_e64 s[8:9], s2, 1.0
	s_and_b64 s[0:1], s[0:1], s[8:9]
	s_and_b64 vcc, exec, s[0:1]
	s_cbranch_vccnz .LBB51_22
; %bb.5:
	s_load_dwordx2 s[0:1], s[4:5], 0x0
	v_lshrrev_b32_e32 v1, 3, v0
	v_lshl_or_b32 v1, s6, 4, v1
	s_waitcnt lgkmcnt(0)
	v_cmp_gt_i32_e32 vcc, s0, v1
	s_and_saveexec_b64 s[6:7], vcc
	s_cbranch_execz .LBB51_22
; %bb.6:
	s_load_dwordx8 s[8:15], s[4:5], 0x10
	v_ashrrev_i32_e32 v2, 31, v1
	v_lshlrev_b64 v[2:3], 2, v[1:2]
	v_and_b32_e32 v0, 7, v0
	s_cmp_lg_u32 s1, 0
	s_waitcnt lgkmcnt(0)
	v_mov_b32_e32 v4, s9
	v_add_co_u32_e32 v2, vcc, s8, v2
	v_addc_co_u32_e32 v3, vcc, v4, v3, vcc
	global_load_dwordx2 v[2:3], v[2:3], off
	s_waitcnt vmcnt(0)
	v_subrev_u32_e32 v2, s18, v2
	v_subrev_u32_e32 v9, s18, v3
	v_add_u32_e32 v2, v2, v0
	v_cmp_lt_i32_e64 s[0:1], v2, v9
	s_cbranch_scc0 .LBB51_12
; %bb.7:
	v_mov_b32_e32 v10, 0
	v_mov_b32_e32 v11, 0
	s_and_saveexec_b64 s[6:7], s[0:1]
	s_cbranch_execz .LBB51_11
; %bb.8:
	v_mad_u64_u32 v[3:4], s[8:9], v2, 24, 22
	v_mov_b32_e32 v6, 0
	s_mov_b64 s[8:9], 0
	v_mov_b32_e32 v12, s11
	v_mov_b32_e32 v13, s13
	;; [unrolled: 1-line block ×6, first 2 shown]
.LBB51_9:                               ; =>This Inner Loop Header: Depth=1
	v_ashrrev_i32_e32 v8, 31, v7
	v_lshlrev_b64 v[15:16], 2, v[7:8]
	v_subrev_u32_e32 v5, 22, v3
	v_lshlrev_b64 v[17:18], 2, v[5:6]
	v_add_co_u32_e32 v23, vcc, s10, v15
	v_mov_b32_e32 v4, v6
	v_addc_co_u32_e32 v24, vcc, v12, v16, vcc
	v_lshlrev_b64 v[19:20], 2, v[3:4]
	v_add_co_u32_e32 v25, vcc, s12, v17
	v_addc_co_u32_e32 v26, vcc, v13, v18, vcc
	v_add_co_u32_e32 v29, vcc, s12, v19
	v_addc_co_u32_e32 v30, vcc, v13, v20, vcc
	global_load_dword v8, v[23:24], off
	global_load_dwordx4 v[15:18], v[25:26], off
	global_load_dwordx4 v[19:22], v[25:26], off offset:16
	v_add_u32_e32 v5, -14, v3
	v_lshlrev_b64 v[4:5], 2, v[5:6]
	v_mov_b32_e32 v28, v6
	v_add_co_u32_e32 v31, vcc, s12, v4
	v_addc_co_u32_e32 v32, vcc, v13, v5, vcc
	v_add_u32_e32 v7, 8, v7
	s_waitcnt vmcnt(2)
	v_subrev_u32_e32 v4, s18, v8
	v_mul_lo_u32 v27, v4, 12
	v_lshlrev_b64 v[23:24], 2, v[27:28]
	v_add_u32_e32 v5, 4, v27
	v_add_co_u32_e32 v23, vcc, s14, v23
	v_addc_co_u32_e32 v24, vcc, v14, v24, vcc
	global_load_dwordx4 v[23:26], v[23:24], off
	v_lshlrev_b64 v[33:34], 2, v[5:6]
	v_add_u32_e32 v5, -12, v3
	s_waitcnt vmcnt(0)
	v_fmac_f32_e32 v10, v15, v23
	v_fmac_f32_e32 v11, v16, v23
	v_lshlrev_b64 v[15:16], 2, v[5:6]
	v_add_co_u32_e32 v23, vcc, s14, v33
	v_fmac_f32_e32 v10, v17, v24
	v_fmac_f32_e32 v11, v18, v24
	v_addc_co_u32_e32 v24, vcc, v14, v34, vcc
	v_add_u32_e32 v5, -10, v3
	v_add_co_u32_e32 v33, vcc, s12, v15
	v_addc_co_u32_e32 v34, vcc, v13, v16, vcc
	v_lshlrev_b64 v[15:16], 2, v[5:6]
	v_add_u32_e32 v5, -8, v3
	v_fmac_f32_e32 v10, v19, v25
	v_lshlrev_b64 v[17:18], 2, v[5:6]
	v_add_co_u32_e32 v19, vcc, s12, v15
	v_fmac_f32_e32 v11, v20, v25
	v_add_u32_e32 v5, -6, v3
	v_addc_co_u32_e32 v20, vcc, v13, v16, vcc
	v_fmac_f32_e32 v10, v21, v26
	v_lshlrev_b64 v[15:16], 2, v[5:6]
	v_add_co_u32_e32 v21, vcc, s12, v17
	v_fmac_f32_e32 v11, v22, v26
	v_add_u32_e32 v5, 8, v27
	v_addc_co_u32_e32 v22, vcc, v13, v18, vcc
	v_lshlrev_b64 v[17:18], 2, v[5:6]
	v_add_co_u32_e32 v25, vcc, s12, v15
	v_add_u32_e32 v5, -4, v3
	v_addc_co_u32_e32 v26, vcc, v13, v16, vcc
	v_lshlrev_b64 v[15:16], 2, v[5:6]
	v_add_co_u32_e32 v27, vcc, s14, v17
	v_addc_co_u32_e32 v28, vcc, v14, v18, vcc
	v_add_co_u32_e32 v35, vcc, s12, v15
	v_addc_co_u32_e32 v36, vcc, v13, v16, vcc
	global_load_dwordx2 v[37:38], v[31:32], off
	global_load_dwordx4 v[15:18], v[23:24], off
	v_add_u32_e32 v5, -2, v3
	v_lshlrev_b64 v[4:5], 2, v[5:6]
	v_add_u32_e32 v3, 0xc0, v3
	v_add_co_u32_e32 v4, vcc, s12, v4
	v_addc_co_u32_e32 v5, vcc, v13, v5, vcc
	v_cmp_ge_i32_e32 vcc, v7, v9
	s_or_b64 s[8:9], vcc, s[8:9]
	s_waitcnt vmcnt(0)
	v_fmac_f32_e32 v10, v37, v15
	v_fmac_f32_e32 v11, v38, v15
	global_load_dwordx2 v[23:24], v[33:34], off
	global_load_dwordx2 v[31:32], v[19:20], off
	;; [unrolled: 1-line block ×4, first 2 shown]
	s_waitcnt vmcnt(3)
	v_fmac_f32_e32 v10, v23, v16
	v_fmac_f32_e32 v11, v24, v16
	global_load_dwordx4 v[19:22], v[27:28], off
	global_load_dwordx2 v[15:16], v[35:36], off
	global_load_dwordx2 v[23:24], v[4:5], off
	;; [unrolled: 1-line block ×3, first 2 shown]
	s_waitcnt vmcnt(6)
	v_fmac_f32_e32 v10, v31, v17
	v_fmac_f32_e32 v11, v32, v17
	s_waitcnt vmcnt(5)
	v_fmac_f32_e32 v10, v37, v18
	v_fmac_f32_e32 v11, v38, v18
	;; [unrolled: 3-line block ×6, first 2 shown]
	s_andn2_b64 exec, exec, s[8:9]
	s_cbranch_execnz .LBB51_9
; %bb.10:
	s_or_b64 exec, exec, s[8:9]
.LBB51_11:
	s_or_b64 exec, exec, s[6:7]
	s_cbranch_execz .LBB51_13
	s_branch .LBB51_18
.LBB51_12:
                                        ; implicit-def: $vgpr10
                                        ; implicit-def: $vgpr11
.LBB51_13:
	v_mov_b32_e32 v10, 0
	v_mov_b32_e32 v11, 0
	s_and_saveexec_b64 s[6:7], s[0:1]
	s_cbranch_execz .LBB51_17
; %bb.14:
	v_mad_u64_u32 v[4:5], s[0:1], v2, 24, 23
	v_mov_b32_e32 v7, 0
	s_mov_b64 s[0:1], 0
	v_mov_b32_e32 v8, s11
	v_mov_b32_e32 v12, s13
	;; [unrolled: 1-line block ×5, first 2 shown]
.LBB51_15:                              ; =>This Inner Loop Header: Depth=1
	v_ashrrev_i32_e32 v3, 31, v2
	v_lshlrev_b64 v[16:17], 2, v[2:3]
	v_subrev_u32_e32 v6, 23, v4
	v_lshlrev_b64 v[18:19], 2, v[6:7]
	v_add_co_u32_e32 v22, vcc, s10, v16
	v_addc_co_u32_e32 v23, vcc, v8, v17, vcc
	v_add_u32_e32 v14, -11, v4
	v_mov_b32_e32 v15, v7
	v_add_co_u32_e32 v24, vcc, s12, v18
	v_lshlrev_b64 v[28:29], 2, v[14:15]
	v_addc_co_u32_e32 v25, vcc, v12, v19, vcc
	global_load_dword v3, v[22:23], off
	global_load_dwordx4 v[14:17], v[24:25], off
	global_load_dwordx4 v[18:21], v[24:25], off offset:16
	v_mov_b32_e32 v27, v7
	v_mov_b32_e32 v5, v7
	v_add_u32_e32 v6, -10, v4
	v_add_u32_e32 v2, 8, v2
	s_waitcnt vmcnt(2)
	v_subrev_u32_e32 v3, s18, v3
	v_mul_lo_u32 v26, v3, 12
	v_lshlrev_b64 v[22:23], 2, v[26:27]
	v_add_co_u32_e32 v22, vcc, s14, v22
	v_addc_co_u32_e32 v23, vcc, v13, v23, vcc
	global_load_dwordx4 v[22:25], v[22:23], off
	s_waitcnt vmcnt(0)
	v_fmac_f32_e32 v10, v14, v22
	v_fmac_f32_e32 v10, v15, v23
	;; [unrolled: 1-line block ×3, first 2 shown]
	v_lshlrev_b64 v[14:15], 2, v[4:5]
	v_add_co_u32_e32 v16, vcc, s12, v28
	v_fmac_f32_e32 v10, v17, v25
	v_addc_co_u32_e32 v17, vcc, v12, v29, vcc
	v_add_co_u32_e32 v14, vcc, s12, v14
	v_lshlrev_b64 v[5:6], 2, v[6:7]
	v_addc_co_u32_e32 v15, vcc, v12, v15, vcc
	v_add_co_u32_e32 v27, vcc, s12, v5
	v_addc_co_u32_e32 v28, vcc, v12, v6, vcc
	v_add_u32_e32 v6, -9, v4
	v_lshlrev_b64 v[5:6], 2, v[6:7]
	v_add_co_u32_e32 v29, vcc, s12, v5
	v_addc_co_u32_e32 v30, vcc, v12, v6, vcc
	v_add_u32_e32 v6, -8, v4
	v_lshlrev_b64 v[5:6], 2, v[6:7]
	v_add_co_u32_e32 v31, vcc, s12, v5
	v_addc_co_u32_e32 v32, vcc, v12, v6, vcc
	v_add_u32_e32 v6, 4, v26
	v_lshlrev_b64 v[5:6], 2, v[6:7]
	v_add_co_u32_e32 v33, vcc, s14, v5
	global_load_dword v3, v[16:17], off
	global_load_dword v35, v[14:15], off
	;; [unrolled: 1-line block ×5, first 2 shown]
	v_addc_co_u32_e32 v34, vcc, v13, v6, vcc
	v_add_u32_e32 v6, -7, v4
	v_lshlrev_b64 v[14:15], 2, v[6:7]
	v_add_u32_e32 v6, -6, v4
	s_waitcnt vmcnt(4)
	v_fmac_f32_e32 v11, v3, v22
	s_waitcnt vmcnt(2)
	v_fmac_f32_e32 v11, v5, v23
	;; [unrolled: 2-line block ×3, first 2 shown]
	v_add_co_u32_e32 v24, vcc, s12, v14
	s_waitcnt vmcnt(0)
	v_fmac_f32_e32 v11, v37, v25
	v_addc_co_u32_e32 v25, vcc, v12, v15, vcc
	global_load_dwordx4 v[14:17], v[33:34], off
	v_lshlrev_b64 v[22:23], 2, v[6:7]
	v_add_u32_e32 v6, -5, v4
	global_load_dword v3, v[24:25], off
	s_waitcnt vmcnt(1)
	v_fmac_f32_e32 v10, v18, v14
	v_fmac_f32_e32 v10, v19, v15
	;; [unrolled: 1-line block ×3, first 2 shown]
	v_lshlrev_b64 v[18:19], 2, v[6:7]
	v_add_co_u32_e32 v20, vcc, s12, v22
	v_fmac_f32_e32 v10, v21, v17
	v_add_u32_e32 v6, -4, v4
	v_addc_co_u32_e32 v21, vcc, v12, v23, vcc
	v_lshlrev_b64 v[22:23], 2, v[6:7]
	v_add_co_u32_e32 v18, vcc, s12, v18
	v_addc_co_u32_e32 v19, vcc, v12, v19, vcc
	global_load_dword v5, v[20:21], off
	v_add_u32_e32 v6, -15, v4
	v_add_co_u32_e32 v22, vcc, s12, v22
	v_lshlrev_b64 v[20:21], 2, v[6:7]
	v_add_u32_e32 v6, 8, v26
	v_addc_co_u32_e32 v23, vcc, v12, v23, vcc
	global_load_dword v26, v[18:19], off
	global_load_dword v27, v[22:23], off
	v_lshlrev_b64 v[24:25], 2, v[6:7]
	v_add_co_u32_e32 v18, vcc, s12, v20
	v_add_u32_e32 v6, -3, v4
	v_addc_co_u32_e32 v19, vcc, v12, v21, vcc
	v_add_co_u32_e32 v20, vcc, s14, v24
	v_lshlrev_b64 v[22:23], 2, v[6:7]
	v_addc_co_u32_e32 v21, vcc, v13, v25, vcc
	v_add_u32_e32 v6, -14, v4
	global_load_dword v28, v[18:19], off
	v_add_co_u32_e32 v18, vcc, s12, v22
	s_waitcnt vmcnt(4)
	v_fmac_f32_e32 v11, v3, v14
	v_addc_co_u32_e32 v19, vcc, v12, v23, vcc
	v_lshlrev_b64 v[22:23], 2, v[6:7]
	v_add_u32_e32 v6, -2, v4
	v_lshlrev_b64 v[24:25], 2, v[6:7]
	v_add_u32_e32 v6, -13, v4
	global_load_dword v3, v[18:19], off
	s_waitcnt vmcnt(4)
	v_fmac_f32_e32 v11, v5, v15
	s_waitcnt vmcnt(3)
	v_fmac_f32_e32 v11, v26, v16
	;; [unrolled: 2-line block ×3, first 2 shown]
	global_load_dwordx4 v[14:17], v[20:21], off
	v_add_co_u32_e32 v20, vcc, s12, v22
	v_addc_co_u32_e32 v21, vcc, v12, v23, vcc
	v_lshlrev_b64 v[22:23], 2, v[6:7]
	v_add_co_u32_e32 v18, vcc, s12, v24
	v_add_u32_e32 v6, -1, v4
	v_addc_co_u32_e32 v19, vcc, v12, v25, vcc
	v_lshlrev_b64 v[24:25], 2, v[6:7]
	global_load_dword v26, v[20:21], off
	v_add_co_u32_e32 v20, vcc, s12, v22
	v_add_u32_e32 v6, -12, v4
	v_addc_co_u32_e32 v21, vcc, v12, v23, vcc
	v_add_co_u32_e32 v22, vcc, s12, v24
	v_lshlrev_b64 v[5:6], 2, v[6:7]
	v_addc_co_u32_e32 v23, vcc, v12, v25, vcc
	global_load_dword v24, v[18:19], off
	global_load_dword v25, v[20:21], off
	v_add_co_u32_e32 v5, vcc, s12, v5
	v_addc_co_u32_e32 v6, vcc, v12, v6, vcc
	global_load_dword v18, v[22:23], off
	global_load_dword v19, v[5:6], off
	v_cmp_ge_i32_e32 vcc, v2, v9
	s_or_b64 s[0:1], vcc, s[0:1]
	v_add_u32_e32 v4, 0xc0, v4
	s_waitcnt vmcnt(5)
	v_fmac_f32_e32 v10, v28, v14
	v_fmac_f32_e32 v11, v3, v14
	s_waitcnt vmcnt(4)
	v_fmac_f32_e32 v10, v26, v15
	s_waitcnt vmcnt(3)
	;; [unrolled: 2-line block ×5, first 2 shown]
	v_fmac_f32_e32 v10, v19, v17
	v_fmac_f32_e32 v11, v35, v17
	s_andn2_b64 exec, exec, s[0:1]
	s_cbranch_execnz .LBB51_15
; %bb.16:
	s_or_b64 exec, exec, s[0:1]
.LBB51_17:
	s_or_b64 exec, exec, s[6:7]
.LBB51_18:
	v_mov_b32_dpp v2, v10 row_shr:1 row_mask:0xf bank_mask:0xf
	v_mov_b32_dpp v4, v11 row_shr:1 row_mask:0xf bank_mask:0xf
	v_add_f32_e32 v2, v10, v2
	v_add_f32_e32 v4, v11, v4
	v_cmp_eq_u32_e32 vcc, 7, v0
	v_mov_b32_dpp v3, v2 row_shr:2 row_mask:0xf bank_mask:0xf
	v_mov_b32_dpp v5, v4 row_shr:2 row_mask:0xf bank_mask:0xf
	v_add_f32_e32 v2, v2, v3
	v_add_f32_e32 v4, v4, v5
	s_nop 0
	v_mov_b32_dpp v3, v2 row_shr:4 row_mask:0xf bank_mask:0xe
	v_mov_b32_dpp v5, v4 row_shr:4 row_mask:0xf bank_mask:0xe
	s_and_b64 exec, exec, vcc
	s_cbranch_execz .LBB51_22
; %bb.19:
	s_load_dwordx2 s[0:1], s[4:5], 0x38
	v_add_f32_e32 v0, v2, v3
	v_add_f32_e32 v3, v4, v5
	v_cmp_eq_f32_e64 s[4:5], s2, 0
	s_and_b64 vcc, exec, s[4:5]
	v_mul_f32_e32 v2, s16, v0
	v_mul_f32_e32 v3, s16, v3
	v_lshlrev_b32_e32 v0, 1, v1
	s_cbranch_vccz .LBB51_23
; %bb.20:
	v_ashrrev_i32_e32 v1, 31, v0
	v_lshlrev_b64 v[4:5], 2, v[0:1]
	s_waitcnt lgkmcnt(0)
	v_mov_b32_e32 v1, s1
	v_add_co_u32_e32 v4, vcc, s0, v4
	v_addc_co_u32_e32 v5, vcc, v1, v5, vcc
	global_store_dwordx2 v[4:5], v[2:3], off
	s_cbranch_execnz .LBB51_22
.LBB51_21:
	v_ashrrev_i32_e32 v1, 31, v0
	v_lshlrev_b64 v[0:1], 2, v[0:1]
	s_waitcnt lgkmcnt(0)
	v_mov_b32_e32 v4, s1
	v_add_co_u32_e32 v0, vcc, s0, v0
	v_addc_co_u32_e32 v1, vcc, v4, v1, vcc
	global_load_dwordx2 v[4:5], v[0:1], off
	s_waitcnt vmcnt(0)
	v_fmac_f32_e32 v2, s2, v4
	v_fmac_f32_e32 v3, s2, v5
	global_store_dwordx2 v[0:1], v[2:3], off
.LBB51_22:
	s_endpgm
.LBB51_23:
	s_branch .LBB51_21
	.section	.rodata,"a",@progbits
	.p2align	6, 0x0
	.amdhsa_kernel _ZN9rocsparseL19gebsrmvn_2xn_kernelILj128ELj12ELj8EfEEvi20rocsparse_direction_NS_24const_host_device_scalarIT2_EEPKiS6_PKS3_S8_S4_PS3_21rocsparse_index_base_b
		.amdhsa_group_segment_fixed_size 0
		.amdhsa_private_segment_fixed_size 0
		.amdhsa_kernarg_size 72
		.amdhsa_user_sgpr_count 6
		.amdhsa_user_sgpr_private_segment_buffer 1
		.amdhsa_user_sgpr_dispatch_ptr 0
		.amdhsa_user_sgpr_queue_ptr 0
		.amdhsa_user_sgpr_kernarg_segment_ptr 1
		.amdhsa_user_sgpr_dispatch_id 0
		.amdhsa_user_sgpr_flat_scratch_init 0
		.amdhsa_user_sgpr_private_segment_size 0
		.amdhsa_uses_dynamic_stack 0
		.amdhsa_system_sgpr_private_segment_wavefront_offset 0
		.amdhsa_system_sgpr_workgroup_id_x 1
		.amdhsa_system_sgpr_workgroup_id_y 0
		.amdhsa_system_sgpr_workgroup_id_z 0
		.amdhsa_system_sgpr_workgroup_info 0
		.amdhsa_system_vgpr_workitem_id 0
		.amdhsa_next_free_vgpr 41
		.amdhsa_next_free_sgpr 20
		.amdhsa_reserve_vcc 1
		.amdhsa_reserve_flat_scratch 0
		.amdhsa_float_round_mode_32 0
		.amdhsa_float_round_mode_16_64 0
		.amdhsa_float_denorm_mode_32 3
		.amdhsa_float_denorm_mode_16_64 3
		.amdhsa_dx10_clamp 1
		.amdhsa_ieee_mode 1
		.amdhsa_fp16_overflow 0
		.amdhsa_exception_fp_ieee_invalid_op 0
		.amdhsa_exception_fp_denorm_src 0
		.amdhsa_exception_fp_ieee_div_zero 0
		.amdhsa_exception_fp_ieee_overflow 0
		.amdhsa_exception_fp_ieee_underflow 0
		.amdhsa_exception_fp_ieee_inexact 0
		.amdhsa_exception_int_div_zero 0
	.end_amdhsa_kernel
	.section	.text._ZN9rocsparseL19gebsrmvn_2xn_kernelILj128ELj12ELj8EfEEvi20rocsparse_direction_NS_24const_host_device_scalarIT2_EEPKiS6_PKS3_S8_S4_PS3_21rocsparse_index_base_b,"axG",@progbits,_ZN9rocsparseL19gebsrmvn_2xn_kernelILj128ELj12ELj8EfEEvi20rocsparse_direction_NS_24const_host_device_scalarIT2_EEPKiS6_PKS3_S8_S4_PS3_21rocsparse_index_base_b,comdat
.Lfunc_end51:
	.size	_ZN9rocsparseL19gebsrmvn_2xn_kernelILj128ELj12ELj8EfEEvi20rocsparse_direction_NS_24const_host_device_scalarIT2_EEPKiS6_PKS3_S8_S4_PS3_21rocsparse_index_base_b, .Lfunc_end51-_ZN9rocsparseL19gebsrmvn_2xn_kernelILj128ELj12ELj8EfEEvi20rocsparse_direction_NS_24const_host_device_scalarIT2_EEPKiS6_PKS3_S8_S4_PS3_21rocsparse_index_base_b
                                        ; -- End function
	.set _ZN9rocsparseL19gebsrmvn_2xn_kernelILj128ELj12ELj8EfEEvi20rocsparse_direction_NS_24const_host_device_scalarIT2_EEPKiS6_PKS3_S8_S4_PS3_21rocsparse_index_base_b.num_vgpr, 41
	.set _ZN9rocsparseL19gebsrmvn_2xn_kernelILj128ELj12ELj8EfEEvi20rocsparse_direction_NS_24const_host_device_scalarIT2_EEPKiS6_PKS3_S8_S4_PS3_21rocsparse_index_base_b.num_agpr, 0
	.set _ZN9rocsparseL19gebsrmvn_2xn_kernelILj128ELj12ELj8EfEEvi20rocsparse_direction_NS_24const_host_device_scalarIT2_EEPKiS6_PKS3_S8_S4_PS3_21rocsparse_index_base_b.numbered_sgpr, 20
	.set _ZN9rocsparseL19gebsrmvn_2xn_kernelILj128ELj12ELj8EfEEvi20rocsparse_direction_NS_24const_host_device_scalarIT2_EEPKiS6_PKS3_S8_S4_PS3_21rocsparse_index_base_b.num_named_barrier, 0
	.set _ZN9rocsparseL19gebsrmvn_2xn_kernelILj128ELj12ELj8EfEEvi20rocsparse_direction_NS_24const_host_device_scalarIT2_EEPKiS6_PKS3_S8_S4_PS3_21rocsparse_index_base_b.private_seg_size, 0
	.set _ZN9rocsparseL19gebsrmvn_2xn_kernelILj128ELj12ELj8EfEEvi20rocsparse_direction_NS_24const_host_device_scalarIT2_EEPKiS6_PKS3_S8_S4_PS3_21rocsparse_index_base_b.uses_vcc, 1
	.set _ZN9rocsparseL19gebsrmvn_2xn_kernelILj128ELj12ELj8EfEEvi20rocsparse_direction_NS_24const_host_device_scalarIT2_EEPKiS6_PKS3_S8_S4_PS3_21rocsparse_index_base_b.uses_flat_scratch, 0
	.set _ZN9rocsparseL19gebsrmvn_2xn_kernelILj128ELj12ELj8EfEEvi20rocsparse_direction_NS_24const_host_device_scalarIT2_EEPKiS6_PKS3_S8_S4_PS3_21rocsparse_index_base_b.has_dyn_sized_stack, 0
	.set _ZN9rocsparseL19gebsrmvn_2xn_kernelILj128ELj12ELj8EfEEvi20rocsparse_direction_NS_24const_host_device_scalarIT2_EEPKiS6_PKS3_S8_S4_PS3_21rocsparse_index_base_b.has_recursion, 0
	.set _ZN9rocsparseL19gebsrmvn_2xn_kernelILj128ELj12ELj8EfEEvi20rocsparse_direction_NS_24const_host_device_scalarIT2_EEPKiS6_PKS3_S8_S4_PS3_21rocsparse_index_base_b.has_indirect_call, 0
	.section	.AMDGPU.csdata,"",@progbits
; Kernel info:
; codeLenInByte = 1932
; TotalNumSgprs: 24
; NumVgprs: 41
; ScratchSize: 0
; MemoryBound: 0
; FloatMode: 240
; IeeeMode: 1
; LDSByteSize: 0 bytes/workgroup (compile time only)
; SGPRBlocks: 2
; VGPRBlocks: 10
; NumSGPRsForWavesPerEU: 24
; NumVGPRsForWavesPerEU: 41
; Occupancy: 5
; WaveLimiterHint : 1
; COMPUTE_PGM_RSRC2:SCRATCH_EN: 0
; COMPUTE_PGM_RSRC2:USER_SGPR: 6
; COMPUTE_PGM_RSRC2:TRAP_HANDLER: 0
; COMPUTE_PGM_RSRC2:TGID_X_EN: 1
; COMPUTE_PGM_RSRC2:TGID_Y_EN: 0
; COMPUTE_PGM_RSRC2:TGID_Z_EN: 0
; COMPUTE_PGM_RSRC2:TIDIG_COMP_CNT: 0
	.section	.text._ZN9rocsparseL19gebsrmvn_2xn_kernelILj128ELj12ELj16EfEEvi20rocsparse_direction_NS_24const_host_device_scalarIT2_EEPKiS6_PKS3_S8_S4_PS3_21rocsparse_index_base_b,"axG",@progbits,_ZN9rocsparseL19gebsrmvn_2xn_kernelILj128ELj12ELj16EfEEvi20rocsparse_direction_NS_24const_host_device_scalarIT2_EEPKiS6_PKS3_S8_S4_PS3_21rocsparse_index_base_b,comdat
	.globl	_ZN9rocsparseL19gebsrmvn_2xn_kernelILj128ELj12ELj16EfEEvi20rocsparse_direction_NS_24const_host_device_scalarIT2_EEPKiS6_PKS3_S8_S4_PS3_21rocsparse_index_base_b ; -- Begin function _ZN9rocsparseL19gebsrmvn_2xn_kernelILj128ELj12ELj16EfEEvi20rocsparse_direction_NS_24const_host_device_scalarIT2_EEPKiS6_PKS3_S8_S4_PS3_21rocsparse_index_base_b
	.p2align	8
	.type	_ZN9rocsparseL19gebsrmvn_2xn_kernelILj128ELj12ELj16EfEEvi20rocsparse_direction_NS_24const_host_device_scalarIT2_EEPKiS6_PKS3_S8_S4_PS3_21rocsparse_index_base_b,@function
_ZN9rocsparseL19gebsrmvn_2xn_kernelILj128ELj12ELj16EfEEvi20rocsparse_direction_NS_24const_host_device_scalarIT2_EEPKiS6_PKS3_S8_S4_PS3_21rocsparse_index_base_b: ; @_ZN9rocsparseL19gebsrmvn_2xn_kernelILj128ELj12ELj16EfEEvi20rocsparse_direction_NS_24const_host_device_scalarIT2_EEPKiS6_PKS3_S8_S4_PS3_21rocsparse_index_base_b
; %bb.0:
	s_load_dwordx2 s[18:19], s[4:5], 0x40
	s_load_dwordx2 s[16:17], s[4:5], 0x8
	;; [unrolled: 1-line block ×3, first 2 shown]
	s_waitcnt lgkmcnt(0)
	s_bitcmp1_b32 s19, 0
	s_cselect_b64 s[8:9], -1, 0
	s_xor_b64 s[0:1], s[8:9], -1
	s_and_b64 vcc, exec, s[8:9]
	s_cbranch_vccnz .LBB52_2
; %bb.1:
	s_load_dword s16, s[16:17], 0x0
.LBB52_2:
	s_andn2_b64 vcc, exec, s[0:1]
	s_cbranch_vccnz .LBB52_4
; %bb.3:
	s_load_dword s2, s[2:3], 0x0
.LBB52_4:
	s_waitcnt lgkmcnt(0)
	v_cmp_eq_f32_e64 s[0:1], s16, 0
	v_cmp_eq_f32_e64 s[8:9], s2, 1.0
	s_and_b64 s[0:1], s[0:1], s[8:9]
	s_and_b64 vcc, exec, s[0:1]
	s_cbranch_vccnz .LBB52_22
; %bb.5:
	s_load_dwordx2 s[0:1], s[4:5], 0x0
	v_lshrrev_b32_e32 v1, 4, v0
	v_lshl_or_b32 v1, s6, 3, v1
	s_waitcnt lgkmcnt(0)
	v_cmp_gt_i32_e32 vcc, s0, v1
	s_and_saveexec_b64 s[6:7], vcc
	s_cbranch_execz .LBB52_22
; %bb.6:
	s_load_dwordx8 s[8:15], s[4:5], 0x10
	v_ashrrev_i32_e32 v2, 31, v1
	v_lshlrev_b64 v[2:3], 2, v[1:2]
	v_and_b32_e32 v0, 15, v0
	s_cmp_lg_u32 s1, 0
	s_waitcnt lgkmcnt(0)
	v_mov_b32_e32 v4, s9
	v_add_co_u32_e32 v2, vcc, s8, v2
	v_addc_co_u32_e32 v3, vcc, v4, v3, vcc
	global_load_dwordx2 v[2:3], v[2:3], off
	s_waitcnt vmcnt(0)
	v_subrev_u32_e32 v2, s18, v2
	v_subrev_u32_e32 v9, s18, v3
	v_add_u32_e32 v2, v2, v0
	v_cmp_lt_i32_e64 s[0:1], v2, v9
	s_cbranch_scc0 .LBB52_12
; %bb.7:
	v_mov_b32_e32 v10, 0
	v_mov_b32_e32 v11, 0
	s_and_saveexec_b64 s[6:7], s[0:1]
	s_cbranch_execz .LBB52_11
; %bb.8:
	v_mad_u64_u32 v[3:4], s[8:9], v2, 24, 22
	v_mov_b32_e32 v6, 0
	s_mov_b64 s[8:9], 0
	v_mov_b32_e32 v12, s11
	v_mov_b32_e32 v13, s13
	;; [unrolled: 1-line block ×6, first 2 shown]
.LBB52_9:                               ; =>This Inner Loop Header: Depth=1
	v_ashrrev_i32_e32 v8, 31, v7
	v_lshlrev_b64 v[15:16], 2, v[7:8]
	v_subrev_u32_e32 v5, 22, v3
	v_lshlrev_b64 v[17:18], 2, v[5:6]
	v_add_co_u32_e32 v23, vcc, s10, v15
	v_mov_b32_e32 v4, v6
	v_addc_co_u32_e32 v24, vcc, v12, v16, vcc
	v_lshlrev_b64 v[19:20], 2, v[3:4]
	v_add_co_u32_e32 v25, vcc, s12, v17
	v_addc_co_u32_e32 v26, vcc, v13, v18, vcc
	v_add_co_u32_e32 v29, vcc, s12, v19
	v_addc_co_u32_e32 v30, vcc, v13, v20, vcc
	global_load_dword v8, v[23:24], off
	global_load_dwordx4 v[15:18], v[25:26], off
	global_load_dwordx4 v[19:22], v[25:26], off offset:16
	v_add_u32_e32 v5, -14, v3
	v_lshlrev_b64 v[4:5], 2, v[5:6]
	v_mov_b32_e32 v28, v6
	v_add_co_u32_e32 v31, vcc, s12, v4
	v_addc_co_u32_e32 v32, vcc, v13, v5, vcc
	v_add_u32_e32 v7, 16, v7
	s_waitcnt vmcnt(2)
	v_subrev_u32_e32 v4, s18, v8
	v_mul_lo_u32 v27, v4, 12
	v_lshlrev_b64 v[23:24], 2, v[27:28]
	v_add_u32_e32 v5, 4, v27
	v_add_co_u32_e32 v23, vcc, s14, v23
	v_addc_co_u32_e32 v24, vcc, v14, v24, vcc
	global_load_dwordx4 v[23:26], v[23:24], off
	v_lshlrev_b64 v[33:34], 2, v[5:6]
	v_add_u32_e32 v5, -12, v3
	s_waitcnt vmcnt(0)
	v_fmac_f32_e32 v10, v15, v23
	v_fmac_f32_e32 v11, v16, v23
	v_lshlrev_b64 v[15:16], 2, v[5:6]
	v_add_co_u32_e32 v23, vcc, s14, v33
	v_fmac_f32_e32 v10, v17, v24
	v_fmac_f32_e32 v11, v18, v24
	v_addc_co_u32_e32 v24, vcc, v14, v34, vcc
	v_add_u32_e32 v5, -10, v3
	v_add_co_u32_e32 v33, vcc, s12, v15
	v_addc_co_u32_e32 v34, vcc, v13, v16, vcc
	v_lshlrev_b64 v[15:16], 2, v[5:6]
	v_add_u32_e32 v5, -8, v3
	v_fmac_f32_e32 v10, v19, v25
	v_lshlrev_b64 v[17:18], 2, v[5:6]
	v_add_co_u32_e32 v19, vcc, s12, v15
	v_fmac_f32_e32 v11, v20, v25
	v_add_u32_e32 v5, -6, v3
	v_addc_co_u32_e32 v20, vcc, v13, v16, vcc
	v_fmac_f32_e32 v10, v21, v26
	v_lshlrev_b64 v[15:16], 2, v[5:6]
	v_add_co_u32_e32 v21, vcc, s12, v17
	v_fmac_f32_e32 v11, v22, v26
	v_add_u32_e32 v5, 8, v27
	v_addc_co_u32_e32 v22, vcc, v13, v18, vcc
	v_lshlrev_b64 v[17:18], 2, v[5:6]
	v_add_co_u32_e32 v25, vcc, s12, v15
	v_add_u32_e32 v5, -4, v3
	v_addc_co_u32_e32 v26, vcc, v13, v16, vcc
	v_lshlrev_b64 v[15:16], 2, v[5:6]
	v_add_co_u32_e32 v27, vcc, s14, v17
	v_addc_co_u32_e32 v28, vcc, v14, v18, vcc
	v_add_co_u32_e32 v35, vcc, s12, v15
	v_addc_co_u32_e32 v36, vcc, v13, v16, vcc
	global_load_dwordx2 v[37:38], v[31:32], off
	global_load_dwordx4 v[15:18], v[23:24], off
	v_add_u32_e32 v5, -2, v3
	v_lshlrev_b64 v[4:5], 2, v[5:6]
	v_add_u32_e32 v3, 0x180, v3
	v_add_co_u32_e32 v4, vcc, s12, v4
	v_addc_co_u32_e32 v5, vcc, v13, v5, vcc
	v_cmp_ge_i32_e32 vcc, v7, v9
	s_or_b64 s[8:9], vcc, s[8:9]
	s_waitcnt vmcnt(0)
	v_fmac_f32_e32 v10, v37, v15
	v_fmac_f32_e32 v11, v38, v15
	global_load_dwordx2 v[23:24], v[33:34], off
	global_load_dwordx2 v[31:32], v[19:20], off
	;; [unrolled: 1-line block ×4, first 2 shown]
	s_waitcnt vmcnt(3)
	v_fmac_f32_e32 v10, v23, v16
	v_fmac_f32_e32 v11, v24, v16
	global_load_dwordx4 v[19:22], v[27:28], off
	global_load_dwordx2 v[15:16], v[35:36], off
	global_load_dwordx2 v[23:24], v[4:5], off
	;; [unrolled: 1-line block ×3, first 2 shown]
	s_waitcnt vmcnt(6)
	v_fmac_f32_e32 v10, v31, v17
	v_fmac_f32_e32 v11, v32, v17
	s_waitcnt vmcnt(5)
	v_fmac_f32_e32 v10, v37, v18
	v_fmac_f32_e32 v11, v38, v18
	;; [unrolled: 3-line block ×6, first 2 shown]
	s_andn2_b64 exec, exec, s[8:9]
	s_cbranch_execnz .LBB52_9
; %bb.10:
	s_or_b64 exec, exec, s[8:9]
.LBB52_11:
	s_or_b64 exec, exec, s[6:7]
	s_cbranch_execz .LBB52_13
	s_branch .LBB52_18
.LBB52_12:
                                        ; implicit-def: $vgpr10
                                        ; implicit-def: $vgpr11
.LBB52_13:
	v_mov_b32_e32 v10, 0
	v_mov_b32_e32 v11, 0
	s_and_saveexec_b64 s[6:7], s[0:1]
	s_cbranch_execz .LBB52_17
; %bb.14:
	v_mad_u64_u32 v[4:5], s[0:1], v2, 24, 23
	v_mov_b32_e32 v7, 0
	s_mov_b64 s[0:1], 0
	v_mov_b32_e32 v8, s11
	v_mov_b32_e32 v12, s13
	;; [unrolled: 1-line block ×5, first 2 shown]
.LBB52_15:                              ; =>This Inner Loop Header: Depth=1
	v_ashrrev_i32_e32 v3, 31, v2
	v_lshlrev_b64 v[16:17], 2, v[2:3]
	v_subrev_u32_e32 v6, 23, v4
	v_lshlrev_b64 v[18:19], 2, v[6:7]
	v_add_co_u32_e32 v22, vcc, s10, v16
	v_addc_co_u32_e32 v23, vcc, v8, v17, vcc
	v_add_u32_e32 v14, -11, v4
	v_mov_b32_e32 v15, v7
	v_add_co_u32_e32 v24, vcc, s12, v18
	v_lshlrev_b64 v[28:29], 2, v[14:15]
	v_addc_co_u32_e32 v25, vcc, v12, v19, vcc
	global_load_dword v3, v[22:23], off
	global_load_dwordx4 v[14:17], v[24:25], off
	global_load_dwordx4 v[18:21], v[24:25], off offset:16
	v_mov_b32_e32 v27, v7
	v_mov_b32_e32 v5, v7
	v_add_u32_e32 v6, -10, v4
	v_add_u32_e32 v2, 16, v2
	s_waitcnt vmcnt(2)
	v_subrev_u32_e32 v3, s18, v3
	v_mul_lo_u32 v26, v3, 12
	v_lshlrev_b64 v[22:23], 2, v[26:27]
	v_add_co_u32_e32 v22, vcc, s14, v22
	v_addc_co_u32_e32 v23, vcc, v13, v23, vcc
	global_load_dwordx4 v[22:25], v[22:23], off
	s_waitcnt vmcnt(0)
	v_fmac_f32_e32 v10, v14, v22
	v_fmac_f32_e32 v10, v15, v23
	;; [unrolled: 1-line block ×3, first 2 shown]
	v_lshlrev_b64 v[14:15], 2, v[4:5]
	v_add_co_u32_e32 v16, vcc, s12, v28
	v_fmac_f32_e32 v10, v17, v25
	v_addc_co_u32_e32 v17, vcc, v12, v29, vcc
	v_add_co_u32_e32 v14, vcc, s12, v14
	v_lshlrev_b64 v[5:6], 2, v[6:7]
	v_addc_co_u32_e32 v15, vcc, v12, v15, vcc
	v_add_co_u32_e32 v27, vcc, s12, v5
	v_addc_co_u32_e32 v28, vcc, v12, v6, vcc
	v_add_u32_e32 v6, -9, v4
	v_lshlrev_b64 v[5:6], 2, v[6:7]
	v_add_co_u32_e32 v29, vcc, s12, v5
	v_addc_co_u32_e32 v30, vcc, v12, v6, vcc
	v_add_u32_e32 v6, -8, v4
	v_lshlrev_b64 v[5:6], 2, v[6:7]
	v_add_co_u32_e32 v31, vcc, s12, v5
	v_addc_co_u32_e32 v32, vcc, v12, v6, vcc
	v_add_u32_e32 v6, 4, v26
	v_lshlrev_b64 v[5:6], 2, v[6:7]
	v_add_co_u32_e32 v33, vcc, s14, v5
	global_load_dword v3, v[16:17], off
	global_load_dword v35, v[14:15], off
	;; [unrolled: 1-line block ×5, first 2 shown]
	v_addc_co_u32_e32 v34, vcc, v13, v6, vcc
	v_add_u32_e32 v6, -7, v4
	v_lshlrev_b64 v[14:15], 2, v[6:7]
	v_add_u32_e32 v6, -6, v4
	s_waitcnt vmcnt(4)
	v_fmac_f32_e32 v11, v3, v22
	s_waitcnt vmcnt(2)
	v_fmac_f32_e32 v11, v5, v23
	;; [unrolled: 2-line block ×3, first 2 shown]
	v_add_co_u32_e32 v24, vcc, s12, v14
	s_waitcnt vmcnt(0)
	v_fmac_f32_e32 v11, v37, v25
	v_addc_co_u32_e32 v25, vcc, v12, v15, vcc
	global_load_dwordx4 v[14:17], v[33:34], off
	v_lshlrev_b64 v[22:23], 2, v[6:7]
	v_add_u32_e32 v6, -5, v4
	global_load_dword v3, v[24:25], off
	s_waitcnt vmcnt(1)
	v_fmac_f32_e32 v10, v18, v14
	v_fmac_f32_e32 v10, v19, v15
	;; [unrolled: 1-line block ×3, first 2 shown]
	v_lshlrev_b64 v[18:19], 2, v[6:7]
	v_add_co_u32_e32 v20, vcc, s12, v22
	v_fmac_f32_e32 v10, v21, v17
	v_add_u32_e32 v6, -4, v4
	v_addc_co_u32_e32 v21, vcc, v12, v23, vcc
	v_lshlrev_b64 v[22:23], 2, v[6:7]
	v_add_co_u32_e32 v18, vcc, s12, v18
	v_addc_co_u32_e32 v19, vcc, v12, v19, vcc
	global_load_dword v5, v[20:21], off
	v_add_u32_e32 v6, -15, v4
	v_add_co_u32_e32 v22, vcc, s12, v22
	v_lshlrev_b64 v[20:21], 2, v[6:7]
	v_add_u32_e32 v6, 8, v26
	v_addc_co_u32_e32 v23, vcc, v12, v23, vcc
	global_load_dword v26, v[18:19], off
	global_load_dword v27, v[22:23], off
	v_lshlrev_b64 v[24:25], 2, v[6:7]
	v_add_co_u32_e32 v18, vcc, s12, v20
	v_add_u32_e32 v6, -3, v4
	v_addc_co_u32_e32 v19, vcc, v12, v21, vcc
	v_add_co_u32_e32 v20, vcc, s14, v24
	v_lshlrev_b64 v[22:23], 2, v[6:7]
	v_addc_co_u32_e32 v21, vcc, v13, v25, vcc
	v_add_u32_e32 v6, -14, v4
	global_load_dword v28, v[18:19], off
	v_add_co_u32_e32 v18, vcc, s12, v22
	s_waitcnt vmcnt(4)
	v_fmac_f32_e32 v11, v3, v14
	v_addc_co_u32_e32 v19, vcc, v12, v23, vcc
	v_lshlrev_b64 v[22:23], 2, v[6:7]
	v_add_u32_e32 v6, -2, v4
	v_lshlrev_b64 v[24:25], 2, v[6:7]
	v_add_u32_e32 v6, -13, v4
	global_load_dword v3, v[18:19], off
	s_waitcnt vmcnt(4)
	v_fmac_f32_e32 v11, v5, v15
	s_waitcnt vmcnt(3)
	v_fmac_f32_e32 v11, v26, v16
	s_waitcnt vmcnt(2)
	v_fmac_f32_e32 v11, v27, v17
	global_load_dwordx4 v[14:17], v[20:21], off
	v_add_co_u32_e32 v20, vcc, s12, v22
	v_addc_co_u32_e32 v21, vcc, v12, v23, vcc
	v_lshlrev_b64 v[22:23], 2, v[6:7]
	v_add_co_u32_e32 v18, vcc, s12, v24
	v_add_u32_e32 v6, -1, v4
	v_addc_co_u32_e32 v19, vcc, v12, v25, vcc
	v_lshlrev_b64 v[24:25], 2, v[6:7]
	global_load_dword v26, v[20:21], off
	v_add_co_u32_e32 v20, vcc, s12, v22
	v_add_u32_e32 v6, -12, v4
	v_addc_co_u32_e32 v21, vcc, v12, v23, vcc
	v_add_co_u32_e32 v22, vcc, s12, v24
	v_lshlrev_b64 v[5:6], 2, v[6:7]
	v_addc_co_u32_e32 v23, vcc, v12, v25, vcc
	global_load_dword v24, v[18:19], off
	global_load_dword v25, v[20:21], off
	v_add_co_u32_e32 v5, vcc, s12, v5
	v_addc_co_u32_e32 v6, vcc, v12, v6, vcc
	global_load_dword v18, v[22:23], off
	global_load_dword v19, v[5:6], off
	v_cmp_ge_i32_e32 vcc, v2, v9
	s_or_b64 s[0:1], vcc, s[0:1]
	v_add_u32_e32 v4, 0x180, v4
	s_waitcnt vmcnt(5)
	v_fmac_f32_e32 v10, v28, v14
	v_fmac_f32_e32 v11, v3, v14
	s_waitcnt vmcnt(4)
	v_fmac_f32_e32 v10, v26, v15
	s_waitcnt vmcnt(3)
	;; [unrolled: 2-line block ×5, first 2 shown]
	v_fmac_f32_e32 v10, v19, v17
	v_fmac_f32_e32 v11, v35, v17
	s_andn2_b64 exec, exec, s[0:1]
	s_cbranch_execnz .LBB52_15
; %bb.16:
	s_or_b64 exec, exec, s[0:1]
.LBB52_17:
	s_or_b64 exec, exec, s[6:7]
.LBB52_18:
	v_mov_b32_dpp v2, v10 row_shr:1 row_mask:0xf bank_mask:0xf
	v_mov_b32_dpp v4, v11 row_shr:1 row_mask:0xf bank_mask:0xf
	v_add_f32_e32 v2, v10, v2
	v_add_f32_e32 v4, v11, v4
	v_cmp_eq_u32_e32 vcc, 15, v0
	v_mov_b32_dpp v3, v2 row_shr:2 row_mask:0xf bank_mask:0xf
	v_mov_b32_dpp v5, v4 row_shr:2 row_mask:0xf bank_mask:0xf
	v_add_f32_e32 v2, v2, v3
	v_add_f32_e32 v4, v4, v5
	s_nop 0
	v_mov_b32_dpp v3, v2 row_shr:4 row_mask:0xf bank_mask:0xe
	v_mov_b32_dpp v5, v4 row_shr:4 row_mask:0xf bank_mask:0xe
	v_add_f32_e32 v2, v2, v3
	v_add_f32_e32 v4, v4, v5
	s_nop 0
	v_mov_b32_dpp v3, v2 row_shr:8 row_mask:0xf bank_mask:0xc
	v_mov_b32_dpp v5, v4 row_shr:8 row_mask:0xf bank_mask:0xc
	s_and_b64 exec, exec, vcc
	s_cbranch_execz .LBB52_22
; %bb.19:
	s_load_dwordx2 s[0:1], s[4:5], 0x38
	v_add_f32_e32 v0, v2, v3
	v_add_f32_e32 v3, v4, v5
	v_cmp_eq_f32_e64 s[4:5], s2, 0
	s_and_b64 vcc, exec, s[4:5]
	v_mul_f32_e32 v2, s16, v0
	v_mul_f32_e32 v3, s16, v3
	v_lshlrev_b32_e32 v0, 1, v1
	s_cbranch_vccz .LBB52_23
; %bb.20:
	v_ashrrev_i32_e32 v1, 31, v0
	v_lshlrev_b64 v[4:5], 2, v[0:1]
	s_waitcnt lgkmcnt(0)
	v_mov_b32_e32 v1, s1
	v_add_co_u32_e32 v4, vcc, s0, v4
	v_addc_co_u32_e32 v5, vcc, v1, v5, vcc
	global_store_dwordx2 v[4:5], v[2:3], off
	s_cbranch_execnz .LBB52_22
.LBB52_21:
	v_ashrrev_i32_e32 v1, 31, v0
	v_lshlrev_b64 v[0:1], 2, v[0:1]
	s_waitcnt lgkmcnt(0)
	v_mov_b32_e32 v4, s1
	v_add_co_u32_e32 v0, vcc, s0, v0
	v_addc_co_u32_e32 v1, vcc, v4, v1, vcc
	global_load_dwordx2 v[4:5], v[0:1], off
	s_waitcnt vmcnt(0)
	v_fmac_f32_e32 v2, s2, v4
	v_fmac_f32_e32 v3, s2, v5
	global_store_dwordx2 v[0:1], v[2:3], off
.LBB52_22:
	s_endpgm
.LBB52_23:
	s_branch .LBB52_21
	.section	.rodata,"a",@progbits
	.p2align	6, 0x0
	.amdhsa_kernel _ZN9rocsparseL19gebsrmvn_2xn_kernelILj128ELj12ELj16EfEEvi20rocsparse_direction_NS_24const_host_device_scalarIT2_EEPKiS6_PKS3_S8_S4_PS3_21rocsparse_index_base_b
		.amdhsa_group_segment_fixed_size 0
		.amdhsa_private_segment_fixed_size 0
		.amdhsa_kernarg_size 72
		.amdhsa_user_sgpr_count 6
		.amdhsa_user_sgpr_private_segment_buffer 1
		.amdhsa_user_sgpr_dispatch_ptr 0
		.amdhsa_user_sgpr_queue_ptr 0
		.amdhsa_user_sgpr_kernarg_segment_ptr 1
		.amdhsa_user_sgpr_dispatch_id 0
		.amdhsa_user_sgpr_flat_scratch_init 0
		.amdhsa_user_sgpr_private_segment_size 0
		.amdhsa_uses_dynamic_stack 0
		.amdhsa_system_sgpr_private_segment_wavefront_offset 0
		.amdhsa_system_sgpr_workgroup_id_x 1
		.amdhsa_system_sgpr_workgroup_id_y 0
		.amdhsa_system_sgpr_workgroup_id_z 0
		.amdhsa_system_sgpr_workgroup_info 0
		.amdhsa_system_vgpr_workitem_id 0
		.amdhsa_next_free_vgpr 41
		.amdhsa_next_free_sgpr 20
		.amdhsa_reserve_vcc 1
		.amdhsa_reserve_flat_scratch 0
		.amdhsa_float_round_mode_32 0
		.amdhsa_float_round_mode_16_64 0
		.amdhsa_float_denorm_mode_32 3
		.amdhsa_float_denorm_mode_16_64 3
		.amdhsa_dx10_clamp 1
		.amdhsa_ieee_mode 1
		.amdhsa_fp16_overflow 0
		.amdhsa_exception_fp_ieee_invalid_op 0
		.amdhsa_exception_fp_denorm_src 0
		.amdhsa_exception_fp_ieee_div_zero 0
		.amdhsa_exception_fp_ieee_overflow 0
		.amdhsa_exception_fp_ieee_underflow 0
		.amdhsa_exception_fp_ieee_inexact 0
		.amdhsa_exception_int_div_zero 0
	.end_amdhsa_kernel
	.section	.text._ZN9rocsparseL19gebsrmvn_2xn_kernelILj128ELj12ELj16EfEEvi20rocsparse_direction_NS_24const_host_device_scalarIT2_EEPKiS6_PKS3_S8_S4_PS3_21rocsparse_index_base_b,"axG",@progbits,_ZN9rocsparseL19gebsrmvn_2xn_kernelILj128ELj12ELj16EfEEvi20rocsparse_direction_NS_24const_host_device_scalarIT2_EEPKiS6_PKS3_S8_S4_PS3_21rocsparse_index_base_b,comdat
.Lfunc_end52:
	.size	_ZN9rocsparseL19gebsrmvn_2xn_kernelILj128ELj12ELj16EfEEvi20rocsparse_direction_NS_24const_host_device_scalarIT2_EEPKiS6_PKS3_S8_S4_PS3_21rocsparse_index_base_b, .Lfunc_end52-_ZN9rocsparseL19gebsrmvn_2xn_kernelILj128ELj12ELj16EfEEvi20rocsparse_direction_NS_24const_host_device_scalarIT2_EEPKiS6_PKS3_S8_S4_PS3_21rocsparse_index_base_b
                                        ; -- End function
	.set _ZN9rocsparseL19gebsrmvn_2xn_kernelILj128ELj12ELj16EfEEvi20rocsparse_direction_NS_24const_host_device_scalarIT2_EEPKiS6_PKS3_S8_S4_PS3_21rocsparse_index_base_b.num_vgpr, 41
	.set _ZN9rocsparseL19gebsrmvn_2xn_kernelILj128ELj12ELj16EfEEvi20rocsparse_direction_NS_24const_host_device_scalarIT2_EEPKiS6_PKS3_S8_S4_PS3_21rocsparse_index_base_b.num_agpr, 0
	.set _ZN9rocsparseL19gebsrmvn_2xn_kernelILj128ELj12ELj16EfEEvi20rocsparse_direction_NS_24const_host_device_scalarIT2_EEPKiS6_PKS3_S8_S4_PS3_21rocsparse_index_base_b.numbered_sgpr, 20
	.set _ZN9rocsparseL19gebsrmvn_2xn_kernelILj128ELj12ELj16EfEEvi20rocsparse_direction_NS_24const_host_device_scalarIT2_EEPKiS6_PKS3_S8_S4_PS3_21rocsparse_index_base_b.num_named_barrier, 0
	.set _ZN9rocsparseL19gebsrmvn_2xn_kernelILj128ELj12ELj16EfEEvi20rocsparse_direction_NS_24const_host_device_scalarIT2_EEPKiS6_PKS3_S8_S4_PS3_21rocsparse_index_base_b.private_seg_size, 0
	.set _ZN9rocsparseL19gebsrmvn_2xn_kernelILj128ELj12ELj16EfEEvi20rocsparse_direction_NS_24const_host_device_scalarIT2_EEPKiS6_PKS3_S8_S4_PS3_21rocsparse_index_base_b.uses_vcc, 1
	.set _ZN9rocsparseL19gebsrmvn_2xn_kernelILj128ELj12ELj16EfEEvi20rocsparse_direction_NS_24const_host_device_scalarIT2_EEPKiS6_PKS3_S8_S4_PS3_21rocsparse_index_base_b.uses_flat_scratch, 0
	.set _ZN9rocsparseL19gebsrmvn_2xn_kernelILj128ELj12ELj16EfEEvi20rocsparse_direction_NS_24const_host_device_scalarIT2_EEPKiS6_PKS3_S8_S4_PS3_21rocsparse_index_base_b.has_dyn_sized_stack, 0
	.set _ZN9rocsparseL19gebsrmvn_2xn_kernelILj128ELj12ELj16EfEEvi20rocsparse_direction_NS_24const_host_device_scalarIT2_EEPKiS6_PKS3_S8_S4_PS3_21rocsparse_index_base_b.has_recursion, 0
	.set _ZN9rocsparseL19gebsrmvn_2xn_kernelILj128ELj12ELj16EfEEvi20rocsparse_direction_NS_24const_host_device_scalarIT2_EEPKiS6_PKS3_S8_S4_PS3_21rocsparse_index_base_b.has_indirect_call, 0
	.section	.AMDGPU.csdata,"",@progbits
; Kernel info:
; codeLenInByte = 1960
; TotalNumSgprs: 24
; NumVgprs: 41
; ScratchSize: 0
; MemoryBound: 0
; FloatMode: 240
; IeeeMode: 1
; LDSByteSize: 0 bytes/workgroup (compile time only)
; SGPRBlocks: 2
; VGPRBlocks: 10
; NumSGPRsForWavesPerEU: 24
; NumVGPRsForWavesPerEU: 41
; Occupancy: 5
; WaveLimiterHint : 1
; COMPUTE_PGM_RSRC2:SCRATCH_EN: 0
; COMPUTE_PGM_RSRC2:USER_SGPR: 6
; COMPUTE_PGM_RSRC2:TRAP_HANDLER: 0
; COMPUTE_PGM_RSRC2:TGID_X_EN: 1
; COMPUTE_PGM_RSRC2:TGID_Y_EN: 0
; COMPUTE_PGM_RSRC2:TGID_Z_EN: 0
; COMPUTE_PGM_RSRC2:TIDIG_COMP_CNT: 0
	.section	.text._ZN9rocsparseL19gebsrmvn_2xn_kernelILj128ELj12ELj32EfEEvi20rocsparse_direction_NS_24const_host_device_scalarIT2_EEPKiS6_PKS3_S8_S4_PS3_21rocsparse_index_base_b,"axG",@progbits,_ZN9rocsparseL19gebsrmvn_2xn_kernelILj128ELj12ELj32EfEEvi20rocsparse_direction_NS_24const_host_device_scalarIT2_EEPKiS6_PKS3_S8_S4_PS3_21rocsparse_index_base_b,comdat
	.globl	_ZN9rocsparseL19gebsrmvn_2xn_kernelILj128ELj12ELj32EfEEvi20rocsparse_direction_NS_24const_host_device_scalarIT2_EEPKiS6_PKS3_S8_S4_PS3_21rocsparse_index_base_b ; -- Begin function _ZN9rocsparseL19gebsrmvn_2xn_kernelILj128ELj12ELj32EfEEvi20rocsparse_direction_NS_24const_host_device_scalarIT2_EEPKiS6_PKS3_S8_S4_PS3_21rocsparse_index_base_b
	.p2align	8
	.type	_ZN9rocsparseL19gebsrmvn_2xn_kernelILj128ELj12ELj32EfEEvi20rocsparse_direction_NS_24const_host_device_scalarIT2_EEPKiS6_PKS3_S8_S4_PS3_21rocsparse_index_base_b,@function
_ZN9rocsparseL19gebsrmvn_2xn_kernelILj128ELj12ELj32EfEEvi20rocsparse_direction_NS_24const_host_device_scalarIT2_EEPKiS6_PKS3_S8_S4_PS3_21rocsparse_index_base_b: ; @_ZN9rocsparseL19gebsrmvn_2xn_kernelILj128ELj12ELj32EfEEvi20rocsparse_direction_NS_24const_host_device_scalarIT2_EEPKiS6_PKS3_S8_S4_PS3_21rocsparse_index_base_b
; %bb.0:
	s_load_dwordx2 s[18:19], s[4:5], 0x40
	s_load_dwordx2 s[16:17], s[4:5], 0x8
	;; [unrolled: 1-line block ×3, first 2 shown]
	s_waitcnt lgkmcnt(0)
	s_bitcmp1_b32 s19, 0
	s_cselect_b64 s[8:9], -1, 0
	s_xor_b64 s[0:1], s[8:9], -1
	s_and_b64 vcc, exec, s[8:9]
	s_cbranch_vccnz .LBB53_2
; %bb.1:
	s_load_dword s16, s[16:17], 0x0
.LBB53_2:
	s_andn2_b64 vcc, exec, s[0:1]
	s_cbranch_vccnz .LBB53_4
; %bb.3:
	s_load_dword s2, s[2:3], 0x0
.LBB53_4:
	s_waitcnt lgkmcnt(0)
	v_cmp_eq_f32_e64 s[0:1], s16, 0
	v_cmp_eq_f32_e64 s[8:9], s2, 1.0
	s_and_b64 s[0:1], s[0:1], s[8:9]
	s_and_b64 vcc, exec, s[0:1]
	s_cbranch_vccnz .LBB53_22
; %bb.5:
	s_load_dwordx2 s[0:1], s[4:5], 0x0
	v_lshrrev_b32_e32 v1, 5, v0
	v_lshl_or_b32 v1, s6, 2, v1
	s_waitcnt lgkmcnt(0)
	v_cmp_gt_i32_e32 vcc, s0, v1
	s_and_saveexec_b64 s[6:7], vcc
	s_cbranch_execz .LBB53_22
; %bb.6:
	s_load_dwordx8 s[8:15], s[4:5], 0x10
	v_ashrrev_i32_e32 v2, 31, v1
	v_lshlrev_b64 v[2:3], 2, v[1:2]
	v_and_b32_e32 v0, 31, v0
	s_cmp_lg_u32 s1, 0
	s_waitcnt lgkmcnt(0)
	v_mov_b32_e32 v4, s9
	v_add_co_u32_e32 v2, vcc, s8, v2
	v_addc_co_u32_e32 v3, vcc, v4, v3, vcc
	global_load_dwordx2 v[2:3], v[2:3], off
	s_waitcnt vmcnt(0)
	v_subrev_u32_e32 v2, s18, v2
	v_subrev_u32_e32 v9, s18, v3
	v_add_u32_e32 v2, v2, v0
	v_cmp_lt_i32_e64 s[0:1], v2, v9
	s_cbranch_scc0 .LBB53_12
; %bb.7:
	v_mov_b32_e32 v11, 0
	v_mov_b32_e32 v10, 0
	s_and_saveexec_b64 s[6:7], s[0:1]
	s_cbranch_execz .LBB53_11
; %bb.8:
	v_mad_u64_u32 v[3:4], s[8:9], v2, 24, 22
	v_mov_b32_e32 v6, 0
	s_mov_b64 s[8:9], 0
	v_mov_b32_e32 v12, s11
	v_mov_b32_e32 v13, s13
	;; [unrolled: 1-line block ×6, first 2 shown]
.LBB53_9:                               ; =>This Inner Loop Header: Depth=1
	v_ashrrev_i32_e32 v8, 31, v7
	v_lshlrev_b64 v[15:16], 2, v[7:8]
	v_subrev_u32_e32 v5, 22, v3
	v_lshlrev_b64 v[17:18], 2, v[5:6]
	v_add_co_u32_e32 v23, vcc, s10, v15
	v_mov_b32_e32 v4, v6
	v_addc_co_u32_e32 v24, vcc, v12, v16, vcc
	v_lshlrev_b64 v[19:20], 2, v[3:4]
	v_add_co_u32_e32 v25, vcc, s12, v17
	v_addc_co_u32_e32 v26, vcc, v13, v18, vcc
	v_add_co_u32_e32 v29, vcc, s12, v19
	v_addc_co_u32_e32 v30, vcc, v13, v20, vcc
	global_load_dword v8, v[23:24], off
	global_load_dwordx4 v[15:18], v[25:26], off
	global_load_dwordx4 v[19:22], v[25:26], off offset:16
	v_add_u32_e32 v5, -14, v3
	v_lshlrev_b64 v[4:5], 2, v[5:6]
	v_mov_b32_e32 v28, v6
	v_add_co_u32_e32 v31, vcc, s12, v4
	v_addc_co_u32_e32 v32, vcc, v13, v5, vcc
	v_add_u32_e32 v7, 32, v7
	s_waitcnt vmcnt(2)
	v_subrev_u32_e32 v4, s18, v8
	v_mul_lo_u32 v27, v4, 12
	v_lshlrev_b64 v[23:24], 2, v[27:28]
	v_add_u32_e32 v5, 4, v27
	v_add_co_u32_e32 v23, vcc, s14, v23
	v_addc_co_u32_e32 v24, vcc, v14, v24, vcc
	global_load_dwordx4 v[23:26], v[23:24], off
	v_lshlrev_b64 v[33:34], 2, v[5:6]
	v_add_u32_e32 v5, -12, v3
	s_waitcnt vmcnt(0)
	v_fmac_f32_e32 v11, v15, v23
	v_fmac_f32_e32 v10, v16, v23
	v_lshlrev_b64 v[15:16], 2, v[5:6]
	v_add_co_u32_e32 v23, vcc, s14, v33
	v_fmac_f32_e32 v11, v17, v24
	v_fmac_f32_e32 v10, v18, v24
	v_addc_co_u32_e32 v24, vcc, v14, v34, vcc
	v_add_u32_e32 v5, -10, v3
	v_add_co_u32_e32 v33, vcc, s12, v15
	v_addc_co_u32_e32 v34, vcc, v13, v16, vcc
	v_lshlrev_b64 v[15:16], 2, v[5:6]
	v_add_u32_e32 v5, -8, v3
	v_fmac_f32_e32 v11, v19, v25
	v_lshlrev_b64 v[17:18], 2, v[5:6]
	v_add_co_u32_e32 v19, vcc, s12, v15
	v_fmac_f32_e32 v10, v20, v25
	v_add_u32_e32 v5, -6, v3
	v_addc_co_u32_e32 v20, vcc, v13, v16, vcc
	v_fmac_f32_e32 v11, v21, v26
	v_lshlrev_b64 v[15:16], 2, v[5:6]
	v_add_co_u32_e32 v21, vcc, s12, v17
	v_fmac_f32_e32 v10, v22, v26
	v_add_u32_e32 v5, 8, v27
	v_addc_co_u32_e32 v22, vcc, v13, v18, vcc
	v_lshlrev_b64 v[17:18], 2, v[5:6]
	v_add_co_u32_e32 v25, vcc, s12, v15
	v_add_u32_e32 v5, -4, v3
	v_addc_co_u32_e32 v26, vcc, v13, v16, vcc
	v_lshlrev_b64 v[15:16], 2, v[5:6]
	v_add_co_u32_e32 v27, vcc, s14, v17
	v_addc_co_u32_e32 v28, vcc, v14, v18, vcc
	v_add_co_u32_e32 v35, vcc, s12, v15
	v_addc_co_u32_e32 v36, vcc, v13, v16, vcc
	global_load_dwordx2 v[37:38], v[31:32], off
	global_load_dwordx4 v[15:18], v[23:24], off
	v_add_u32_e32 v5, -2, v3
	v_lshlrev_b64 v[4:5], 2, v[5:6]
	v_add_u32_e32 v3, 0x300, v3
	v_add_co_u32_e32 v4, vcc, s12, v4
	v_addc_co_u32_e32 v5, vcc, v13, v5, vcc
	v_cmp_ge_i32_e32 vcc, v7, v9
	s_or_b64 s[8:9], vcc, s[8:9]
	s_waitcnt vmcnt(0)
	v_fmac_f32_e32 v11, v37, v15
	v_fmac_f32_e32 v10, v38, v15
	global_load_dwordx2 v[23:24], v[33:34], off
	global_load_dwordx2 v[31:32], v[19:20], off
	;; [unrolled: 1-line block ×4, first 2 shown]
	s_waitcnt vmcnt(3)
	v_fmac_f32_e32 v11, v23, v16
	v_fmac_f32_e32 v10, v24, v16
	global_load_dwordx4 v[19:22], v[27:28], off
	global_load_dwordx2 v[15:16], v[35:36], off
	global_load_dwordx2 v[23:24], v[4:5], off
	;; [unrolled: 1-line block ×3, first 2 shown]
	s_waitcnt vmcnt(6)
	v_fmac_f32_e32 v11, v31, v17
	v_fmac_f32_e32 v10, v32, v17
	s_waitcnt vmcnt(5)
	v_fmac_f32_e32 v11, v37, v18
	v_fmac_f32_e32 v10, v38, v18
	;; [unrolled: 3-line block ×6, first 2 shown]
	s_andn2_b64 exec, exec, s[8:9]
	s_cbranch_execnz .LBB53_9
; %bb.10:
	s_or_b64 exec, exec, s[8:9]
.LBB53_11:
	s_or_b64 exec, exec, s[6:7]
	s_cbranch_execz .LBB53_13
	s_branch .LBB53_18
.LBB53_12:
                                        ; implicit-def: $vgpr11
                                        ; implicit-def: $vgpr10
.LBB53_13:
	v_mov_b32_e32 v11, 0
	v_mov_b32_e32 v10, 0
	s_and_saveexec_b64 s[6:7], s[0:1]
	s_cbranch_execz .LBB53_17
; %bb.14:
	v_mad_u64_u32 v[4:5], s[0:1], v2, 24, 23
	v_mov_b32_e32 v7, 0
	s_mov_b64 s[0:1], 0
	v_mov_b32_e32 v8, s11
	v_mov_b32_e32 v12, s13
	;; [unrolled: 1-line block ×5, first 2 shown]
.LBB53_15:                              ; =>This Inner Loop Header: Depth=1
	v_ashrrev_i32_e32 v3, 31, v2
	v_lshlrev_b64 v[16:17], 2, v[2:3]
	v_subrev_u32_e32 v6, 23, v4
	v_lshlrev_b64 v[18:19], 2, v[6:7]
	v_add_co_u32_e32 v22, vcc, s10, v16
	v_addc_co_u32_e32 v23, vcc, v8, v17, vcc
	v_add_u32_e32 v14, -11, v4
	v_mov_b32_e32 v15, v7
	v_add_co_u32_e32 v24, vcc, s12, v18
	v_lshlrev_b64 v[28:29], 2, v[14:15]
	v_addc_co_u32_e32 v25, vcc, v12, v19, vcc
	global_load_dword v3, v[22:23], off
	global_load_dwordx4 v[14:17], v[24:25], off
	global_load_dwordx4 v[18:21], v[24:25], off offset:16
	v_mov_b32_e32 v27, v7
	v_mov_b32_e32 v5, v7
	v_add_u32_e32 v6, -10, v4
	v_add_u32_e32 v2, 32, v2
	s_waitcnt vmcnt(2)
	v_subrev_u32_e32 v3, s18, v3
	v_mul_lo_u32 v26, v3, 12
	v_lshlrev_b64 v[22:23], 2, v[26:27]
	v_add_co_u32_e32 v22, vcc, s14, v22
	v_addc_co_u32_e32 v23, vcc, v13, v23, vcc
	global_load_dwordx4 v[22:25], v[22:23], off
	s_waitcnt vmcnt(0)
	v_fmac_f32_e32 v11, v14, v22
	v_fmac_f32_e32 v11, v15, v23
	;; [unrolled: 1-line block ×3, first 2 shown]
	v_lshlrev_b64 v[14:15], 2, v[4:5]
	v_add_co_u32_e32 v16, vcc, s12, v28
	v_fmac_f32_e32 v11, v17, v25
	v_addc_co_u32_e32 v17, vcc, v12, v29, vcc
	v_add_co_u32_e32 v14, vcc, s12, v14
	v_lshlrev_b64 v[5:6], 2, v[6:7]
	v_addc_co_u32_e32 v15, vcc, v12, v15, vcc
	v_add_co_u32_e32 v27, vcc, s12, v5
	v_addc_co_u32_e32 v28, vcc, v12, v6, vcc
	v_add_u32_e32 v6, -9, v4
	v_lshlrev_b64 v[5:6], 2, v[6:7]
	v_add_co_u32_e32 v29, vcc, s12, v5
	v_addc_co_u32_e32 v30, vcc, v12, v6, vcc
	v_add_u32_e32 v6, -8, v4
	v_lshlrev_b64 v[5:6], 2, v[6:7]
	v_add_co_u32_e32 v31, vcc, s12, v5
	v_addc_co_u32_e32 v32, vcc, v12, v6, vcc
	v_add_u32_e32 v6, 4, v26
	v_lshlrev_b64 v[5:6], 2, v[6:7]
	v_add_co_u32_e32 v33, vcc, s14, v5
	global_load_dword v3, v[16:17], off
	global_load_dword v35, v[14:15], off
	;; [unrolled: 1-line block ×5, first 2 shown]
	v_addc_co_u32_e32 v34, vcc, v13, v6, vcc
	v_add_u32_e32 v6, -7, v4
	v_lshlrev_b64 v[14:15], 2, v[6:7]
	v_add_u32_e32 v6, -6, v4
	s_waitcnt vmcnt(4)
	v_fmac_f32_e32 v10, v3, v22
	s_waitcnt vmcnt(2)
	v_fmac_f32_e32 v10, v5, v23
	;; [unrolled: 2-line block ×3, first 2 shown]
	v_add_co_u32_e32 v24, vcc, s12, v14
	s_waitcnt vmcnt(0)
	v_fmac_f32_e32 v10, v37, v25
	v_addc_co_u32_e32 v25, vcc, v12, v15, vcc
	global_load_dwordx4 v[14:17], v[33:34], off
	v_lshlrev_b64 v[22:23], 2, v[6:7]
	v_add_u32_e32 v6, -5, v4
	global_load_dword v3, v[24:25], off
	s_waitcnt vmcnt(1)
	v_fmac_f32_e32 v11, v18, v14
	v_fmac_f32_e32 v11, v19, v15
	;; [unrolled: 1-line block ×3, first 2 shown]
	v_lshlrev_b64 v[18:19], 2, v[6:7]
	v_add_co_u32_e32 v20, vcc, s12, v22
	v_fmac_f32_e32 v11, v21, v17
	v_add_u32_e32 v6, -4, v4
	v_addc_co_u32_e32 v21, vcc, v12, v23, vcc
	v_lshlrev_b64 v[22:23], 2, v[6:7]
	v_add_co_u32_e32 v18, vcc, s12, v18
	v_addc_co_u32_e32 v19, vcc, v12, v19, vcc
	global_load_dword v5, v[20:21], off
	v_add_u32_e32 v6, -15, v4
	v_add_co_u32_e32 v22, vcc, s12, v22
	v_lshlrev_b64 v[20:21], 2, v[6:7]
	v_add_u32_e32 v6, 8, v26
	v_addc_co_u32_e32 v23, vcc, v12, v23, vcc
	global_load_dword v26, v[18:19], off
	global_load_dword v27, v[22:23], off
	v_lshlrev_b64 v[24:25], 2, v[6:7]
	v_add_co_u32_e32 v18, vcc, s12, v20
	v_add_u32_e32 v6, -3, v4
	v_addc_co_u32_e32 v19, vcc, v12, v21, vcc
	v_add_co_u32_e32 v20, vcc, s14, v24
	v_lshlrev_b64 v[22:23], 2, v[6:7]
	v_addc_co_u32_e32 v21, vcc, v13, v25, vcc
	v_add_u32_e32 v6, -14, v4
	global_load_dword v28, v[18:19], off
	v_add_co_u32_e32 v18, vcc, s12, v22
	s_waitcnt vmcnt(4)
	v_fmac_f32_e32 v10, v3, v14
	v_addc_co_u32_e32 v19, vcc, v12, v23, vcc
	v_lshlrev_b64 v[22:23], 2, v[6:7]
	v_add_u32_e32 v6, -2, v4
	v_lshlrev_b64 v[24:25], 2, v[6:7]
	v_add_u32_e32 v6, -13, v4
	global_load_dword v3, v[18:19], off
	s_waitcnt vmcnt(4)
	v_fmac_f32_e32 v10, v5, v15
	s_waitcnt vmcnt(3)
	v_fmac_f32_e32 v10, v26, v16
	;; [unrolled: 2-line block ×3, first 2 shown]
	global_load_dwordx4 v[14:17], v[20:21], off
	v_add_co_u32_e32 v20, vcc, s12, v22
	v_addc_co_u32_e32 v21, vcc, v12, v23, vcc
	v_lshlrev_b64 v[22:23], 2, v[6:7]
	v_add_co_u32_e32 v18, vcc, s12, v24
	v_add_u32_e32 v6, -1, v4
	v_addc_co_u32_e32 v19, vcc, v12, v25, vcc
	v_lshlrev_b64 v[24:25], 2, v[6:7]
	global_load_dword v26, v[20:21], off
	v_add_co_u32_e32 v20, vcc, s12, v22
	v_add_u32_e32 v6, -12, v4
	v_addc_co_u32_e32 v21, vcc, v12, v23, vcc
	v_add_co_u32_e32 v22, vcc, s12, v24
	v_lshlrev_b64 v[5:6], 2, v[6:7]
	v_addc_co_u32_e32 v23, vcc, v12, v25, vcc
	global_load_dword v24, v[18:19], off
	global_load_dword v25, v[20:21], off
	v_add_co_u32_e32 v5, vcc, s12, v5
	v_addc_co_u32_e32 v6, vcc, v12, v6, vcc
	global_load_dword v18, v[22:23], off
	global_load_dword v19, v[5:6], off
	v_cmp_ge_i32_e32 vcc, v2, v9
	s_or_b64 s[0:1], vcc, s[0:1]
	v_add_u32_e32 v4, 0x300, v4
	s_waitcnt vmcnt(5)
	v_fmac_f32_e32 v11, v28, v14
	v_fmac_f32_e32 v10, v3, v14
	s_waitcnt vmcnt(4)
	v_fmac_f32_e32 v11, v26, v15
	s_waitcnt vmcnt(3)
	;; [unrolled: 2-line block ×5, first 2 shown]
	v_fmac_f32_e32 v11, v19, v17
	v_fmac_f32_e32 v10, v35, v17
	s_andn2_b64 exec, exec, s[0:1]
	s_cbranch_execnz .LBB53_15
; %bb.16:
	s_or_b64 exec, exec, s[0:1]
.LBB53_17:
	s_or_b64 exec, exec, s[6:7]
.LBB53_18:
	v_mov_b32_dpp v2, v11 row_shr:1 row_mask:0xf bank_mask:0xf
	v_mov_b32_dpp v4, v10 row_shr:1 row_mask:0xf bank_mask:0xf
	v_add_f32_e32 v2, v11, v2
	v_add_f32_e32 v4, v10, v4
	v_cmp_eq_u32_e32 vcc, 31, v0
	v_mov_b32_dpp v3, v2 row_shr:2 row_mask:0xf bank_mask:0xf
	v_mov_b32_dpp v5, v4 row_shr:2 row_mask:0xf bank_mask:0xf
	v_add_f32_e32 v2, v2, v3
	v_add_f32_e32 v4, v4, v5
	s_nop 0
	v_mov_b32_dpp v3, v2 row_shr:4 row_mask:0xf bank_mask:0xe
	v_mov_b32_dpp v5, v4 row_shr:4 row_mask:0xf bank_mask:0xe
	v_add_f32_e32 v2, v2, v3
	v_add_f32_e32 v4, v4, v5
	s_nop 0
	;; [unrolled: 5-line block ×3, first 2 shown]
	v_mov_b32_dpp v3, v2 row_bcast:15 row_mask:0xa bank_mask:0xf
	v_mov_b32_dpp v5, v4 row_bcast:15 row_mask:0xa bank_mask:0xf
	s_and_b64 exec, exec, vcc
	s_cbranch_execz .LBB53_22
; %bb.19:
	s_load_dwordx2 s[0:1], s[4:5], 0x38
	v_add_f32_e32 v0, v2, v3
	v_add_f32_e32 v3, v4, v5
	v_cmp_eq_f32_e64 s[4:5], s2, 0
	s_and_b64 vcc, exec, s[4:5]
	v_mul_f32_e32 v2, s16, v0
	v_mul_f32_e32 v3, s16, v3
	v_lshlrev_b32_e32 v0, 1, v1
	s_cbranch_vccz .LBB53_23
; %bb.20:
	v_ashrrev_i32_e32 v1, 31, v0
	v_lshlrev_b64 v[4:5], 2, v[0:1]
	s_waitcnt lgkmcnt(0)
	v_mov_b32_e32 v1, s1
	v_add_co_u32_e32 v4, vcc, s0, v4
	v_addc_co_u32_e32 v5, vcc, v1, v5, vcc
	global_store_dwordx2 v[4:5], v[2:3], off
	s_cbranch_execnz .LBB53_22
.LBB53_21:
	v_ashrrev_i32_e32 v1, 31, v0
	v_lshlrev_b64 v[0:1], 2, v[0:1]
	s_waitcnt lgkmcnt(0)
	v_mov_b32_e32 v4, s1
	v_add_co_u32_e32 v0, vcc, s0, v0
	v_addc_co_u32_e32 v1, vcc, v4, v1, vcc
	global_load_dwordx2 v[4:5], v[0:1], off
	s_waitcnt vmcnt(0)
	v_fmac_f32_e32 v2, s2, v4
	v_fmac_f32_e32 v3, s2, v5
	global_store_dwordx2 v[0:1], v[2:3], off
.LBB53_22:
	s_endpgm
.LBB53_23:
	s_branch .LBB53_21
	.section	.rodata,"a",@progbits
	.p2align	6, 0x0
	.amdhsa_kernel _ZN9rocsparseL19gebsrmvn_2xn_kernelILj128ELj12ELj32EfEEvi20rocsparse_direction_NS_24const_host_device_scalarIT2_EEPKiS6_PKS3_S8_S4_PS3_21rocsparse_index_base_b
		.amdhsa_group_segment_fixed_size 0
		.amdhsa_private_segment_fixed_size 0
		.amdhsa_kernarg_size 72
		.amdhsa_user_sgpr_count 6
		.amdhsa_user_sgpr_private_segment_buffer 1
		.amdhsa_user_sgpr_dispatch_ptr 0
		.amdhsa_user_sgpr_queue_ptr 0
		.amdhsa_user_sgpr_kernarg_segment_ptr 1
		.amdhsa_user_sgpr_dispatch_id 0
		.amdhsa_user_sgpr_flat_scratch_init 0
		.amdhsa_user_sgpr_private_segment_size 0
		.amdhsa_uses_dynamic_stack 0
		.amdhsa_system_sgpr_private_segment_wavefront_offset 0
		.amdhsa_system_sgpr_workgroup_id_x 1
		.amdhsa_system_sgpr_workgroup_id_y 0
		.amdhsa_system_sgpr_workgroup_id_z 0
		.amdhsa_system_sgpr_workgroup_info 0
		.amdhsa_system_vgpr_workitem_id 0
		.amdhsa_next_free_vgpr 41
		.amdhsa_next_free_sgpr 20
		.amdhsa_reserve_vcc 1
		.amdhsa_reserve_flat_scratch 0
		.amdhsa_float_round_mode_32 0
		.amdhsa_float_round_mode_16_64 0
		.amdhsa_float_denorm_mode_32 3
		.amdhsa_float_denorm_mode_16_64 3
		.amdhsa_dx10_clamp 1
		.amdhsa_ieee_mode 1
		.amdhsa_fp16_overflow 0
		.amdhsa_exception_fp_ieee_invalid_op 0
		.amdhsa_exception_fp_denorm_src 0
		.amdhsa_exception_fp_ieee_div_zero 0
		.amdhsa_exception_fp_ieee_overflow 0
		.amdhsa_exception_fp_ieee_underflow 0
		.amdhsa_exception_fp_ieee_inexact 0
		.amdhsa_exception_int_div_zero 0
	.end_amdhsa_kernel
	.section	.text._ZN9rocsparseL19gebsrmvn_2xn_kernelILj128ELj12ELj32EfEEvi20rocsparse_direction_NS_24const_host_device_scalarIT2_EEPKiS6_PKS3_S8_S4_PS3_21rocsparse_index_base_b,"axG",@progbits,_ZN9rocsparseL19gebsrmvn_2xn_kernelILj128ELj12ELj32EfEEvi20rocsparse_direction_NS_24const_host_device_scalarIT2_EEPKiS6_PKS3_S8_S4_PS3_21rocsparse_index_base_b,comdat
.Lfunc_end53:
	.size	_ZN9rocsparseL19gebsrmvn_2xn_kernelILj128ELj12ELj32EfEEvi20rocsparse_direction_NS_24const_host_device_scalarIT2_EEPKiS6_PKS3_S8_S4_PS3_21rocsparse_index_base_b, .Lfunc_end53-_ZN9rocsparseL19gebsrmvn_2xn_kernelILj128ELj12ELj32EfEEvi20rocsparse_direction_NS_24const_host_device_scalarIT2_EEPKiS6_PKS3_S8_S4_PS3_21rocsparse_index_base_b
                                        ; -- End function
	.set _ZN9rocsparseL19gebsrmvn_2xn_kernelILj128ELj12ELj32EfEEvi20rocsparse_direction_NS_24const_host_device_scalarIT2_EEPKiS6_PKS3_S8_S4_PS3_21rocsparse_index_base_b.num_vgpr, 41
	.set _ZN9rocsparseL19gebsrmvn_2xn_kernelILj128ELj12ELj32EfEEvi20rocsparse_direction_NS_24const_host_device_scalarIT2_EEPKiS6_PKS3_S8_S4_PS3_21rocsparse_index_base_b.num_agpr, 0
	.set _ZN9rocsparseL19gebsrmvn_2xn_kernelILj128ELj12ELj32EfEEvi20rocsparse_direction_NS_24const_host_device_scalarIT2_EEPKiS6_PKS3_S8_S4_PS3_21rocsparse_index_base_b.numbered_sgpr, 20
	.set _ZN9rocsparseL19gebsrmvn_2xn_kernelILj128ELj12ELj32EfEEvi20rocsparse_direction_NS_24const_host_device_scalarIT2_EEPKiS6_PKS3_S8_S4_PS3_21rocsparse_index_base_b.num_named_barrier, 0
	.set _ZN9rocsparseL19gebsrmvn_2xn_kernelILj128ELj12ELj32EfEEvi20rocsparse_direction_NS_24const_host_device_scalarIT2_EEPKiS6_PKS3_S8_S4_PS3_21rocsparse_index_base_b.private_seg_size, 0
	.set _ZN9rocsparseL19gebsrmvn_2xn_kernelILj128ELj12ELj32EfEEvi20rocsparse_direction_NS_24const_host_device_scalarIT2_EEPKiS6_PKS3_S8_S4_PS3_21rocsparse_index_base_b.uses_vcc, 1
	.set _ZN9rocsparseL19gebsrmvn_2xn_kernelILj128ELj12ELj32EfEEvi20rocsparse_direction_NS_24const_host_device_scalarIT2_EEPKiS6_PKS3_S8_S4_PS3_21rocsparse_index_base_b.uses_flat_scratch, 0
	.set _ZN9rocsparseL19gebsrmvn_2xn_kernelILj128ELj12ELj32EfEEvi20rocsparse_direction_NS_24const_host_device_scalarIT2_EEPKiS6_PKS3_S8_S4_PS3_21rocsparse_index_base_b.has_dyn_sized_stack, 0
	.set _ZN9rocsparseL19gebsrmvn_2xn_kernelILj128ELj12ELj32EfEEvi20rocsparse_direction_NS_24const_host_device_scalarIT2_EEPKiS6_PKS3_S8_S4_PS3_21rocsparse_index_base_b.has_recursion, 0
	.set _ZN9rocsparseL19gebsrmvn_2xn_kernelILj128ELj12ELj32EfEEvi20rocsparse_direction_NS_24const_host_device_scalarIT2_EEPKiS6_PKS3_S8_S4_PS3_21rocsparse_index_base_b.has_indirect_call, 0
	.section	.AMDGPU.csdata,"",@progbits
; Kernel info:
; codeLenInByte = 1988
; TotalNumSgprs: 24
; NumVgprs: 41
; ScratchSize: 0
; MemoryBound: 0
; FloatMode: 240
; IeeeMode: 1
; LDSByteSize: 0 bytes/workgroup (compile time only)
; SGPRBlocks: 2
; VGPRBlocks: 10
; NumSGPRsForWavesPerEU: 24
; NumVGPRsForWavesPerEU: 41
; Occupancy: 5
; WaveLimiterHint : 1
; COMPUTE_PGM_RSRC2:SCRATCH_EN: 0
; COMPUTE_PGM_RSRC2:USER_SGPR: 6
; COMPUTE_PGM_RSRC2:TRAP_HANDLER: 0
; COMPUTE_PGM_RSRC2:TGID_X_EN: 1
; COMPUTE_PGM_RSRC2:TGID_Y_EN: 0
; COMPUTE_PGM_RSRC2:TGID_Z_EN: 0
; COMPUTE_PGM_RSRC2:TIDIG_COMP_CNT: 0
	.section	.text._ZN9rocsparseL19gebsrmvn_2xn_kernelILj128ELj12ELj64EfEEvi20rocsparse_direction_NS_24const_host_device_scalarIT2_EEPKiS6_PKS3_S8_S4_PS3_21rocsparse_index_base_b,"axG",@progbits,_ZN9rocsparseL19gebsrmvn_2xn_kernelILj128ELj12ELj64EfEEvi20rocsparse_direction_NS_24const_host_device_scalarIT2_EEPKiS6_PKS3_S8_S4_PS3_21rocsparse_index_base_b,comdat
	.globl	_ZN9rocsparseL19gebsrmvn_2xn_kernelILj128ELj12ELj64EfEEvi20rocsparse_direction_NS_24const_host_device_scalarIT2_EEPKiS6_PKS3_S8_S4_PS3_21rocsparse_index_base_b ; -- Begin function _ZN9rocsparseL19gebsrmvn_2xn_kernelILj128ELj12ELj64EfEEvi20rocsparse_direction_NS_24const_host_device_scalarIT2_EEPKiS6_PKS3_S8_S4_PS3_21rocsparse_index_base_b
	.p2align	8
	.type	_ZN9rocsparseL19gebsrmvn_2xn_kernelILj128ELj12ELj64EfEEvi20rocsparse_direction_NS_24const_host_device_scalarIT2_EEPKiS6_PKS3_S8_S4_PS3_21rocsparse_index_base_b,@function
_ZN9rocsparseL19gebsrmvn_2xn_kernelILj128ELj12ELj64EfEEvi20rocsparse_direction_NS_24const_host_device_scalarIT2_EEPKiS6_PKS3_S8_S4_PS3_21rocsparse_index_base_b: ; @_ZN9rocsparseL19gebsrmvn_2xn_kernelILj128ELj12ELj64EfEEvi20rocsparse_direction_NS_24const_host_device_scalarIT2_EEPKiS6_PKS3_S8_S4_PS3_21rocsparse_index_base_b
; %bb.0:
	s_load_dwordx2 s[18:19], s[4:5], 0x40
	s_load_dwordx2 s[16:17], s[4:5], 0x8
	;; [unrolled: 1-line block ×3, first 2 shown]
	s_waitcnt lgkmcnt(0)
	s_bitcmp1_b32 s19, 0
	s_cselect_b64 s[8:9], -1, 0
	s_xor_b64 s[0:1], s[8:9], -1
	s_and_b64 vcc, exec, s[8:9]
	s_cbranch_vccnz .LBB54_2
; %bb.1:
	s_load_dword s16, s[16:17], 0x0
.LBB54_2:
	s_andn2_b64 vcc, exec, s[0:1]
	s_cbranch_vccnz .LBB54_4
; %bb.3:
	s_load_dword s2, s[2:3], 0x0
.LBB54_4:
	s_waitcnt lgkmcnt(0)
	v_cmp_eq_f32_e64 s[0:1], s16, 0
	v_cmp_eq_f32_e64 s[8:9], s2, 1.0
	s_and_b64 s[0:1], s[0:1], s[8:9]
	s_and_b64 vcc, exec, s[0:1]
	s_cbranch_vccnz .LBB54_22
; %bb.5:
	s_load_dwordx2 s[0:1], s[4:5], 0x0
	v_lshrrev_b32_e32 v1, 6, v0
	v_lshl_or_b32 v1, s6, 1, v1
	s_waitcnt lgkmcnt(0)
	v_cmp_gt_i32_e32 vcc, s0, v1
	s_and_saveexec_b64 s[6:7], vcc
	s_cbranch_execz .LBB54_22
; %bb.6:
	s_load_dwordx8 s[8:15], s[4:5], 0x10
	v_ashrrev_i32_e32 v2, 31, v1
	v_lshlrev_b64 v[2:3], 2, v[1:2]
	v_and_b32_e32 v0, 63, v0
	s_cmp_lg_u32 s1, 0
	s_waitcnt lgkmcnt(0)
	v_mov_b32_e32 v4, s9
	v_add_co_u32_e32 v2, vcc, s8, v2
	v_addc_co_u32_e32 v3, vcc, v4, v3, vcc
	global_load_dwordx2 v[2:3], v[2:3], off
	s_waitcnt vmcnt(0)
	v_subrev_u32_e32 v2, s18, v2
	v_subrev_u32_e32 v9, s18, v3
	v_add_u32_e32 v2, v2, v0
	v_cmp_lt_i32_e64 s[0:1], v2, v9
	s_cbranch_scc0 .LBB54_12
; %bb.7:
	v_mov_b32_e32 v11, 0
	v_mov_b32_e32 v10, 0
	s_and_saveexec_b64 s[6:7], s[0:1]
	s_cbranch_execz .LBB54_11
; %bb.8:
	v_mad_u64_u32 v[3:4], s[8:9], v2, 24, 22
	v_mov_b32_e32 v6, 0
	s_mov_b64 s[8:9], 0
	v_mov_b32_e32 v12, s11
	v_mov_b32_e32 v13, s13
	;; [unrolled: 1-line block ×6, first 2 shown]
.LBB54_9:                               ; =>This Inner Loop Header: Depth=1
	v_ashrrev_i32_e32 v8, 31, v7
	v_lshlrev_b64 v[15:16], 2, v[7:8]
	v_subrev_u32_e32 v5, 22, v3
	v_lshlrev_b64 v[17:18], 2, v[5:6]
	v_add_co_u32_e32 v23, vcc, s10, v15
	v_mov_b32_e32 v4, v6
	v_addc_co_u32_e32 v24, vcc, v12, v16, vcc
	v_lshlrev_b64 v[19:20], 2, v[3:4]
	v_add_co_u32_e32 v25, vcc, s12, v17
	v_addc_co_u32_e32 v26, vcc, v13, v18, vcc
	v_add_co_u32_e32 v29, vcc, s12, v19
	v_addc_co_u32_e32 v30, vcc, v13, v20, vcc
	global_load_dword v8, v[23:24], off
	global_load_dwordx4 v[15:18], v[25:26], off
	global_load_dwordx4 v[19:22], v[25:26], off offset:16
	v_add_u32_e32 v5, -14, v3
	v_lshlrev_b64 v[4:5], 2, v[5:6]
	v_mov_b32_e32 v28, v6
	v_add_co_u32_e32 v31, vcc, s12, v4
	v_addc_co_u32_e32 v32, vcc, v13, v5, vcc
	v_add_u32_e32 v7, 64, v7
	s_waitcnt vmcnt(2)
	v_subrev_u32_e32 v4, s18, v8
	v_mul_lo_u32 v27, v4, 12
	v_lshlrev_b64 v[23:24], 2, v[27:28]
	v_add_u32_e32 v5, 4, v27
	v_add_co_u32_e32 v23, vcc, s14, v23
	v_addc_co_u32_e32 v24, vcc, v14, v24, vcc
	global_load_dwordx4 v[23:26], v[23:24], off
	v_lshlrev_b64 v[33:34], 2, v[5:6]
	v_add_u32_e32 v5, -12, v3
	s_waitcnt vmcnt(0)
	v_fmac_f32_e32 v11, v15, v23
	v_fmac_f32_e32 v10, v16, v23
	v_lshlrev_b64 v[15:16], 2, v[5:6]
	v_add_co_u32_e32 v23, vcc, s14, v33
	v_fmac_f32_e32 v11, v17, v24
	v_fmac_f32_e32 v10, v18, v24
	v_addc_co_u32_e32 v24, vcc, v14, v34, vcc
	v_add_u32_e32 v5, -10, v3
	v_add_co_u32_e32 v33, vcc, s12, v15
	v_addc_co_u32_e32 v34, vcc, v13, v16, vcc
	v_lshlrev_b64 v[15:16], 2, v[5:6]
	v_add_u32_e32 v5, -8, v3
	v_fmac_f32_e32 v11, v19, v25
	v_lshlrev_b64 v[17:18], 2, v[5:6]
	v_add_co_u32_e32 v19, vcc, s12, v15
	v_fmac_f32_e32 v10, v20, v25
	v_add_u32_e32 v5, -6, v3
	v_addc_co_u32_e32 v20, vcc, v13, v16, vcc
	v_fmac_f32_e32 v11, v21, v26
	v_lshlrev_b64 v[15:16], 2, v[5:6]
	v_add_co_u32_e32 v21, vcc, s12, v17
	v_fmac_f32_e32 v10, v22, v26
	v_add_u32_e32 v5, 8, v27
	v_addc_co_u32_e32 v22, vcc, v13, v18, vcc
	v_lshlrev_b64 v[17:18], 2, v[5:6]
	v_add_co_u32_e32 v25, vcc, s12, v15
	v_add_u32_e32 v5, -4, v3
	v_addc_co_u32_e32 v26, vcc, v13, v16, vcc
	v_lshlrev_b64 v[15:16], 2, v[5:6]
	v_add_co_u32_e32 v27, vcc, s14, v17
	v_addc_co_u32_e32 v28, vcc, v14, v18, vcc
	v_add_co_u32_e32 v35, vcc, s12, v15
	v_addc_co_u32_e32 v36, vcc, v13, v16, vcc
	global_load_dwordx2 v[37:38], v[31:32], off
	global_load_dwordx4 v[15:18], v[23:24], off
	v_add_u32_e32 v5, -2, v3
	v_lshlrev_b64 v[4:5], 2, v[5:6]
	v_add_u32_e32 v3, 0x600, v3
	v_add_co_u32_e32 v4, vcc, s12, v4
	v_addc_co_u32_e32 v5, vcc, v13, v5, vcc
	v_cmp_ge_i32_e32 vcc, v7, v9
	s_or_b64 s[8:9], vcc, s[8:9]
	s_waitcnt vmcnt(0)
	v_fmac_f32_e32 v11, v37, v15
	v_fmac_f32_e32 v10, v38, v15
	global_load_dwordx2 v[23:24], v[33:34], off
	global_load_dwordx2 v[31:32], v[19:20], off
	;; [unrolled: 1-line block ×4, first 2 shown]
	s_waitcnt vmcnt(3)
	v_fmac_f32_e32 v11, v23, v16
	v_fmac_f32_e32 v10, v24, v16
	global_load_dwordx4 v[19:22], v[27:28], off
	global_load_dwordx2 v[15:16], v[35:36], off
	global_load_dwordx2 v[23:24], v[4:5], off
	;; [unrolled: 1-line block ×3, first 2 shown]
	s_waitcnt vmcnt(6)
	v_fmac_f32_e32 v11, v31, v17
	v_fmac_f32_e32 v10, v32, v17
	s_waitcnt vmcnt(5)
	v_fmac_f32_e32 v11, v37, v18
	v_fmac_f32_e32 v10, v38, v18
	;; [unrolled: 3-line block ×6, first 2 shown]
	s_andn2_b64 exec, exec, s[8:9]
	s_cbranch_execnz .LBB54_9
; %bb.10:
	s_or_b64 exec, exec, s[8:9]
.LBB54_11:
	s_or_b64 exec, exec, s[6:7]
	s_cbranch_execz .LBB54_13
	s_branch .LBB54_18
.LBB54_12:
                                        ; implicit-def: $vgpr11
                                        ; implicit-def: $vgpr10
.LBB54_13:
	v_mov_b32_e32 v11, 0
	v_mov_b32_e32 v10, 0
	s_and_saveexec_b64 s[6:7], s[0:1]
	s_cbranch_execz .LBB54_17
; %bb.14:
	v_mad_u64_u32 v[4:5], s[0:1], v2, 24, 23
	v_mov_b32_e32 v7, 0
	s_mov_b64 s[0:1], 0
	v_mov_b32_e32 v8, s11
	v_mov_b32_e32 v12, s13
	;; [unrolled: 1-line block ×5, first 2 shown]
.LBB54_15:                              ; =>This Inner Loop Header: Depth=1
	v_ashrrev_i32_e32 v3, 31, v2
	v_lshlrev_b64 v[16:17], 2, v[2:3]
	v_subrev_u32_e32 v6, 23, v4
	v_lshlrev_b64 v[18:19], 2, v[6:7]
	v_add_co_u32_e32 v22, vcc, s10, v16
	v_addc_co_u32_e32 v23, vcc, v8, v17, vcc
	v_add_u32_e32 v14, -11, v4
	v_mov_b32_e32 v15, v7
	v_add_co_u32_e32 v24, vcc, s12, v18
	v_lshlrev_b64 v[28:29], 2, v[14:15]
	v_addc_co_u32_e32 v25, vcc, v12, v19, vcc
	global_load_dword v3, v[22:23], off
	global_load_dwordx4 v[14:17], v[24:25], off
	global_load_dwordx4 v[18:21], v[24:25], off offset:16
	v_mov_b32_e32 v27, v7
	v_mov_b32_e32 v5, v7
	v_add_u32_e32 v6, -10, v4
	v_add_u32_e32 v2, 64, v2
	s_waitcnt vmcnt(2)
	v_subrev_u32_e32 v3, s18, v3
	v_mul_lo_u32 v26, v3, 12
	v_lshlrev_b64 v[22:23], 2, v[26:27]
	v_add_co_u32_e32 v22, vcc, s14, v22
	v_addc_co_u32_e32 v23, vcc, v13, v23, vcc
	global_load_dwordx4 v[22:25], v[22:23], off
	s_waitcnt vmcnt(0)
	v_fmac_f32_e32 v11, v14, v22
	v_fmac_f32_e32 v11, v15, v23
	;; [unrolled: 1-line block ×3, first 2 shown]
	v_lshlrev_b64 v[14:15], 2, v[4:5]
	v_add_co_u32_e32 v16, vcc, s12, v28
	v_fmac_f32_e32 v11, v17, v25
	v_addc_co_u32_e32 v17, vcc, v12, v29, vcc
	v_add_co_u32_e32 v14, vcc, s12, v14
	v_lshlrev_b64 v[5:6], 2, v[6:7]
	v_addc_co_u32_e32 v15, vcc, v12, v15, vcc
	v_add_co_u32_e32 v27, vcc, s12, v5
	v_addc_co_u32_e32 v28, vcc, v12, v6, vcc
	v_add_u32_e32 v6, -9, v4
	v_lshlrev_b64 v[5:6], 2, v[6:7]
	v_add_co_u32_e32 v29, vcc, s12, v5
	v_addc_co_u32_e32 v30, vcc, v12, v6, vcc
	v_add_u32_e32 v6, -8, v4
	v_lshlrev_b64 v[5:6], 2, v[6:7]
	v_add_co_u32_e32 v31, vcc, s12, v5
	v_addc_co_u32_e32 v32, vcc, v12, v6, vcc
	v_add_u32_e32 v6, 4, v26
	v_lshlrev_b64 v[5:6], 2, v[6:7]
	v_add_co_u32_e32 v33, vcc, s14, v5
	global_load_dword v3, v[16:17], off
	global_load_dword v35, v[14:15], off
	;; [unrolled: 1-line block ×5, first 2 shown]
	v_addc_co_u32_e32 v34, vcc, v13, v6, vcc
	v_add_u32_e32 v6, -7, v4
	v_lshlrev_b64 v[14:15], 2, v[6:7]
	v_add_u32_e32 v6, -6, v4
	s_waitcnt vmcnt(4)
	v_fmac_f32_e32 v10, v3, v22
	s_waitcnt vmcnt(2)
	v_fmac_f32_e32 v10, v5, v23
	;; [unrolled: 2-line block ×3, first 2 shown]
	v_add_co_u32_e32 v24, vcc, s12, v14
	s_waitcnt vmcnt(0)
	v_fmac_f32_e32 v10, v37, v25
	v_addc_co_u32_e32 v25, vcc, v12, v15, vcc
	global_load_dwordx4 v[14:17], v[33:34], off
	v_lshlrev_b64 v[22:23], 2, v[6:7]
	v_add_u32_e32 v6, -5, v4
	global_load_dword v3, v[24:25], off
	s_waitcnt vmcnt(1)
	v_fmac_f32_e32 v11, v18, v14
	v_fmac_f32_e32 v11, v19, v15
	;; [unrolled: 1-line block ×3, first 2 shown]
	v_lshlrev_b64 v[18:19], 2, v[6:7]
	v_add_co_u32_e32 v20, vcc, s12, v22
	v_fmac_f32_e32 v11, v21, v17
	v_add_u32_e32 v6, -4, v4
	v_addc_co_u32_e32 v21, vcc, v12, v23, vcc
	v_lshlrev_b64 v[22:23], 2, v[6:7]
	v_add_co_u32_e32 v18, vcc, s12, v18
	v_addc_co_u32_e32 v19, vcc, v12, v19, vcc
	global_load_dword v5, v[20:21], off
	v_add_u32_e32 v6, -15, v4
	v_add_co_u32_e32 v22, vcc, s12, v22
	v_lshlrev_b64 v[20:21], 2, v[6:7]
	v_add_u32_e32 v6, 8, v26
	v_addc_co_u32_e32 v23, vcc, v12, v23, vcc
	global_load_dword v26, v[18:19], off
	global_load_dword v27, v[22:23], off
	v_lshlrev_b64 v[24:25], 2, v[6:7]
	v_add_co_u32_e32 v18, vcc, s12, v20
	v_add_u32_e32 v6, -3, v4
	v_addc_co_u32_e32 v19, vcc, v12, v21, vcc
	v_add_co_u32_e32 v20, vcc, s14, v24
	v_lshlrev_b64 v[22:23], 2, v[6:7]
	v_addc_co_u32_e32 v21, vcc, v13, v25, vcc
	v_add_u32_e32 v6, -14, v4
	global_load_dword v28, v[18:19], off
	v_add_co_u32_e32 v18, vcc, s12, v22
	s_waitcnt vmcnt(4)
	v_fmac_f32_e32 v10, v3, v14
	v_addc_co_u32_e32 v19, vcc, v12, v23, vcc
	v_lshlrev_b64 v[22:23], 2, v[6:7]
	v_add_u32_e32 v6, -2, v4
	v_lshlrev_b64 v[24:25], 2, v[6:7]
	v_add_u32_e32 v6, -13, v4
	global_load_dword v3, v[18:19], off
	s_waitcnt vmcnt(4)
	v_fmac_f32_e32 v10, v5, v15
	s_waitcnt vmcnt(3)
	v_fmac_f32_e32 v10, v26, v16
	;; [unrolled: 2-line block ×3, first 2 shown]
	global_load_dwordx4 v[14:17], v[20:21], off
	v_add_co_u32_e32 v20, vcc, s12, v22
	v_addc_co_u32_e32 v21, vcc, v12, v23, vcc
	v_lshlrev_b64 v[22:23], 2, v[6:7]
	v_add_co_u32_e32 v18, vcc, s12, v24
	v_add_u32_e32 v6, -1, v4
	v_addc_co_u32_e32 v19, vcc, v12, v25, vcc
	v_lshlrev_b64 v[24:25], 2, v[6:7]
	global_load_dword v26, v[20:21], off
	v_add_co_u32_e32 v20, vcc, s12, v22
	v_add_u32_e32 v6, -12, v4
	v_addc_co_u32_e32 v21, vcc, v12, v23, vcc
	v_add_co_u32_e32 v22, vcc, s12, v24
	v_lshlrev_b64 v[5:6], 2, v[6:7]
	v_addc_co_u32_e32 v23, vcc, v12, v25, vcc
	global_load_dword v24, v[18:19], off
	global_load_dword v25, v[20:21], off
	v_add_co_u32_e32 v5, vcc, s12, v5
	v_addc_co_u32_e32 v6, vcc, v12, v6, vcc
	global_load_dword v18, v[22:23], off
	global_load_dword v19, v[5:6], off
	v_cmp_ge_i32_e32 vcc, v2, v9
	s_or_b64 s[0:1], vcc, s[0:1]
	v_add_u32_e32 v4, 0x600, v4
	s_waitcnt vmcnt(5)
	v_fmac_f32_e32 v11, v28, v14
	v_fmac_f32_e32 v10, v3, v14
	s_waitcnt vmcnt(4)
	v_fmac_f32_e32 v11, v26, v15
	s_waitcnt vmcnt(3)
	;; [unrolled: 2-line block ×5, first 2 shown]
	v_fmac_f32_e32 v11, v19, v17
	v_fmac_f32_e32 v10, v35, v17
	s_andn2_b64 exec, exec, s[0:1]
	s_cbranch_execnz .LBB54_15
; %bb.16:
	s_or_b64 exec, exec, s[0:1]
.LBB54_17:
	s_or_b64 exec, exec, s[6:7]
.LBB54_18:
	v_mov_b32_dpp v2, v11 row_shr:1 row_mask:0xf bank_mask:0xf
	v_mov_b32_dpp v4, v10 row_shr:1 row_mask:0xf bank_mask:0xf
	v_add_f32_e32 v2, v11, v2
	v_add_f32_e32 v4, v10, v4
	v_cmp_eq_u32_e32 vcc, 63, v0
	v_mov_b32_dpp v3, v2 row_shr:2 row_mask:0xf bank_mask:0xf
	v_mov_b32_dpp v5, v4 row_shr:2 row_mask:0xf bank_mask:0xf
	v_add_f32_e32 v2, v2, v3
	v_add_f32_e32 v4, v4, v5
	s_nop 0
	v_mov_b32_dpp v3, v2 row_shr:4 row_mask:0xf bank_mask:0xe
	v_mov_b32_dpp v5, v4 row_shr:4 row_mask:0xf bank_mask:0xe
	v_add_f32_e32 v2, v2, v3
	v_add_f32_e32 v4, v4, v5
	s_nop 0
	;; [unrolled: 5-line block ×3, first 2 shown]
	v_mov_b32_dpp v3, v2 row_bcast:15 row_mask:0xa bank_mask:0xf
	v_mov_b32_dpp v5, v4 row_bcast:15 row_mask:0xa bank_mask:0xf
	v_add_f32_e32 v2, v2, v3
	v_add_f32_e32 v4, v4, v5
	s_nop 0
	v_mov_b32_dpp v3, v2 row_bcast:31 row_mask:0xc bank_mask:0xf
	v_mov_b32_dpp v5, v4 row_bcast:31 row_mask:0xc bank_mask:0xf
	s_and_b64 exec, exec, vcc
	s_cbranch_execz .LBB54_22
; %bb.19:
	s_load_dwordx2 s[0:1], s[4:5], 0x38
	v_add_f32_e32 v0, v2, v3
	v_add_f32_e32 v3, v4, v5
	v_cmp_eq_f32_e64 s[4:5], s2, 0
	s_and_b64 vcc, exec, s[4:5]
	v_mul_f32_e32 v2, s16, v0
	v_mul_f32_e32 v3, s16, v3
	v_lshlrev_b32_e32 v0, 1, v1
	s_cbranch_vccz .LBB54_23
; %bb.20:
	v_ashrrev_i32_e32 v1, 31, v0
	v_lshlrev_b64 v[4:5], 2, v[0:1]
	s_waitcnt lgkmcnt(0)
	v_mov_b32_e32 v1, s1
	v_add_co_u32_e32 v4, vcc, s0, v4
	v_addc_co_u32_e32 v5, vcc, v1, v5, vcc
	global_store_dwordx2 v[4:5], v[2:3], off
	s_cbranch_execnz .LBB54_22
.LBB54_21:
	v_ashrrev_i32_e32 v1, 31, v0
	v_lshlrev_b64 v[0:1], 2, v[0:1]
	s_waitcnt lgkmcnt(0)
	v_mov_b32_e32 v4, s1
	v_add_co_u32_e32 v0, vcc, s0, v0
	v_addc_co_u32_e32 v1, vcc, v4, v1, vcc
	global_load_dwordx2 v[4:5], v[0:1], off
	s_waitcnt vmcnt(0)
	v_fmac_f32_e32 v2, s2, v4
	v_fmac_f32_e32 v3, s2, v5
	global_store_dwordx2 v[0:1], v[2:3], off
.LBB54_22:
	s_endpgm
.LBB54_23:
	s_branch .LBB54_21
	.section	.rodata,"a",@progbits
	.p2align	6, 0x0
	.amdhsa_kernel _ZN9rocsparseL19gebsrmvn_2xn_kernelILj128ELj12ELj64EfEEvi20rocsparse_direction_NS_24const_host_device_scalarIT2_EEPKiS6_PKS3_S8_S4_PS3_21rocsparse_index_base_b
		.amdhsa_group_segment_fixed_size 0
		.amdhsa_private_segment_fixed_size 0
		.amdhsa_kernarg_size 72
		.amdhsa_user_sgpr_count 6
		.amdhsa_user_sgpr_private_segment_buffer 1
		.amdhsa_user_sgpr_dispatch_ptr 0
		.amdhsa_user_sgpr_queue_ptr 0
		.amdhsa_user_sgpr_kernarg_segment_ptr 1
		.amdhsa_user_sgpr_dispatch_id 0
		.amdhsa_user_sgpr_flat_scratch_init 0
		.amdhsa_user_sgpr_private_segment_size 0
		.amdhsa_uses_dynamic_stack 0
		.amdhsa_system_sgpr_private_segment_wavefront_offset 0
		.amdhsa_system_sgpr_workgroup_id_x 1
		.amdhsa_system_sgpr_workgroup_id_y 0
		.amdhsa_system_sgpr_workgroup_id_z 0
		.amdhsa_system_sgpr_workgroup_info 0
		.amdhsa_system_vgpr_workitem_id 0
		.amdhsa_next_free_vgpr 41
		.amdhsa_next_free_sgpr 20
		.amdhsa_reserve_vcc 1
		.amdhsa_reserve_flat_scratch 0
		.amdhsa_float_round_mode_32 0
		.amdhsa_float_round_mode_16_64 0
		.amdhsa_float_denorm_mode_32 3
		.amdhsa_float_denorm_mode_16_64 3
		.amdhsa_dx10_clamp 1
		.amdhsa_ieee_mode 1
		.amdhsa_fp16_overflow 0
		.amdhsa_exception_fp_ieee_invalid_op 0
		.amdhsa_exception_fp_denorm_src 0
		.amdhsa_exception_fp_ieee_div_zero 0
		.amdhsa_exception_fp_ieee_overflow 0
		.amdhsa_exception_fp_ieee_underflow 0
		.amdhsa_exception_fp_ieee_inexact 0
		.amdhsa_exception_int_div_zero 0
	.end_amdhsa_kernel
	.section	.text._ZN9rocsparseL19gebsrmvn_2xn_kernelILj128ELj12ELj64EfEEvi20rocsparse_direction_NS_24const_host_device_scalarIT2_EEPKiS6_PKS3_S8_S4_PS3_21rocsparse_index_base_b,"axG",@progbits,_ZN9rocsparseL19gebsrmvn_2xn_kernelILj128ELj12ELj64EfEEvi20rocsparse_direction_NS_24const_host_device_scalarIT2_EEPKiS6_PKS3_S8_S4_PS3_21rocsparse_index_base_b,comdat
.Lfunc_end54:
	.size	_ZN9rocsparseL19gebsrmvn_2xn_kernelILj128ELj12ELj64EfEEvi20rocsparse_direction_NS_24const_host_device_scalarIT2_EEPKiS6_PKS3_S8_S4_PS3_21rocsparse_index_base_b, .Lfunc_end54-_ZN9rocsparseL19gebsrmvn_2xn_kernelILj128ELj12ELj64EfEEvi20rocsparse_direction_NS_24const_host_device_scalarIT2_EEPKiS6_PKS3_S8_S4_PS3_21rocsparse_index_base_b
                                        ; -- End function
	.set _ZN9rocsparseL19gebsrmvn_2xn_kernelILj128ELj12ELj64EfEEvi20rocsparse_direction_NS_24const_host_device_scalarIT2_EEPKiS6_PKS3_S8_S4_PS3_21rocsparse_index_base_b.num_vgpr, 41
	.set _ZN9rocsparseL19gebsrmvn_2xn_kernelILj128ELj12ELj64EfEEvi20rocsparse_direction_NS_24const_host_device_scalarIT2_EEPKiS6_PKS3_S8_S4_PS3_21rocsparse_index_base_b.num_agpr, 0
	.set _ZN9rocsparseL19gebsrmvn_2xn_kernelILj128ELj12ELj64EfEEvi20rocsparse_direction_NS_24const_host_device_scalarIT2_EEPKiS6_PKS3_S8_S4_PS3_21rocsparse_index_base_b.numbered_sgpr, 20
	.set _ZN9rocsparseL19gebsrmvn_2xn_kernelILj128ELj12ELj64EfEEvi20rocsparse_direction_NS_24const_host_device_scalarIT2_EEPKiS6_PKS3_S8_S4_PS3_21rocsparse_index_base_b.num_named_barrier, 0
	.set _ZN9rocsparseL19gebsrmvn_2xn_kernelILj128ELj12ELj64EfEEvi20rocsparse_direction_NS_24const_host_device_scalarIT2_EEPKiS6_PKS3_S8_S4_PS3_21rocsparse_index_base_b.private_seg_size, 0
	.set _ZN9rocsparseL19gebsrmvn_2xn_kernelILj128ELj12ELj64EfEEvi20rocsparse_direction_NS_24const_host_device_scalarIT2_EEPKiS6_PKS3_S8_S4_PS3_21rocsparse_index_base_b.uses_vcc, 1
	.set _ZN9rocsparseL19gebsrmvn_2xn_kernelILj128ELj12ELj64EfEEvi20rocsparse_direction_NS_24const_host_device_scalarIT2_EEPKiS6_PKS3_S8_S4_PS3_21rocsparse_index_base_b.uses_flat_scratch, 0
	.set _ZN9rocsparseL19gebsrmvn_2xn_kernelILj128ELj12ELj64EfEEvi20rocsparse_direction_NS_24const_host_device_scalarIT2_EEPKiS6_PKS3_S8_S4_PS3_21rocsparse_index_base_b.has_dyn_sized_stack, 0
	.set _ZN9rocsparseL19gebsrmvn_2xn_kernelILj128ELj12ELj64EfEEvi20rocsparse_direction_NS_24const_host_device_scalarIT2_EEPKiS6_PKS3_S8_S4_PS3_21rocsparse_index_base_b.has_recursion, 0
	.set _ZN9rocsparseL19gebsrmvn_2xn_kernelILj128ELj12ELj64EfEEvi20rocsparse_direction_NS_24const_host_device_scalarIT2_EEPKiS6_PKS3_S8_S4_PS3_21rocsparse_index_base_b.has_indirect_call, 0
	.section	.AMDGPU.csdata,"",@progbits
; Kernel info:
; codeLenInByte = 2016
; TotalNumSgprs: 24
; NumVgprs: 41
; ScratchSize: 0
; MemoryBound: 0
; FloatMode: 240
; IeeeMode: 1
; LDSByteSize: 0 bytes/workgroup (compile time only)
; SGPRBlocks: 2
; VGPRBlocks: 10
; NumSGPRsForWavesPerEU: 24
; NumVGPRsForWavesPerEU: 41
; Occupancy: 5
; WaveLimiterHint : 1
; COMPUTE_PGM_RSRC2:SCRATCH_EN: 0
; COMPUTE_PGM_RSRC2:USER_SGPR: 6
; COMPUTE_PGM_RSRC2:TRAP_HANDLER: 0
; COMPUTE_PGM_RSRC2:TGID_X_EN: 1
; COMPUTE_PGM_RSRC2:TGID_Y_EN: 0
; COMPUTE_PGM_RSRC2:TGID_Z_EN: 0
; COMPUTE_PGM_RSRC2:TIDIG_COMP_CNT: 0
	.section	.text._ZN9rocsparseL19gebsrmvn_2xn_kernelILj128ELj13ELj4EfEEvi20rocsparse_direction_NS_24const_host_device_scalarIT2_EEPKiS6_PKS3_S8_S4_PS3_21rocsparse_index_base_b,"axG",@progbits,_ZN9rocsparseL19gebsrmvn_2xn_kernelILj128ELj13ELj4EfEEvi20rocsparse_direction_NS_24const_host_device_scalarIT2_EEPKiS6_PKS3_S8_S4_PS3_21rocsparse_index_base_b,comdat
	.globl	_ZN9rocsparseL19gebsrmvn_2xn_kernelILj128ELj13ELj4EfEEvi20rocsparse_direction_NS_24const_host_device_scalarIT2_EEPKiS6_PKS3_S8_S4_PS3_21rocsparse_index_base_b ; -- Begin function _ZN9rocsparseL19gebsrmvn_2xn_kernelILj128ELj13ELj4EfEEvi20rocsparse_direction_NS_24const_host_device_scalarIT2_EEPKiS6_PKS3_S8_S4_PS3_21rocsparse_index_base_b
	.p2align	8
	.type	_ZN9rocsparseL19gebsrmvn_2xn_kernelILj128ELj13ELj4EfEEvi20rocsparse_direction_NS_24const_host_device_scalarIT2_EEPKiS6_PKS3_S8_S4_PS3_21rocsparse_index_base_b,@function
_ZN9rocsparseL19gebsrmvn_2xn_kernelILj128ELj13ELj4EfEEvi20rocsparse_direction_NS_24const_host_device_scalarIT2_EEPKiS6_PKS3_S8_S4_PS3_21rocsparse_index_base_b: ; @_ZN9rocsparseL19gebsrmvn_2xn_kernelILj128ELj13ELj4EfEEvi20rocsparse_direction_NS_24const_host_device_scalarIT2_EEPKiS6_PKS3_S8_S4_PS3_21rocsparse_index_base_b
; %bb.0:
	s_load_dwordx2 s[18:19], s[4:5], 0x40
	s_load_dwordx2 s[16:17], s[4:5], 0x8
	;; [unrolled: 1-line block ×3, first 2 shown]
	s_waitcnt lgkmcnt(0)
	s_bitcmp1_b32 s19, 0
	s_cselect_b64 s[8:9], -1, 0
	s_xor_b64 s[0:1], s[8:9], -1
	s_and_b64 vcc, exec, s[8:9]
	s_cbranch_vccnz .LBB55_2
; %bb.1:
	s_load_dword s16, s[16:17], 0x0
.LBB55_2:
	s_andn2_b64 vcc, exec, s[0:1]
	s_cbranch_vccnz .LBB55_4
; %bb.3:
	s_load_dword s2, s[2:3], 0x0
.LBB55_4:
	s_waitcnt lgkmcnt(0)
	v_cmp_eq_f32_e64 s[0:1], s16, 0
	v_cmp_eq_f32_e64 s[8:9], s2, 1.0
	s_and_b64 s[0:1], s[0:1], s[8:9]
	s_and_b64 vcc, exec, s[0:1]
	s_cbranch_vccnz .LBB55_22
; %bb.5:
	s_load_dwordx2 s[0:1], s[4:5], 0x0
	v_lshrrev_b32_e32 v1, 2, v0
	v_lshl_or_b32 v1, s6, 5, v1
	s_waitcnt lgkmcnt(0)
	v_cmp_gt_i32_e32 vcc, s0, v1
	s_and_saveexec_b64 s[6:7], vcc
	s_cbranch_execz .LBB55_22
; %bb.6:
	s_load_dwordx8 s[8:15], s[4:5], 0x10
	v_ashrrev_i32_e32 v2, 31, v1
	v_lshlrev_b64 v[2:3], 2, v[1:2]
	v_and_b32_e32 v0, 3, v0
	s_cmp_lg_u32 s1, 0
	s_waitcnt lgkmcnt(0)
	v_mov_b32_e32 v4, s9
	v_add_co_u32_e32 v2, vcc, s8, v2
	v_addc_co_u32_e32 v3, vcc, v4, v3, vcc
	global_load_dwordx2 v[2:3], v[2:3], off
	s_waitcnt vmcnt(0)
	v_subrev_u32_e32 v2, s18, v2
	v_subrev_u32_e32 v9, s18, v3
	v_add_u32_e32 v2, v2, v0
	v_cmp_lt_i32_e64 s[0:1], v2, v9
	s_cbranch_scc0 .LBB55_12
; %bb.7:
	v_mov_b32_e32 v10, 0
	v_mov_b32_e32 v11, 0
	s_and_saveexec_b64 s[6:7], s[0:1]
	s_cbranch_execz .LBB55_11
; %bb.8:
	v_mad_u64_u32 v[3:4], s[8:9], v2, 26, 24
	v_mov_b32_e32 v6, 0
	s_mov_b64 s[8:9], 0
	v_mov_b32_e32 v12, s11
	v_mov_b32_e32 v13, s13
	;; [unrolled: 1-line block ×6, first 2 shown]
.LBB55_9:                               ; =>This Inner Loop Header: Depth=1
	v_ashrrev_i32_e32 v8, 31, v7
	v_lshlrev_b64 v[17:18], 2, v[7:8]
	v_subrev_u32_e32 v5, 24, v3
	v_add_co_u32_e32 v17, vcc, s10, v17
	v_addc_co_u32_e32 v18, vcc, v12, v18, vcc
	global_load_dword v8, v[17:18], off
	v_lshlrev_b64 v[19:20], 2, v[5:6]
	v_mov_b32_e32 v16, v6
	v_add_co_u32_e32 v19, vcc, s12, v19
	v_addc_co_u32_e32 v20, vcc, v13, v20, vcc
	v_mov_b32_e32 v4, v6
	v_lshlrev_b64 v[21:22], 2, v[3:4]
	v_subrev_u32_e32 v5, 22, v3
	v_add_u32_e32 v7, 4, v7
	s_waitcnt vmcnt(0)
	v_subrev_u32_e32 v8, s18, v8
	v_mul_lo_u32 v15, v8, 13
	v_lshlrev_b64 v[16:17], 2, v[15:16]
	v_add_co_u32_e32 v16, vcc, s14, v16
	v_addc_co_u32_e32 v17, vcc, v14, v17, vcc
	global_load_dwordx2 v[23:24], v[19:20], off
	global_load_dword v4, v[16:17], off
	v_add_co_u32_e32 v16, vcc, s12, v21
	v_addc_co_u32_e32 v17, vcc, v13, v22, vcc
	s_waitcnt vmcnt(0)
	v_fmac_f32_e32 v10, v23, v4
	v_fmac_f32_e32 v11, v24, v4
	v_lshlrev_b64 v[4:5], 2, v[5:6]
	v_add_co_u32_e32 v18, vcc, s12, v4
	v_addc_co_u32_e32 v19, vcc, v13, v5, vcc
	v_add_u32_e32 v5, 1, v15
	v_lshlrev_b64 v[4:5], 2, v[5:6]
	global_load_dwordx2 v[18:19], v[18:19], off
	v_add_co_u32_e32 v20, vcc, s14, v4
	v_addc_co_u32_e32 v21, vcc, v14, v5, vcc
	global_load_dword v4, v[20:21], off
	v_subrev_u32_e32 v5, 20, v3
	s_waitcnt vmcnt(0)
	v_fmac_f32_e32 v10, v18, v4
	v_fmac_f32_e32 v11, v19, v4
	v_lshlrev_b64 v[18:19], 2, v[5:6]
	v_add_u32_e32 v5, 2, v15
	v_add_co_u32_e32 v18, vcc, s12, v18
	v_lshlrev_b64 v[4:5], 2, v[5:6]
	v_addc_co_u32_e32 v19, vcc, v13, v19, vcc
	v_add_co_u32_e32 v20, vcc, s14, v4
	v_addc_co_u32_e32 v21, vcc, v14, v5, vcc
	global_load_dwordx2 v[22:23], v[18:19], off
	global_load_dword v4, v[20:21], off
	v_subrev_u32_e32 v5, 18, v3
	v_lshlrev_b64 v[18:19], 2, v[5:6]
	v_add_u32_e32 v5, 3, v15
	v_add_co_u32_e32 v18, vcc, s12, v18
	v_addc_co_u32_e32 v19, vcc, v13, v19, vcc
	s_waitcnt vmcnt(0)
	v_fmac_f32_e32 v10, v22, v4
	v_fmac_f32_e32 v11, v23, v4
	v_lshlrev_b64 v[4:5], 2, v[5:6]
	v_add_co_u32_e32 v20, vcc, s14, v4
	v_addc_co_u32_e32 v21, vcc, v14, v5, vcc
	global_load_dwordx2 v[22:23], v[18:19], off
	global_load_dword v4, v[20:21], off
	v_add_u32_e32 v5, -16, v3
	v_lshlrev_b64 v[18:19], 2, v[5:6]
	v_add_u32_e32 v5, 4, v15
	v_add_co_u32_e32 v18, vcc, s12, v18
	v_addc_co_u32_e32 v19, vcc, v13, v19, vcc
	s_waitcnt vmcnt(0)
	v_fmac_f32_e32 v10, v22, v4
	v_fmac_f32_e32 v11, v23, v4
	v_lshlrev_b64 v[4:5], 2, v[5:6]
	v_add_co_u32_e32 v20, vcc, s14, v4
	v_addc_co_u32_e32 v21, vcc, v14, v5, vcc
	global_load_dwordx2 v[22:23], v[18:19], off
	global_load_dword v4, v[20:21], off
	v_add_u32_e32 v5, -14, v3
	;; [unrolled: 13-line block ×8, first 2 shown]
	v_lshlrev_b64 v[18:19], 2, v[5:6]
	v_add_u32_e32 v5, 11, v15
	v_lshlrev_b64 v[20:21], 2, v[5:6]
	v_add_co_u32_e32 v18, vcc, s12, v18
	v_add_u32_e32 v5, 12, v15
	v_addc_co_u32_e32 v19, vcc, v13, v19, vcc
	v_add_co_u32_e32 v20, vcc, s14, v20
	v_addc_co_u32_e32 v21, vcc, v14, v21, vcc
	v_add_u32_e32 v3, 0x68, v3
	s_waitcnt vmcnt(0)
	v_fmac_f32_e32 v10, v22, v4
	v_fmac_f32_e32 v11, v23, v4
	v_lshlrev_b64 v[4:5], 2, v[5:6]
	v_add_co_u32_e32 v4, vcc, s14, v4
	v_addc_co_u32_e32 v5, vcc, v14, v5, vcc
	global_load_dwordx2 v[22:23], v[16:17], off
	global_load_dwordx2 v[24:25], v[18:19], off
	global_load_dword v8, v[20:21], off
	global_load_dword v15, v[4:5], off
	v_cmp_ge_i32_e32 vcc, v7, v9
	s_or_b64 s[8:9], vcc, s[8:9]
	s_waitcnt vmcnt(1)
	v_fmac_f32_e32 v10, v24, v8
	v_fmac_f32_e32 v11, v25, v8
	s_waitcnt vmcnt(0)
	v_fmac_f32_e32 v10, v22, v15
	v_fmac_f32_e32 v11, v23, v15
	s_andn2_b64 exec, exec, s[8:9]
	s_cbranch_execnz .LBB55_9
; %bb.10:
	s_or_b64 exec, exec, s[8:9]
.LBB55_11:
	s_or_b64 exec, exec, s[6:7]
	s_cbranch_execz .LBB55_13
	s_branch .LBB55_18
.LBB55_12:
                                        ; implicit-def: $vgpr10
                                        ; implicit-def: $vgpr11
.LBB55_13:
	v_mov_b32_e32 v10, 0
	v_mov_b32_e32 v11, 0
	s_and_saveexec_b64 s[6:7], s[0:1]
	s_cbranch_execz .LBB55_17
; %bb.14:
	v_mad_u64_u32 v[4:5], s[0:1], v2, 26, 25
	v_mov_b32_e32 v6, 0
	s_mov_b64 s[0:1], 0
	v_mov_b32_e32 v7, s11
	v_mov_b32_e32 v8, s13
	;; [unrolled: 1-line block ×5, first 2 shown]
.LBB55_15:                              ; =>This Inner Loop Header: Depth=1
	v_ashrrev_i32_e32 v3, 31, v2
	v_lshlrev_b64 v[13:14], 2, v[2:3]
	v_subrev_u32_e32 v5, 25, v4
	v_add_co_u32_e32 v13, vcc, s10, v13
	v_addc_co_u32_e32 v14, vcc, v7, v14, vcc
	global_load_dword v3, v[13:14], off
	v_lshlrev_b64 v[16:17], 2, v[5:6]
	v_mov_b32_e32 v14, v6
	v_add_co_u32_e32 v16, vcc, s12, v16
	v_addc_co_u32_e32 v17, vcc, v8, v17, vcc
	global_load_dwordx2 v[16:17], v[16:17], off
	v_add_u32_e32 v15, -12, v4
	v_add_u32_e32 v2, 4, v2
	s_waitcnt vmcnt(1)
	v_subrev_u32_e32 v3, s18, v3
	v_mul_lo_u32 v13, v3, 13
	v_lshlrev_b64 v[18:19], 2, v[13:14]
	v_add_co_u32_e32 v18, vcc, s14, v18
	v_addc_co_u32_e32 v19, vcc, v12, v19, vcc
	global_load_dword v3, v[18:19], off
	s_waitcnt vmcnt(0)
	v_fmac_f32_e32 v10, v16, v3
	v_mov_b32_e32 v16, v6
	v_lshlrev_b64 v[14:15], 2, v[15:16]
	v_add_co_u32_e32 v14, vcc, s12, v14
	v_addc_co_u32_e32 v15, vcc, v8, v15, vcc
	global_load_dword v5, v[14:15], off
	s_waitcnt vmcnt(0)
	v_fmac_f32_e32 v11, v5, v3
	v_add_u32_e32 v5, 1, v13
	v_lshlrev_b64 v[14:15], 2, v[5:6]
	v_add_u32_e32 v5, -11, v4
	v_add_co_u32_e32 v14, vcc, s14, v14
	v_addc_co_u32_e32 v15, vcc, v12, v15, vcc
	global_load_dword v3, v[14:15], off
	v_lshlrev_b64 v[14:15], 2, v[5:6]
	v_add_co_u32_e32 v14, vcc, s12, v14
	v_addc_co_u32_e32 v15, vcc, v8, v15, vcc
	global_load_dword v5, v[14:15], off
	s_waitcnt vmcnt(1)
	v_fmac_f32_e32 v10, v17, v3
	s_waitcnt vmcnt(0)
	v_fmac_f32_e32 v11, v5, v3
	v_subrev_u32_e32 v5, 23, v4
	v_lshlrev_b64 v[14:15], 2, v[5:6]
	v_add_u32_e32 v5, 2, v13
	v_add_co_u32_e32 v14, vcc, s12, v14
	v_addc_co_u32_e32 v15, vcc, v8, v15, vcc
	global_load_dword v3, v[14:15], off
	v_lshlrev_b64 v[14:15], 2, v[5:6]
	v_add_u32_e32 v5, -10, v4
	v_add_co_u32_e32 v14, vcc, s14, v14
	v_addc_co_u32_e32 v15, vcc, v12, v15, vcc
	global_load_dword v16, v[14:15], off
	v_lshlrev_b64 v[14:15], 2, v[5:6]
	v_subrev_u32_e32 v5, 22, v4
	v_add_co_u32_e32 v14, vcc, s12, v14
	v_addc_co_u32_e32 v15, vcc, v8, v15, vcc
	s_waitcnt vmcnt(0)
	v_fmac_f32_e32 v10, v3, v16
	global_load_dword v3, v[14:15], off
	v_lshlrev_b64 v[14:15], 2, v[5:6]
	v_add_u32_e32 v5, 3, v13
	v_add_co_u32_e32 v14, vcc, s12, v14
	v_addc_co_u32_e32 v15, vcc, v8, v15, vcc
	s_waitcnt vmcnt(0)
	v_fmac_f32_e32 v11, v3, v16
	global_load_dword v3, v[14:15], off
	v_lshlrev_b64 v[14:15], 2, v[5:6]
	v_add_u32_e32 v5, -9, v4
	v_add_co_u32_e32 v14, vcc, s14, v14
	v_addc_co_u32_e32 v15, vcc, v12, v15, vcc
	global_load_dword v16, v[14:15], off
	v_lshlrev_b64 v[14:15], 2, v[5:6]
	v_subrev_u32_e32 v5, 21, v4
	v_add_co_u32_e32 v14, vcc, s12, v14
	v_addc_co_u32_e32 v15, vcc, v8, v15, vcc
	s_waitcnt vmcnt(0)
	v_fmac_f32_e32 v10, v3, v16
	global_load_dword v3, v[14:15], off
	v_lshlrev_b64 v[14:15], 2, v[5:6]
	v_add_u32_e32 v5, 4, v13
	v_add_co_u32_e32 v14, vcc, s12, v14
	v_addc_co_u32_e32 v15, vcc, v8, v15, vcc
	s_waitcnt vmcnt(0)
	v_fmac_f32_e32 v11, v3, v16
	;; [unrolled: 19-line block ×6, first 2 shown]
	global_load_dword v3, v[14:15], off
	v_lshlrev_b64 v[14:15], 2, v[5:6]
	v_add_u32_e32 v5, -4, v4
	v_add_co_u32_e32 v14, vcc, s14, v14
	v_addc_co_u32_e32 v15, vcc, v12, v15, vcc
	global_load_dword v16, v[14:15], off
	v_lshlrev_b64 v[14:15], 2, v[5:6]
	v_add_u32_e32 v5, -16, v4
	v_add_co_u32_e32 v14, vcc, s12, v14
	v_addc_co_u32_e32 v15, vcc, v8, v15, vcc
	s_waitcnt vmcnt(0)
	v_fmac_f32_e32 v10, v3, v16
	global_load_dword v3, v[14:15], off
	v_lshlrev_b64 v[14:15], 2, v[5:6]
	v_add_u32_e32 v5, 9, v13
	v_add_co_u32_e32 v14, vcc, s12, v14
	v_addc_co_u32_e32 v15, vcc, v8, v15, vcc
	s_waitcnt vmcnt(0)
	v_fmac_f32_e32 v11, v3, v16
	global_load_dword v3, v[14:15], off
	v_lshlrev_b64 v[14:15], 2, v[5:6]
	v_add_u32_e32 v5, -3, v4
	v_add_co_u32_e32 v14, vcc, s14, v14
	v_addc_co_u32_e32 v15, vcc, v12, v15, vcc
	global_load_dword v16, v[14:15], off
	v_lshlrev_b64 v[14:15], 2, v[5:6]
	v_add_u32_e32 v5, -15, v4
	v_add_co_u32_e32 v14, vcc, s12, v14
	v_addc_co_u32_e32 v15, vcc, v8, v15, vcc
	s_waitcnt vmcnt(0)
	v_fmac_f32_e32 v10, v3, v16
	global_load_dword v3, v[14:15], off
	v_lshlrev_b64 v[14:15], 2, v[5:6]
	v_add_u32_e32 v5, 10, v13
	v_add_co_u32_e32 v14, vcc, s12, v14
	v_addc_co_u32_e32 v15, vcc, v8, v15, vcc
	s_waitcnt vmcnt(0)
	v_fmac_f32_e32 v11, v3, v16
	;; [unrolled: 19-line block ×3, first 2 shown]
	global_load_dword v3, v[14:15], off
	v_lshlrev_b64 v[14:15], 2, v[5:6]
	v_add_u32_e32 v5, -1, v4
	v_add_co_u32_e32 v14, vcc, s14, v14
	v_addc_co_u32_e32 v15, vcc, v12, v15, vcc
	global_load_dword v16, v[14:15], off
	v_lshlrev_b64 v[14:15], 2, v[5:6]
	v_add_u32_e32 v5, -13, v4
	v_add_co_u32_e32 v14, vcc, s12, v14
	v_addc_co_u32_e32 v15, vcc, v8, v15, vcc
	s_waitcnt vmcnt(0)
	v_fmac_f32_e32 v10, v3, v16
	global_load_dword v3, v[14:15], off
	v_lshlrev_b64 v[14:15], 2, v[5:6]
	v_add_u32_e32 v5, 12, v13
	v_add_co_u32_e32 v14, vcc, s12, v14
	v_addc_co_u32_e32 v15, vcc, v8, v15, vcc
	global_load_dword v15, v[14:15], off
	v_lshlrev_b64 v[13:14], 2, v[5:6]
	v_mov_b32_e32 v5, v6
	v_add_co_u32_e32 v13, vcc, s14, v13
	v_addc_co_u32_e32 v14, vcc, v12, v14, vcc
	s_waitcnt vmcnt(1)
	v_fmac_f32_e32 v11, v3, v16
	global_load_dword v3, v[13:14], off
	v_lshlrev_b64 v[13:14], 2, v[4:5]
	v_add_u32_e32 v4, 0x68, v4
	v_add_co_u32_e32 v13, vcc, s12, v13
	v_addc_co_u32_e32 v14, vcc, v8, v14, vcc
	global_load_dword v5, v[13:14], off
	v_cmp_ge_i32_e32 vcc, v2, v9
	s_or_b64 s[0:1], vcc, s[0:1]
	s_waitcnt vmcnt(1)
	v_fmac_f32_e32 v10, v15, v3
	s_waitcnt vmcnt(0)
	v_fmac_f32_e32 v11, v5, v3
	s_andn2_b64 exec, exec, s[0:1]
	s_cbranch_execnz .LBB55_15
; %bb.16:
	s_or_b64 exec, exec, s[0:1]
.LBB55_17:
	s_or_b64 exec, exec, s[6:7]
.LBB55_18:
	v_mov_b32_dpp v2, v10 row_shr:1 row_mask:0xf bank_mask:0xf
	v_mov_b32_dpp v4, v11 row_shr:1 row_mask:0xf bank_mask:0xf
	v_add_f32_e32 v2, v10, v2
	v_add_f32_e32 v4, v11, v4
	v_cmp_eq_u32_e32 vcc, 3, v0
	v_mov_b32_dpp v3, v2 row_shr:2 row_mask:0xf bank_mask:0xf
	v_mov_b32_dpp v5, v4 row_shr:2 row_mask:0xf bank_mask:0xf
	s_and_b64 exec, exec, vcc
	s_cbranch_execz .LBB55_22
; %bb.19:
	s_load_dwordx2 s[0:1], s[4:5], 0x38
	v_add_f32_e32 v0, v2, v3
	v_add_f32_e32 v3, v4, v5
	v_cmp_eq_f32_e64 s[4:5], s2, 0
	s_and_b64 vcc, exec, s[4:5]
	v_mul_f32_e32 v2, s16, v0
	v_mul_f32_e32 v3, s16, v3
	v_lshlrev_b32_e32 v0, 1, v1
	s_cbranch_vccz .LBB55_23
; %bb.20:
	v_ashrrev_i32_e32 v1, 31, v0
	v_lshlrev_b64 v[4:5], 2, v[0:1]
	s_waitcnt lgkmcnt(0)
	v_mov_b32_e32 v1, s1
	v_add_co_u32_e32 v4, vcc, s0, v4
	v_addc_co_u32_e32 v5, vcc, v1, v5, vcc
	global_store_dwordx2 v[4:5], v[2:3], off
	s_cbranch_execnz .LBB55_22
.LBB55_21:
	v_ashrrev_i32_e32 v1, 31, v0
	v_lshlrev_b64 v[0:1], 2, v[0:1]
	s_waitcnt lgkmcnt(0)
	v_mov_b32_e32 v4, s1
	v_add_co_u32_e32 v0, vcc, s0, v0
	v_addc_co_u32_e32 v1, vcc, v4, v1, vcc
	global_load_dwordx2 v[4:5], v[0:1], off
	s_waitcnt vmcnt(0)
	v_fmac_f32_e32 v2, s2, v4
	v_fmac_f32_e32 v3, s2, v5
	global_store_dwordx2 v[0:1], v[2:3], off
.LBB55_22:
	s_endpgm
.LBB55_23:
	s_branch .LBB55_21
	.section	.rodata,"a",@progbits
	.p2align	6, 0x0
	.amdhsa_kernel _ZN9rocsparseL19gebsrmvn_2xn_kernelILj128ELj13ELj4EfEEvi20rocsparse_direction_NS_24const_host_device_scalarIT2_EEPKiS6_PKS3_S8_S4_PS3_21rocsparse_index_base_b
		.amdhsa_group_segment_fixed_size 0
		.amdhsa_private_segment_fixed_size 0
		.amdhsa_kernarg_size 72
		.amdhsa_user_sgpr_count 6
		.amdhsa_user_sgpr_private_segment_buffer 1
		.amdhsa_user_sgpr_dispatch_ptr 0
		.amdhsa_user_sgpr_queue_ptr 0
		.amdhsa_user_sgpr_kernarg_segment_ptr 1
		.amdhsa_user_sgpr_dispatch_id 0
		.amdhsa_user_sgpr_flat_scratch_init 0
		.amdhsa_user_sgpr_private_segment_size 0
		.amdhsa_uses_dynamic_stack 0
		.amdhsa_system_sgpr_private_segment_wavefront_offset 0
		.amdhsa_system_sgpr_workgroup_id_x 1
		.amdhsa_system_sgpr_workgroup_id_y 0
		.amdhsa_system_sgpr_workgroup_id_z 0
		.amdhsa_system_sgpr_workgroup_info 0
		.amdhsa_system_vgpr_workitem_id 0
		.amdhsa_next_free_vgpr 26
		.amdhsa_next_free_sgpr 20
		.amdhsa_reserve_vcc 1
		.amdhsa_reserve_flat_scratch 0
		.amdhsa_float_round_mode_32 0
		.amdhsa_float_round_mode_16_64 0
		.amdhsa_float_denorm_mode_32 3
		.amdhsa_float_denorm_mode_16_64 3
		.amdhsa_dx10_clamp 1
		.amdhsa_ieee_mode 1
		.amdhsa_fp16_overflow 0
		.amdhsa_exception_fp_ieee_invalid_op 0
		.amdhsa_exception_fp_denorm_src 0
		.amdhsa_exception_fp_ieee_div_zero 0
		.amdhsa_exception_fp_ieee_overflow 0
		.amdhsa_exception_fp_ieee_underflow 0
		.amdhsa_exception_fp_ieee_inexact 0
		.amdhsa_exception_int_div_zero 0
	.end_amdhsa_kernel
	.section	.text._ZN9rocsparseL19gebsrmvn_2xn_kernelILj128ELj13ELj4EfEEvi20rocsparse_direction_NS_24const_host_device_scalarIT2_EEPKiS6_PKS3_S8_S4_PS3_21rocsparse_index_base_b,"axG",@progbits,_ZN9rocsparseL19gebsrmvn_2xn_kernelILj128ELj13ELj4EfEEvi20rocsparse_direction_NS_24const_host_device_scalarIT2_EEPKiS6_PKS3_S8_S4_PS3_21rocsparse_index_base_b,comdat
.Lfunc_end55:
	.size	_ZN9rocsparseL19gebsrmvn_2xn_kernelILj128ELj13ELj4EfEEvi20rocsparse_direction_NS_24const_host_device_scalarIT2_EEPKiS6_PKS3_S8_S4_PS3_21rocsparse_index_base_b, .Lfunc_end55-_ZN9rocsparseL19gebsrmvn_2xn_kernelILj128ELj13ELj4EfEEvi20rocsparse_direction_NS_24const_host_device_scalarIT2_EEPKiS6_PKS3_S8_S4_PS3_21rocsparse_index_base_b
                                        ; -- End function
	.set _ZN9rocsparseL19gebsrmvn_2xn_kernelILj128ELj13ELj4EfEEvi20rocsparse_direction_NS_24const_host_device_scalarIT2_EEPKiS6_PKS3_S8_S4_PS3_21rocsparse_index_base_b.num_vgpr, 26
	.set _ZN9rocsparseL19gebsrmvn_2xn_kernelILj128ELj13ELj4EfEEvi20rocsparse_direction_NS_24const_host_device_scalarIT2_EEPKiS6_PKS3_S8_S4_PS3_21rocsparse_index_base_b.num_agpr, 0
	.set _ZN9rocsparseL19gebsrmvn_2xn_kernelILj128ELj13ELj4EfEEvi20rocsparse_direction_NS_24const_host_device_scalarIT2_EEPKiS6_PKS3_S8_S4_PS3_21rocsparse_index_base_b.numbered_sgpr, 20
	.set _ZN9rocsparseL19gebsrmvn_2xn_kernelILj128ELj13ELj4EfEEvi20rocsparse_direction_NS_24const_host_device_scalarIT2_EEPKiS6_PKS3_S8_S4_PS3_21rocsparse_index_base_b.num_named_barrier, 0
	.set _ZN9rocsparseL19gebsrmvn_2xn_kernelILj128ELj13ELj4EfEEvi20rocsparse_direction_NS_24const_host_device_scalarIT2_EEPKiS6_PKS3_S8_S4_PS3_21rocsparse_index_base_b.private_seg_size, 0
	.set _ZN9rocsparseL19gebsrmvn_2xn_kernelILj128ELj13ELj4EfEEvi20rocsparse_direction_NS_24const_host_device_scalarIT2_EEPKiS6_PKS3_S8_S4_PS3_21rocsparse_index_base_b.uses_vcc, 1
	.set _ZN9rocsparseL19gebsrmvn_2xn_kernelILj128ELj13ELj4EfEEvi20rocsparse_direction_NS_24const_host_device_scalarIT2_EEPKiS6_PKS3_S8_S4_PS3_21rocsparse_index_base_b.uses_flat_scratch, 0
	.set _ZN9rocsparseL19gebsrmvn_2xn_kernelILj128ELj13ELj4EfEEvi20rocsparse_direction_NS_24const_host_device_scalarIT2_EEPKiS6_PKS3_S8_S4_PS3_21rocsparse_index_base_b.has_dyn_sized_stack, 0
	.set _ZN9rocsparseL19gebsrmvn_2xn_kernelILj128ELj13ELj4EfEEvi20rocsparse_direction_NS_24const_host_device_scalarIT2_EEPKiS6_PKS3_S8_S4_PS3_21rocsparse_index_base_b.has_recursion, 0
	.set _ZN9rocsparseL19gebsrmvn_2xn_kernelILj128ELj13ELj4EfEEvi20rocsparse_direction_NS_24const_host_device_scalarIT2_EEPKiS6_PKS3_S8_S4_PS3_21rocsparse_index_base_b.has_indirect_call, 0
	.section	.AMDGPU.csdata,"",@progbits
; Kernel info:
; codeLenInByte = 2856
; TotalNumSgprs: 24
; NumVgprs: 26
; ScratchSize: 0
; MemoryBound: 0
; FloatMode: 240
; IeeeMode: 1
; LDSByteSize: 0 bytes/workgroup (compile time only)
; SGPRBlocks: 2
; VGPRBlocks: 6
; NumSGPRsForWavesPerEU: 24
; NumVGPRsForWavesPerEU: 26
; Occupancy: 9
; WaveLimiterHint : 1
; COMPUTE_PGM_RSRC2:SCRATCH_EN: 0
; COMPUTE_PGM_RSRC2:USER_SGPR: 6
; COMPUTE_PGM_RSRC2:TRAP_HANDLER: 0
; COMPUTE_PGM_RSRC2:TGID_X_EN: 1
; COMPUTE_PGM_RSRC2:TGID_Y_EN: 0
; COMPUTE_PGM_RSRC2:TGID_Z_EN: 0
; COMPUTE_PGM_RSRC2:TIDIG_COMP_CNT: 0
	.section	.text._ZN9rocsparseL19gebsrmvn_2xn_kernelILj128ELj13ELj8EfEEvi20rocsparse_direction_NS_24const_host_device_scalarIT2_EEPKiS6_PKS3_S8_S4_PS3_21rocsparse_index_base_b,"axG",@progbits,_ZN9rocsparseL19gebsrmvn_2xn_kernelILj128ELj13ELj8EfEEvi20rocsparse_direction_NS_24const_host_device_scalarIT2_EEPKiS6_PKS3_S8_S4_PS3_21rocsparse_index_base_b,comdat
	.globl	_ZN9rocsparseL19gebsrmvn_2xn_kernelILj128ELj13ELj8EfEEvi20rocsparse_direction_NS_24const_host_device_scalarIT2_EEPKiS6_PKS3_S8_S4_PS3_21rocsparse_index_base_b ; -- Begin function _ZN9rocsparseL19gebsrmvn_2xn_kernelILj128ELj13ELj8EfEEvi20rocsparse_direction_NS_24const_host_device_scalarIT2_EEPKiS6_PKS3_S8_S4_PS3_21rocsparse_index_base_b
	.p2align	8
	.type	_ZN9rocsparseL19gebsrmvn_2xn_kernelILj128ELj13ELj8EfEEvi20rocsparse_direction_NS_24const_host_device_scalarIT2_EEPKiS6_PKS3_S8_S4_PS3_21rocsparse_index_base_b,@function
_ZN9rocsparseL19gebsrmvn_2xn_kernelILj128ELj13ELj8EfEEvi20rocsparse_direction_NS_24const_host_device_scalarIT2_EEPKiS6_PKS3_S8_S4_PS3_21rocsparse_index_base_b: ; @_ZN9rocsparseL19gebsrmvn_2xn_kernelILj128ELj13ELj8EfEEvi20rocsparse_direction_NS_24const_host_device_scalarIT2_EEPKiS6_PKS3_S8_S4_PS3_21rocsparse_index_base_b
; %bb.0:
	s_load_dwordx2 s[18:19], s[4:5], 0x40
	s_load_dwordx2 s[16:17], s[4:5], 0x8
	;; [unrolled: 1-line block ×3, first 2 shown]
	s_waitcnt lgkmcnt(0)
	s_bitcmp1_b32 s19, 0
	s_cselect_b64 s[8:9], -1, 0
	s_xor_b64 s[0:1], s[8:9], -1
	s_and_b64 vcc, exec, s[8:9]
	s_cbranch_vccnz .LBB56_2
; %bb.1:
	s_load_dword s16, s[16:17], 0x0
.LBB56_2:
	s_andn2_b64 vcc, exec, s[0:1]
	s_cbranch_vccnz .LBB56_4
; %bb.3:
	s_load_dword s2, s[2:3], 0x0
.LBB56_4:
	s_waitcnt lgkmcnt(0)
	v_cmp_eq_f32_e64 s[0:1], s16, 0
	v_cmp_eq_f32_e64 s[8:9], s2, 1.0
	s_and_b64 s[0:1], s[0:1], s[8:9]
	s_and_b64 vcc, exec, s[0:1]
	s_cbranch_vccnz .LBB56_22
; %bb.5:
	s_load_dwordx2 s[0:1], s[4:5], 0x0
	v_lshrrev_b32_e32 v1, 3, v0
	v_lshl_or_b32 v1, s6, 4, v1
	s_waitcnt lgkmcnt(0)
	v_cmp_gt_i32_e32 vcc, s0, v1
	s_and_saveexec_b64 s[6:7], vcc
	s_cbranch_execz .LBB56_22
; %bb.6:
	s_load_dwordx8 s[8:15], s[4:5], 0x10
	v_ashrrev_i32_e32 v2, 31, v1
	v_lshlrev_b64 v[2:3], 2, v[1:2]
	v_and_b32_e32 v0, 7, v0
	s_cmp_lg_u32 s1, 0
	s_waitcnt lgkmcnt(0)
	v_mov_b32_e32 v4, s9
	v_add_co_u32_e32 v2, vcc, s8, v2
	v_addc_co_u32_e32 v3, vcc, v4, v3, vcc
	global_load_dwordx2 v[2:3], v[2:3], off
	s_waitcnt vmcnt(0)
	v_subrev_u32_e32 v2, s18, v2
	v_subrev_u32_e32 v9, s18, v3
	v_add_u32_e32 v2, v2, v0
	v_cmp_lt_i32_e64 s[0:1], v2, v9
	s_cbranch_scc0 .LBB56_12
; %bb.7:
	v_mov_b32_e32 v10, 0
	v_mov_b32_e32 v11, 0
	s_and_saveexec_b64 s[6:7], s[0:1]
	s_cbranch_execz .LBB56_11
; %bb.8:
	v_mad_u64_u32 v[3:4], s[8:9], v2, 26, 24
	v_mov_b32_e32 v6, 0
	s_mov_b64 s[8:9], 0
	v_mov_b32_e32 v12, s11
	v_mov_b32_e32 v13, s13
	;; [unrolled: 1-line block ×6, first 2 shown]
.LBB56_9:                               ; =>This Inner Loop Header: Depth=1
	v_ashrrev_i32_e32 v8, 31, v7
	v_lshlrev_b64 v[17:18], 2, v[7:8]
	v_subrev_u32_e32 v5, 24, v3
	v_add_co_u32_e32 v17, vcc, s10, v17
	v_addc_co_u32_e32 v18, vcc, v12, v18, vcc
	global_load_dword v8, v[17:18], off
	v_lshlrev_b64 v[19:20], 2, v[5:6]
	v_mov_b32_e32 v16, v6
	v_add_co_u32_e32 v19, vcc, s12, v19
	v_addc_co_u32_e32 v20, vcc, v13, v20, vcc
	v_mov_b32_e32 v4, v6
	v_lshlrev_b64 v[21:22], 2, v[3:4]
	v_subrev_u32_e32 v5, 22, v3
	v_add_u32_e32 v7, 8, v7
	s_waitcnt vmcnt(0)
	v_subrev_u32_e32 v8, s18, v8
	v_mul_lo_u32 v15, v8, 13
	v_lshlrev_b64 v[16:17], 2, v[15:16]
	v_add_co_u32_e32 v16, vcc, s14, v16
	v_addc_co_u32_e32 v17, vcc, v14, v17, vcc
	global_load_dwordx2 v[23:24], v[19:20], off
	global_load_dword v4, v[16:17], off
	v_add_co_u32_e32 v16, vcc, s12, v21
	v_addc_co_u32_e32 v17, vcc, v13, v22, vcc
	s_waitcnt vmcnt(0)
	v_fmac_f32_e32 v10, v23, v4
	v_fmac_f32_e32 v11, v24, v4
	v_lshlrev_b64 v[4:5], 2, v[5:6]
	v_add_co_u32_e32 v18, vcc, s12, v4
	v_addc_co_u32_e32 v19, vcc, v13, v5, vcc
	v_add_u32_e32 v5, 1, v15
	v_lshlrev_b64 v[4:5], 2, v[5:6]
	global_load_dwordx2 v[18:19], v[18:19], off
	v_add_co_u32_e32 v20, vcc, s14, v4
	v_addc_co_u32_e32 v21, vcc, v14, v5, vcc
	global_load_dword v4, v[20:21], off
	v_subrev_u32_e32 v5, 20, v3
	s_waitcnt vmcnt(0)
	v_fmac_f32_e32 v10, v18, v4
	v_fmac_f32_e32 v11, v19, v4
	v_lshlrev_b64 v[18:19], 2, v[5:6]
	v_add_u32_e32 v5, 2, v15
	v_add_co_u32_e32 v18, vcc, s12, v18
	v_lshlrev_b64 v[4:5], 2, v[5:6]
	v_addc_co_u32_e32 v19, vcc, v13, v19, vcc
	v_add_co_u32_e32 v20, vcc, s14, v4
	v_addc_co_u32_e32 v21, vcc, v14, v5, vcc
	global_load_dwordx2 v[22:23], v[18:19], off
	global_load_dword v4, v[20:21], off
	v_subrev_u32_e32 v5, 18, v3
	v_lshlrev_b64 v[18:19], 2, v[5:6]
	v_add_u32_e32 v5, 3, v15
	v_add_co_u32_e32 v18, vcc, s12, v18
	v_addc_co_u32_e32 v19, vcc, v13, v19, vcc
	s_waitcnt vmcnt(0)
	v_fmac_f32_e32 v10, v22, v4
	v_fmac_f32_e32 v11, v23, v4
	v_lshlrev_b64 v[4:5], 2, v[5:6]
	v_add_co_u32_e32 v20, vcc, s14, v4
	v_addc_co_u32_e32 v21, vcc, v14, v5, vcc
	global_load_dwordx2 v[22:23], v[18:19], off
	global_load_dword v4, v[20:21], off
	v_add_u32_e32 v5, -16, v3
	v_lshlrev_b64 v[18:19], 2, v[5:6]
	v_add_u32_e32 v5, 4, v15
	v_add_co_u32_e32 v18, vcc, s12, v18
	v_addc_co_u32_e32 v19, vcc, v13, v19, vcc
	s_waitcnt vmcnt(0)
	v_fmac_f32_e32 v10, v22, v4
	v_fmac_f32_e32 v11, v23, v4
	v_lshlrev_b64 v[4:5], 2, v[5:6]
	v_add_co_u32_e32 v20, vcc, s14, v4
	v_addc_co_u32_e32 v21, vcc, v14, v5, vcc
	global_load_dwordx2 v[22:23], v[18:19], off
	global_load_dword v4, v[20:21], off
	v_add_u32_e32 v5, -14, v3
	;; [unrolled: 13-line block ×8, first 2 shown]
	v_lshlrev_b64 v[18:19], 2, v[5:6]
	v_add_u32_e32 v5, 11, v15
	v_lshlrev_b64 v[20:21], 2, v[5:6]
	v_add_co_u32_e32 v18, vcc, s12, v18
	v_add_u32_e32 v5, 12, v15
	v_addc_co_u32_e32 v19, vcc, v13, v19, vcc
	v_add_co_u32_e32 v20, vcc, s14, v20
	v_addc_co_u32_e32 v21, vcc, v14, v21, vcc
	v_add_u32_e32 v3, 0xd0, v3
	s_waitcnt vmcnt(0)
	v_fmac_f32_e32 v10, v22, v4
	v_fmac_f32_e32 v11, v23, v4
	v_lshlrev_b64 v[4:5], 2, v[5:6]
	v_add_co_u32_e32 v4, vcc, s14, v4
	v_addc_co_u32_e32 v5, vcc, v14, v5, vcc
	global_load_dwordx2 v[22:23], v[16:17], off
	global_load_dwordx2 v[24:25], v[18:19], off
	global_load_dword v8, v[20:21], off
	global_load_dword v15, v[4:5], off
	v_cmp_ge_i32_e32 vcc, v7, v9
	s_or_b64 s[8:9], vcc, s[8:9]
	s_waitcnt vmcnt(1)
	v_fmac_f32_e32 v10, v24, v8
	v_fmac_f32_e32 v11, v25, v8
	s_waitcnt vmcnt(0)
	v_fmac_f32_e32 v10, v22, v15
	v_fmac_f32_e32 v11, v23, v15
	s_andn2_b64 exec, exec, s[8:9]
	s_cbranch_execnz .LBB56_9
; %bb.10:
	s_or_b64 exec, exec, s[8:9]
.LBB56_11:
	s_or_b64 exec, exec, s[6:7]
	s_cbranch_execz .LBB56_13
	s_branch .LBB56_18
.LBB56_12:
                                        ; implicit-def: $vgpr10
                                        ; implicit-def: $vgpr11
.LBB56_13:
	v_mov_b32_e32 v10, 0
	v_mov_b32_e32 v11, 0
	s_and_saveexec_b64 s[6:7], s[0:1]
	s_cbranch_execz .LBB56_17
; %bb.14:
	v_mad_u64_u32 v[4:5], s[0:1], v2, 26, 25
	v_mov_b32_e32 v6, 0
	s_mov_b64 s[0:1], 0
	v_mov_b32_e32 v7, s11
	v_mov_b32_e32 v8, s13
	;; [unrolled: 1-line block ×5, first 2 shown]
.LBB56_15:                              ; =>This Inner Loop Header: Depth=1
	v_ashrrev_i32_e32 v3, 31, v2
	v_lshlrev_b64 v[13:14], 2, v[2:3]
	v_subrev_u32_e32 v5, 25, v4
	v_add_co_u32_e32 v13, vcc, s10, v13
	v_addc_co_u32_e32 v14, vcc, v7, v14, vcc
	global_load_dword v3, v[13:14], off
	v_lshlrev_b64 v[16:17], 2, v[5:6]
	v_mov_b32_e32 v14, v6
	v_add_co_u32_e32 v16, vcc, s12, v16
	v_addc_co_u32_e32 v17, vcc, v8, v17, vcc
	global_load_dwordx2 v[16:17], v[16:17], off
	v_add_u32_e32 v15, -12, v4
	v_add_u32_e32 v2, 8, v2
	s_waitcnt vmcnt(1)
	v_subrev_u32_e32 v3, s18, v3
	v_mul_lo_u32 v13, v3, 13
	v_lshlrev_b64 v[18:19], 2, v[13:14]
	v_add_co_u32_e32 v18, vcc, s14, v18
	v_addc_co_u32_e32 v19, vcc, v12, v19, vcc
	global_load_dword v3, v[18:19], off
	s_waitcnt vmcnt(0)
	v_fmac_f32_e32 v10, v16, v3
	v_mov_b32_e32 v16, v6
	v_lshlrev_b64 v[14:15], 2, v[15:16]
	v_add_co_u32_e32 v14, vcc, s12, v14
	v_addc_co_u32_e32 v15, vcc, v8, v15, vcc
	global_load_dword v5, v[14:15], off
	s_waitcnt vmcnt(0)
	v_fmac_f32_e32 v11, v5, v3
	v_add_u32_e32 v5, 1, v13
	v_lshlrev_b64 v[14:15], 2, v[5:6]
	v_add_u32_e32 v5, -11, v4
	v_add_co_u32_e32 v14, vcc, s14, v14
	v_addc_co_u32_e32 v15, vcc, v12, v15, vcc
	global_load_dword v3, v[14:15], off
	v_lshlrev_b64 v[14:15], 2, v[5:6]
	v_add_co_u32_e32 v14, vcc, s12, v14
	v_addc_co_u32_e32 v15, vcc, v8, v15, vcc
	global_load_dword v5, v[14:15], off
	s_waitcnt vmcnt(1)
	v_fmac_f32_e32 v10, v17, v3
	s_waitcnt vmcnt(0)
	v_fmac_f32_e32 v11, v5, v3
	v_subrev_u32_e32 v5, 23, v4
	v_lshlrev_b64 v[14:15], 2, v[5:6]
	v_add_u32_e32 v5, 2, v13
	v_add_co_u32_e32 v14, vcc, s12, v14
	v_addc_co_u32_e32 v15, vcc, v8, v15, vcc
	global_load_dword v3, v[14:15], off
	v_lshlrev_b64 v[14:15], 2, v[5:6]
	v_add_u32_e32 v5, -10, v4
	v_add_co_u32_e32 v14, vcc, s14, v14
	v_addc_co_u32_e32 v15, vcc, v12, v15, vcc
	global_load_dword v16, v[14:15], off
	v_lshlrev_b64 v[14:15], 2, v[5:6]
	v_subrev_u32_e32 v5, 22, v4
	v_add_co_u32_e32 v14, vcc, s12, v14
	v_addc_co_u32_e32 v15, vcc, v8, v15, vcc
	s_waitcnt vmcnt(0)
	v_fmac_f32_e32 v10, v3, v16
	global_load_dword v3, v[14:15], off
	v_lshlrev_b64 v[14:15], 2, v[5:6]
	v_add_u32_e32 v5, 3, v13
	v_add_co_u32_e32 v14, vcc, s12, v14
	v_addc_co_u32_e32 v15, vcc, v8, v15, vcc
	s_waitcnt vmcnt(0)
	v_fmac_f32_e32 v11, v3, v16
	global_load_dword v3, v[14:15], off
	v_lshlrev_b64 v[14:15], 2, v[5:6]
	v_add_u32_e32 v5, -9, v4
	v_add_co_u32_e32 v14, vcc, s14, v14
	v_addc_co_u32_e32 v15, vcc, v12, v15, vcc
	global_load_dword v16, v[14:15], off
	v_lshlrev_b64 v[14:15], 2, v[5:6]
	v_subrev_u32_e32 v5, 21, v4
	v_add_co_u32_e32 v14, vcc, s12, v14
	v_addc_co_u32_e32 v15, vcc, v8, v15, vcc
	s_waitcnt vmcnt(0)
	v_fmac_f32_e32 v10, v3, v16
	global_load_dword v3, v[14:15], off
	v_lshlrev_b64 v[14:15], 2, v[5:6]
	v_add_u32_e32 v5, 4, v13
	v_add_co_u32_e32 v14, vcc, s12, v14
	v_addc_co_u32_e32 v15, vcc, v8, v15, vcc
	s_waitcnt vmcnt(0)
	v_fmac_f32_e32 v11, v3, v16
	;; [unrolled: 19-line block ×6, first 2 shown]
	global_load_dword v3, v[14:15], off
	v_lshlrev_b64 v[14:15], 2, v[5:6]
	v_add_u32_e32 v5, -4, v4
	v_add_co_u32_e32 v14, vcc, s14, v14
	v_addc_co_u32_e32 v15, vcc, v12, v15, vcc
	global_load_dword v16, v[14:15], off
	v_lshlrev_b64 v[14:15], 2, v[5:6]
	v_add_u32_e32 v5, -16, v4
	v_add_co_u32_e32 v14, vcc, s12, v14
	v_addc_co_u32_e32 v15, vcc, v8, v15, vcc
	s_waitcnt vmcnt(0)
	v_fmac_f32_e32 v10, v3, v16
	global_load_dword v3, v[14:15], off
	v_lshlrev_b64 v[14:15], 2, v[5:6]
	v_add_u32_e32 v5, 9, v13
	v_add_co_u32_e32 v14, vcc, s12, v14
	v_addc_co_u32_e32 v15, vcc, v8, v15, vcc
	s_waitcnt vmcnt(0)
	v_fmac_f32_e32 v11, v3, v16
	global_load_dword v3, v[14:15], off
	v_lshlrev_b64 v[14:15], 2, v[5:6]
	v_add_u32_e32 v5, -3, v4
	v_add_co_u32_e32 v14, vcc, s14, v14
	v_addc_co_u32_e32 v15, vcc, v12, v15, vcc
	global_load_dword v16, v[14:15], off
	v_lshlrev_b64 v[14:15], 2, v[5:6]
	v_add_u32_e32 v5, -15, v4
	v_add_co_u32_e32 v14, vcc, s12, v14
	v_addc_co_u32_e32 v15, vcc, v8, v15, vcc
	s_waitcnt vmcnt(0)
	v_fmac_f32_e32 v10, v3, v16
	global_load_dword v3, v[14:15], off
	v_lshlrev_b64 v[14:15], 2, v[5:6]
	v_add_u32_e32 v5, 10, v13
	v_add_co_u32_e32 v14, vcc, s12, v14
	v_addc_co_u32_e32 v15, vcc, v8, v15, vcc
	s_waitcnt vmcnt(0)
	v_fmac_f32_e32 v11, v3, v16
	;; [unrolled: 19-line block ×3, first 2 shown]
	global_load_dword v3, v[14:15], off
	v_lshlrev_b64 v[14:15], 2, v[5:6]
	v_add_u32_e32 v5, -1, v4
	v_add_co_u32_e32 v14, vcc, s14, v14
	v_addc_co_u32_e32 v15, vcc, v12, v15, vcc
	global_load_dword v16, v[14:15], off
	v_lshlrev_b64 v[14:15], 2, v[5:6]
	v_add_u32_e32 v5, -13, v4
	v_add_co_u32_e32 v14, vcc, s12, v14
	v_addc_co_u32_e32 v15, vcc, v8, v15, vcc
	s_waitcnt vmcnt(0)
	v_fmac_f32_e32 v10, v3, v16
	global_load_dword v3, v[14:15], off
	v_lshlrev_b64 v[14:15], 2, v[5:6]
	v_add_u32_e32 v5, 12, v13
	v_add_co_u32_e32 v14, vcc, s12, v14
	v_addc_co_u32_e32 v15, vcc, v8, v15, vcc
	global_load_dword v15, v[14:15], off
	v_lshlrev_b64 v[13:14], 2, v[5:6]
	v_mov_b32_e32 v5, v6
	v_add_co_u32_e32 v13, vcc, s14, v13
	v_addc_co_u32_e32 v14, vcc, v12, v14, vcc
	s_waitcnt vmcnt(1)
	v_fmac_f32_e32 v11, v3, v16
	global_load_dword v3, v[13:14], off
	v_lshlrev_b64 v[13:14], 2, v[4:5]
	v_add_u32_e32 v4, 0xd0, v4
	v_add_co_u32_e32 v13, vcc, s12, v13
	v_addc_co_u32_e32 v14, vcc, v8, v14, vcc
	global_load_dword v5, v[13:14], off
	v_cmp_ge_i32_e32 vcc, v2, v9
	s_or_b64 s[0:1], vcc, s[0:1]
	s_waitcnt vmcnt(1)
	v_fmac_f32_e32 v10, v15, v3
	s_waitcnt vmcnt(0)
	v_fmac_f32_e32 v11, v5, v3
	s_andn2_b64 exec, exec, s[0:1]
	s_cbranch_execnz .LBB56_15
; %bb.16:
	s_or_b64 exec, exec, s[0:1]
.LBB56_17:
	s_or_b64 exec, exec, s[6:7]
.LBB56_18:
	v_mov_b32_dpp v2, v10 row_shr:1 row_mask:0xf bank_mask:0xf
	v_mov_b32_dpp v4, v11 row_shr:1 row_mask:0xf bank_mask:0xf
	v_add_f32_e32 v2, v10, v2
	v_add_f32_e32 v4, v11, v4
	v_cmp_eq_u32_e32 vcc, 7, v0
	v_mov_b32_dpp v3, v2 row_shr:2 row_mask:0xf bank_mask:0xf
	v_mov_b32_dpp v5, v4 row_shr:2 row_mask:0xf bank_mask:0xf
	v_add_f32_e32 v2, v2, v3
	v_add_f32_e32 v4, v4, v5
	s_nop 0
	v_mov_b32_dpp v3, v2 row_shr:4 row_mask:0xf bank_mask:0xe
	v_mov_b32_dpp v5, v4 row_shr:4 row_mask:0xf bank_mask:0xe
	s_and_b64 exec, exec, vcc
	s_cbranch_execz .LBB56_22
; %bb.19:
	s_load_dwordx2 s[0:1], s[4:5], 0x38
	v_add_f32_e32 v0, v2, v3
	v_add_f32_e32 v3, v4, v5
	v_cmp_eq_f32_e64 s[4:5], s2, 0
	s_and_b64 vcc, exec, s[4:5]
	v_mul_f32_e32 v2, s16, v0
	v_mul_f32_e32 v3, s16, v3
	v_lshlrev_b32_e32 v0, 1, v1
	s_cbranch_vccz .LBB56_23
; %bb.20:
	v_ashrrev_i32_e32 v1, 31, v0
	v_lshlrev_b64 v[4:5], 2, v[0:1]
	s_waitcnt lgkmcnt(0)
	v_mov_b32_e32 v1, s1
	v_add_co_u32_e32 v4, vcc, s0, v4
	v_addc_co_u32_e32 v5, vcc, v1, v5, vcc
	global_store_dwordx2 v[4:5], v[2:3], off
	s_cbranch_execnz .LBB56_22
.LBB56_21:
	v_ashrrev_i32_e32 v1, 31, v0
	v_lshlrev_b64 v[0:1], 2, v[0:1]
	s_waitcnt lgkmcnt(0)
	v_mov_b32_e32 v4, s1
	v_add_co_u32_e32 v0, vcc, s0, v0
	v_addc_co_u32_e32 v1, vcc, v4, v1, vcc
	global_load_dwordx2 v[4:5], v[0:1], off
	s_waitcnt vmcnt(0)
	v_fmac_f32_e32 v2, s2, v4
	v_fmac_f32_e32 v3, s2, v5
	global_store_dwordx2 v[0:1], v[2:3], off
.LBB56_22:
	s_endpgm
.LBB56_23:
	s_branch .LBB56_21
	.section	.rodata,"a",@progbits
	.p2align	6, 0x0
	.amdhsa_kernel _ZN9rocsparseL19gebsrmvn_2xn_kernelILj128ELj13ELj8EfEEvi20rocsparse_direction_NS_24const_host_device_scalarIT2_EEPKiS6_PKS3_S8_S4_PS3_21rocsparse_index_base_b
		.amdhsa_group_segment_fixed_size 0
		.amdhsa_private_segment_fixed_size 0
		.amdhsa_kernarg_size 72
		.amdhsa_user_sgpr_count 6
		.amdhsa_user_sgpr_private_segment_buffer 1
		.amdhsa_user_sgpr_dispatch_ptr 0
		.amdhsa_user_sgpr_queue_ptr 0
		.amdhsa_user_sgpr_kernarg_segment_ptr 1
		.amdhsa_user_sgpr_dispatch_id 0
		.amdhsa_user_sgpr_flat_scratch_init 0
		.amdhsa_user_sgpr_private_segment_size 0
		.amdhsa_uses_dynamic_stack 0
		.amdhsa_system_sgpr_private_segment_wavefront_offset 0
		.amdhsa_system_sgpr_workgroup_id_x 1
		.amdhsa_system_sgpr_workgroup_id_y 0
		.amdhsa_system_sgpr_workgroup_id_z 0
		.amdhsa_system_sgpr_workgroup_info 0
		.amdhsa_system_vgpr_workitem_id 0
		.amdhsa_next_free_vgpr 26
		.amdhsa_next_free_sgpr 20
		.amdhsa_reserve_vcc 1
		.amdhsa_reserve_flat_scratch 0
		.amdhsa_float_round_mode_32 0
		.amdhsa_float_round_mode_16_64 0
		.amdhsa_float_denorm_mode_32 3
		.amdhsa_float_denorm_mode_16_64 3
		.amdhsa_dx10_clamp 1
		.amdhsa_ieee_mode 1
		.amdhsa_fp16_overflow 0
		.amdhsa_exception_fp_ieee_invalid_op 0
		.amdhsa_exception_fp_denorm_src 0
		.amdhsa_exception_fp_ieee_div_zero 0
		.amdhsa_exception_fp_ieee_overflow 0
		.amdhsa_exception_fp_ieee_underflow 0
		.amdhsa_exception_fp_ieee_inexact 0
		.amdhsa_exception_int_div_zero 0
	.end_amdhsa_kernel
	.section	.text._ZN9rocsparseL19gebsrmvn_2xn_kernelILj128ELj13ELj8EfEEvi20rocsparse_direction_NS_24const_host_device_scalarIT2_EEPKiS6_PKS3_S8_S4_PS3_21rocsparse_index_base_b,"axG",@progbits,_ZN9rocsparseL19gebsrmvn_2xn_kernelILj128ELj13ELj8EfEEvi20rocsparse_direction_NS_24const_host_device_scalarIT2_EEPKiS6_PKS3_S8_S4_PS3_21rocsparse_index_base_b,comdat
.Lfunc_end56:
	.size	_ZN9rocsparseL19gebsrmvn_2xn_kernelILj128ELj13ELj8EfEEvi20rocsparse_direction_NS_24const_host_device_scalarIT2_EEPKiS6_PKS3_S8_S4_PS3_21rocsparse_index_base_b, .Lfunc_end56-_ZN9rocsparseL19gebsrmvn_2xn_kernelILj128ELj13ELj8EfEEvi20rocsparse_direction_NS_24const_host_device_scalarIT2_EEPKiS6_PKS3_S8_S4_PS3_21rocsparse_index_base_b
                                        ; -- End function
	.set _ZN9rocsparseL19gebsrmvn_2xn_kernelILj128ELj13ELj8EfEEvi20rocsparse_direction_NS_24const_host_device_scalarIT2_EEPKiS6_PKS3_S8_S4_PS3_21rocsparse_index_base_b.num_vgpr, 26
	.set _ZN9rocsparseL19gebsrmvn_2xn_kernelILj128ELj13ELj8EfEEvi20rocsparse_direction_NS_24const_host_device_scalarIT2_EEPKiS6_PKS3_S8_S4_PS3_21rocsparse_index_base_b.num_agpr, 0
	.set _ZN9rocsparseL19gebsrmvn_2xn_kernelILj128ELj13ELj8EfEEvi20rocsparse_direction_NS_24const_host_device_scalarIT2_EEPKiS6_PKS3_S8_S4_PS3_21rocsparse_index_base_b.numbered_sgpr, 20
	.set _ZN9rocsparseL19gebsrmvn_2xn_kernelILj128ELj13ELj8EfEEvi20rocsparse_direction_NS_24const_host_device_scalarIT2_EEPKiS6_PKS3_S8_S4_PS3_21rocsparse_index_base_b.num_named_barrier, 0
	.set _ZN9rocsparseL19gebsrmvn_2xn_kernelILj128ELj13ELj8EfEEvi20rocsparse_direction_NS_24const_host_device_scalarIT2_EEPKiS6_PKS3_S8_S4_PS3_21rocsparse_index_base_b.private_seg_size, 0
	.set _ZN9rocsparseL19gebsrmvn_2xn_kernelILj128ELj13ELj8EfEEvi20rocsparse_direction_NS_24const_host_device_scalarIT2_EEPKiS6_PKS3_S8_S4_PS3_21rocsparse_index_base_b.uses_vcc, 1
	.set _ZN9rocsparseL19gebsrmvn_2xn_kernelILj128ELj13ELj8EfEEvi20rocsparse_direction_NS_24const_host_device_scalarIT2_EEPKiS6_PKS3_S8_S4_PS3_21rocsparse_index_base_b.uses_flat_scratch, 0
	.set _ZN9rocsparseL19gebsrmvn_2xn_kernelILj128ELj13ELj8EfEEvi20rocsparse_direction_NS_24const_host_device_scalarIT2_EEPKiS6_PKS3_S8_S4_PS3_21rocsparse_index_base_b.has_dyn_sized_stack, 0
	.set _ZN9rocsparseL19gebsrmvn_2xn_kernelILj128ELj13ELj8EfEEvi20rocsparse_direction_NS_24const_host_device_scalarIT2_EEPKiS6_PKS3_S8_S4_PS3_21rocsparse_index_base_b.has_recursion, 0
	.set _ZN9rocsparseL19gebsrmvn_2xn_kernelILj128ELj13ELj8EfEEvi20rocsparse_direction_NS_24const_host_device_scalarIT2_EEPKiS6_PKS3_S8_S4_PS3_21rocsparse_index_base_b.has_indirect_call, 0
	.section	.AMDGPU.csdata,"",@progbits
; Kernel info:
; codeLenInByte = 2884
; TotalNumSgprs: 24
; NumVgprs: 26
; ScratchSize: 0
; MemoryBound: 0
; FloatMode: 240
; IeeeMode: 1
; LDSByteSize: 0 bytes/workgroup (compile time only)
; SGPRBlocks: 2
; VGPRBlocks: 6
; NumSGPRsForWavesPerEU: 24
; NumVGPRsForWavesPerEU: 26
; Occupancy: 9
; WaveLimiterHint : 1
; COMPUTE_PGM_RSRC2:SCRATCH_EN: 0
; COMPUTE_PGM_RSRC2:USER_SGPR: 6
; COMPUTE_PGM_RSRC2:TRAP_HANDLER: 0
; COMPUTE_PGM_RSRC2:TGID_X_EN: 1
; COMPUTE_PGM_RSRC2:TGID_Y_EN: 0
; COMPUTE_PGM_RSRC2:TGID_Z_EN: 0
; COMPUTE_PGM_RSRC2:TIDIG_COMP_CNT: 0
	.section	.text._ZN9rocsparseL19gebsrmvn_2xn_kernelILj128ELj13ELj16EfEEvi20rocsparse_direction_NS_24const_host_device_scalarIT2_EEPKiS6_PKS3_S8_S4_PS3_21rocsparse_index_base_b,"axG",@progbits,_ZN9rocsparseL19gebsrmvn_2xn_kernelILj128ELj13ELj16EfEEvi20rocsparse_direction_NS_24const_host_device_scalarIT2_EEPKiS6_PKS3_S8_S4_PS3_21rocsparse_index_base_b,comdat
	.globl	_ZN9rocsparseL19gebsrmvn_2xn_kernelILj128ELj13ELj16EfEEvi20rocsparse_direction_NS_24const_host_device_scalarIT2_EEPKiS6_PKS3_S8_S4_PS3_21rocsparse_index_base_b ; -- Begin function _ZN9rocsparseL19gebsrmvn_2xn_kernelILj128ELj13ELj16EfEEvi20rocsparse_direction_NS_24const_host_device_scalarIT2_EEPKiS6_PKS3_S8_S4_PS3_21rocsparse_index_base_b
	.p2align	8
	.type	_ZN9rocsparseL19gebsrmvn_2xn_kernelILj128ELj13ELj16EfEEvi20rocsparse_direction_NS_24const_host_device_scalarIT2_EEPKiS6_PKS3_S8_S4_PS3_21rocsparse_index_base_b,@function
_ZN9rocsparseL19gebsrmvn_2xn_kernelILj128ELj13ELj16EfEEvi20rocsparse_direction_NS_24const_host_device_scalarIT2_EEPKiS6_PKS3_S8_S4_PS3_21rocsparse_index_base_b: ; @_ZN9rocsparseL19gebsrmvn_2xn_kernelILj128ELj13ELj16EfEEvi20rocsparse_direction_NS_24const_host_device_scalarIT2_EEPKiS6_PKS3_S8_S4_PS3_21rocsparse_index_base_b
; %bb.0:
	s_load_dwordx2 s[18:19], s[4:5], 0x40
	s_load_dwordx2 s[16:17], s[4:5], 0x8
	;; [unrolled: 1-line block ×3, first 2 shown]
	s_waitcnt lgkmcnt(0)
	s_bitcmp1_b32 s19, 0
	s_cselect_b64 s[8:9], -1, 0
	s_xor_b64 s[0:1], s[8:9], -1
	s_and_b64 vcc, exec, s[8:9]
	s_cbranch_vccnz .LBB57_2
; %bb.1:
	s_load_dword s16, s[16:17], 0x0
.LBB57_2:
	s_andn2_b64 vcc, exec, s[0:1]
	s_cbranch_vccnz .LBB57_4
; %bb.3:
	s_load_dword s2, s[2:3], 0x0
.LBB57_4:
	s_waitcnt lgkmcnt(0)
	v_cmp_eq_f32_e64 s[0:1], s16, 0
	v_cmp_eq_f32_e64 s[8:9], s2, 1.0
	s_and_b64 s[0:1], s[0:1], s[8:9]
	s_and_b64 vcc, exec, s[0:1]
	s_cbranch_vccnz .LBB57_22
; %bb.5:
	s_load_dwordx2 s[0:1], s[4:5], 0x0
	v_lshrrev_b32_e32 v1, 4, v0
	v_lshl_or_b32 v1, s6, 3, v1
	s_waitcnt lgkmcnt(0)
	v_cmp_gt_i32_e32 vcc, s0, v1
	s_and_saveexec_b64 s[6:7], vcc
	s_cbranch_execz .LBB57_22
; %bb.6:
	s_load_dwordx8 s[8:15], s[4:5], 0x10
	v_ashrrev_i32_e32 v2, 31, v1
	v_lshlrev_b64 v[2:3], 2, v[1:2]
	v_and_b32_e32 v0, 15, v0
	s_cmp_lg_u32 s1, 0
	s_waitcnt lgkmcnt(0)
	v_mov_b32_e32 v4, s9
	v_add_co_u32_e32 v2, vcc, s8, v2
	v_addc_co_u32_e32 v3, vcc, v4, v3, vcc
	global_load_dwordx2 v[2:3], v[2:3], off
	s_waitcnt vmcnt(0)
	v_subrev_u32_e32 v2, s18, v2
	v_subrev_u32_e32 v9, s18, v3
	v_add_u32_e32 v2, v2, v0
	v_cmp_lt_i32_e64 s[0:1], v2, v9
	s_cbranch_scc0 .LBB57_12
; %bb.7:
	v_mov_b32_e32 v10, 0
	v_mov_b32_e32 v11, 0
	s_and_saveexec_b64 s[6:7], s[0:1]
	s_cbranch_execz .LBB57_11
; %bb.8:
	v_mad_u64_u32 v[3:4], s[8:9], v2, 26, 24
	v_mov_b32_e32 v6, 0
	s_mov_b64 s[8:9], 0
	v_mov_b32_e32 v12, s11
	v_mov_b32_e32 v13, s13
	;; [unrolled: 1-line block ×6, first 2 shown]
.LBB57_9:                               ; =>This Inner Loop Header: Depth=1
	v_ashrrev_i32_e32 v8, 31, v7
	v_lshlrev_b64 v[17:18], 2, v[7:8]
	v_subrev_u32_e32 v5, 24, v3
	v_add_co_u32_e32 v17, vcc, s10, v17
	v_addc_co_u32_e32 v18, vcc, v12, v18, vcc
	global_load_dword v8, v[17:18], off
	v_lshlrev_b64 v[19:20], 2, v[5:6]
	v_mov_b32_e32 v16, v6
	v_add_co_u32_e32 v19, vcc, s12, v19
	v_addc_co_u32_e32 v20, vcc, v13, v20, vcc
	v_mov_b32_e32 v4, v6
	v_lshlrev_b64 v[21:22], 2, v[3:4]
	v_subrev_u32_e32 v5, 22, v3
	v_add_u32_e32 v7, 16, v7
	s_waitcnt vmcnt(0)
	v_subrev_u32_e32 v8, s18, v8
	v_mul_lo_u32 v15, v8, 13
	v_lshlrev_b64 v[16:17], 2, v[15:16]
	v_add_co_u32_e32 v16, vcc, s14, v16
	v_addc_co_u32_e32 v17, vcc, v14, v17, vcc
	global_load_dwordx2 v[23:24], v[19:20], off
	global_load_dword v4, v[16:17], off
	v_add_co_u32_e32 v16, vcc, s12, v21
	v_addc_co_u32_e32 v17, vcc, v13, v22, vcc
	s_waitcnt vmcnt(0)
	v_fmac_f32_e32 v10, v23, v4
	v_fmac_f32_e32 v11, v24, v4
	v_lshlrev_b64 v[4:5], 2, v[5:6]
	v_add_co_u32_e32 v18, vcc, s12, v4
	v_addc_co_u32_e32 v19, vcc, v13, v5, vcc
	v_add_u32_e32 v5, 1, v15
	v_lshlrev_b64 v[4:5], 2, v[5:6]
	global_load_dwordx2 v[18:19], v[18:19], off
	v_add_co_u32_e32 v20, vcc, s14, v4
	v_addc_co_u32_e32 v21, vcc, v14, v5, vcc
	global_load_dword v4, v[20:21], off
	v_subrev_u32_e32 v5, 20, v3
	s_waitcnt vmcnt(0)
	v_fmac_f32_e32 v10, v18, v4
	v_fmac_f32_e32 v11, v19, v4
	v_lshlrev_b64 v[18:19], 2, v[5:6]
	v_add_u32_e32 v5, 2, v15
	v_add_co_u32_e32 v18, vcc, s12, v18
	v_lshlrev_b64 v[4:5], 2, v[5:6]
	v_addc_co_u32_e32 v19, vcc, v13, v19, vcc
	v_add_co_u32_e32 v20, vcc, s14, v4
	v_addc_co_u32_e32 v21, vcc, v14, v5, vcc
	global_load_dwordx2 v[22:23], v[18:19], off
	global_load_dword v4, v[20:21], off
	v_subrev_u32_e32 v5, 18, v3
	v_lshlrev_b64 v[18:19], 2, v[5:6]
	v_add_u32_e32 v5, 3, v15
	v_add_co_u32_e32 v18, vcc, s12, v18
	v_addc_co_u32_e32 v19, vcc, v13, v19, vcc
	s_waitcnt vmcnt(0)
	v_fmac_f32_e32 v10, v22, v4
	v_fmac_f32_e32 v11, v23, v4
	v_lshlrev_b64 v[4:5], 2, v[5:6]
	v_add_co_u32_e32 v20, vcc, s14, v4
	v_addc_co_u32_e32 v21, vcc, v14, v5, vcc
	global_load_dwordx2 v[22:23], v[18:19], off
	global_load_dword v4, v[20:21], off
	v_add_u32_e32 v5, -16, v3
	v_lshlrev_b64 v[18:19], 2, v[5:6]
	v_add_u32_e32 v5, 4, v15
	v_add_co_u32_e32 v18, vcc, s12, v18
	v_addc_co_u32_e32 v19, vcc, v13, v19, vcc
	s_waitcnt vmcnt(0)
	v_fmac_f32_e32 v10, v22, v4
	v_fmac_f32_e32 v11, v23, v4
	v_lshlrev_b64 v[4:5], 2, v[5:6]
	v_add_co_u32_e32 v20, vcc, s14, v4
	v_addc_co_u32_e32 v21, vcc, v14, v5, vcc
	global_load_dwordx2 v[22:23], v[18:19], off
	global_load_dword v4, v[20:21], off
	v_add_u32_e32 v5, -14, v3
	;; [unrolled: 13-line block ×8, first 2 shown]
	v_lshlrev_b64 v[18:19], 2, v[5:6]
	v_add_u32_e32 v5, 11, v15
	v_lshlrev_b64 v[20:21], 2, v[5:6]
	v_add_co_u32_e32 v18, vcc, s12, v18
	v_add_u32_e32 v5, 12, v15
	v_addc_co_u32_e32 v19, vcc, v13, v19, vcc
	v_add_co_u32_e32 v20, vcc, s14, v20
	v_addc_co_u32_e32 v21, vcc, v14, v21, vcc
	v_add_u32_e32 v3, 0x1a0, v3
	s_waitcnt vmcnt(0)
	v_fmac_f32_e32 v10, v22, v4
	v_fmac_f32_e32 v11, v23, v4
	v_lshlrev_b64 v[4:5], 2, v[5:6]
	v_add_co_u32_e32 v4, vcc, s14, v4
	v_addc_co_u32_e32 v5, vcc, v14, v5, vcc
	global_load_dwordx2 v[22:23], v[16:17], off
	global_load_dwordx2 v[24:25], v[18:19], off
	global_load_dword v8, v[20:21], off
	global_load_dword v15, v[4:5], off
	v_cmp_ge_i32_e32 vcc, v7, v9
	s_or_b64 s[8:9], vcc, s[8:9]
	s_waitcnt vmcnt(1)
	v_fmac_f32_e32 v10, v24, v8
	v_fmac_f32_e32 v11, v25, v8
	s_waitcnt vmcnt(0)
	v_fmac_f32_e32 v10, v22, v15
	v_fmac_f32_e32 v11, v23, v15
	s_andn2_b64 exec, exec, s[8:9]
	s_cbranch_execnz .LBB57_9
; %bb.10:
	s_or_b64 exec, exec, s[8:9]
.LBB57_11:
	s_or_b64 exec, exec, s[6:7]
	s_cbranch_execz .LBB57_13
	s_branch .LBB57_18
.LBB57_12:
                                        ; implicit-def: $vgpr10
                                        ; implicit-def: $vgpr11
.LBB57_13:
	v_mov_b32_e32 v10, 0
	v_mov_b32_e32 v11, 0
	s_and_saveexec_b64 s[6:7], s[0:1]
	s_cbranch_execz .LBB57_17
; %bb.14:
	v_mad_u64_u32 v[4:5], s[0:1], v2, 26, 25
	v_mov_b32_e32 v6, 0
	s_mov_b64 s[0:1], 0
	v_mov_b32_e32 v7, s11
	v_mov_b32_e32 v8, s13
	;; [unrolled: 1-line block ×5, first 2 shown]
.LBB57_15:                              ; =>This Inner Loop Header: Depth=1
	v_ashrrev_i32_e32 v3, 31, v2
	v_lshlrev_b64 v[13:14], 2, v[2:3]
	v_subrev_u32_e32 v5, 25, v4
	v_add_co_u32_e32 v13, vcc, s10, v13
	v_addc_co_u32_e32 v14, vcc, v7, v14, vcc
	global_load_dword v3, v[13:14], off
	v_lshlrev_b64 v[16:17], 2, v[5:6]
	v_mov_b32_e32 v14, v6
	v_add_co_u32_e32 v16, vcc, s12, v16
	v_addc_co_u32_e32 v17, vcc, v8, v17, vcc
	global_load_dwordx2 v[16:17], v[16:17], off
	v_add_u32_e32 v15, -12, v4
	v_add_u32_e32 v2, 16, v2
	s_waitcnt vmcnt(1)
	v_subrev_u32_e32 v3, s18, v3
	v_mul_lo_u32 v13, v3, 13
	v_lshlrev_b64 v[18:19], 2, v[13:14]
	v_add_co_u32_e32 v18, vcc, s14, v18
	v_addc_co_u32_e32 v19, vcc, v12, v19, vcc
	global_load_dword v3, v[18:19], off
	s_waitcnt vmcnt(0)
	v_fmac_f32_e32 v10, v16, v3
	v_mov_b32_e32 v16, v6
	v_lshlrev_b64 v[14:15], 2, v[15:16]
	v_add_co_u32_e32 v14, vcc, s12, v14
	v_addc_co_u32_e32 v15, vcc, v8, v15, vcc
	global_load_dword v5, v[14:15], off
	s_waitcnt vmcnt(0)
	v_fmac_f32_e32 v11, v5, v3
	v_add_u32_e32 v5, 1, v13
	v_lshlrev_b64 v[14:15], 2, v[5:6]
	v_add_u32_e32 v5, -11, v4
	v_add_co_u32_e32 v14, vcc, s14, v14
	v_addc_co_u32_e32 v15, vcc, v12, v15, vcc
	global_load_dword v3, v[14:15], off
	v_lshlrev_b64 v[14:15], 2, v[5:6]
	v_add_co_u32_e32 v14, vcc, s12, v14
	v_addc_co_u32_e32 v15, vcc, v8, v15, vcc
	global_load_dword v5, v[14:15], off
	s_waitcnt vmcnt(1)
	v_fmac_f32_e32 v10, v17, v3
	s_waitcnt vmcnt(0)
	v_fmac_f32_e32 v11, v5, v3
	v_subrev_u32_e32 v5, 23, v4
	v_lshlrev_b64 v[14:15], 2, v[5:6]
	v_add_u32_e32 v5, 2, v13
	v_add_co_u32_e32 v14, vcc, s12, v14
	v_addc_co_u32_e32 v15, vcc, v8, v15, vcc
	global_load_dword v3, v[14:15], off
	v_lshlrev_b64 v[14:15], 2, v[5:6]
	v_add_u32_e32 v5, -10, v4
	v_add_co_u32_e32 v14, vcc, s14, v14
	v_addc_co_u32_e32 v15, vcc, v12, v15, vcc
	global_load_dword v16, v[14:15], off
	v_lshlrev_b64 v[14:15], 2, v[5:6]
	v_subrev_u32_e32 v5, 22, v4
	v_add_co_u32_e32 v14, vcc, s12, v14
	v_addc_co_u32_e32 v15, vcc, v8, v15, vcc
	s_waitcnt vmcnt(0)
	v_fmac_f32_e32 v10, v3, v16
	global_load_dword v3, v[14:15], off
	v_lshlrev_b64 v[14:15], 2, v[5:6]
	v_add_u32_e32 v5, 3, v13
	v_add_co_u32_e32 v14, vcc, s12, v14
	v_addc_co_u32_e32 v15, vcc, v8, v15, vcc
	s_waitcnt vmcnt(0)
	v_fmac_f32_e32 v11, v3, v16
	global_load_dword v3, v[14:15], off
	v_lshlrev_b64 v[14:15], 2, v[5:6]
	v_add_u32_e32 v5, -9, v4
	v_add_co_u32_e32 v14, vcc, s14, v14
	v_addc_co_u32_e32 v15, vcc, v12, v15, vcc
	global_load_dword v16, v[14:15], off
	v_lshlrev_b64 v[14:15], 2, v[5:6]
	v_subrev_u32_e32 v5, 21, v4
	v_add_co_u32_e32 v14, vcc, s12, v14
	v_addc_co_u32_e32 v15, vcc, v8, v15, vcc
	s_waitcnt vmcnt(0)
	v_fmac_f32_e32 v10, v3, v16
	global_load_dword v3, v[14:15], off
	v_lshlrev_b64 v[14:15], 2, v[5:6]
	v_add_u32_e32 v5, 4, v13
	v_add_co_u32_e32 v14, vcc, s12, v14
	v_addc_co_u32_e32 v15, vcc, v8, v15, vcc
	s_waitcnt vmcnt(0)
	v_fmac_f32_e32 v11, v3, v16
	;; [unrolled: 19-line block ×6, first 2 shown]
	global_load_dword v3, v[14:15], off
	v_lshlrev_b64 v[14:15], 2, v[5:6]
	v_add_u32_e32 v5, -4, v4
	v_add_co_u32_e32 v14, vcc, s14, v14
	v_addc_co_u32_e32 v15, vcc, v12, v15, vcc
	global_load_dword v16, v[14:15], off
	v_lshlrev_b64 v[14:15], 2, v[5:6]
	v_add_u32_e32 v5, -16, v4
	v_add_co_u32_e32 v14, vcc, s12, v14
	v_addc_co_u32_e32 v15, vcc, v8, v15, vcc
	s_waitcnt vmcnt(0)
	v_fmac_f32_e32 v10, v3, v16
	global_load_dword v3, v[14:15], off
	v_lshlrev_b64 v[14:15], 2, v[5:6]
	v_add_u32_e32 v5, 9, v13
	v_add_co_u32_e32 v14, vcc, s12, v14
	v_addc_co_u32_e32 v15, vcc, v8, v15, vcc
	s_waitcnt vmcnt(0)
	v_fmac_f32_e32 v11, v3, v16
	global_load_dword v3, v[14:15], off
	v_lshlrev_b64 v[14:15], 2, v[5:6]
	v_add_u32_e32 v5, -3, v4
	v_add_co_u32_e32 v14, vcc, s14, v14
	v_addc_co_u32_e32 v15, vcc, v12, v15, vcc
	global_load_dword v16, v[14:15], off
	v_lshlrev_b64 v[14:15], 2, v[5:6]
	v_add_u32_e32 v5, -15, v4
	v_add_co_u32_e32 v14, vcc, s12, v14
	v_addc_co_u32_e32 v15, vcc, v8, v15, vcc
	s_waitcnt vmcnt(0)
	v_fmac_f32_e32 v10, v3, v16
	global_load_dword v3, v[14:15], off
	v_lshlrev_b64 v[14:15], 2, v[5:6]
	v_add_u32_e32 v5, 10, v13
	v_add_co_u32_e32 v14, vcc, s12, v14
	v_addc_co_u32_e32 v15, vcc, v8, v15, vcc
	s_waitcnt vmcnt(0)
	v_fmac_f32_e32 v11, v3, v16
	;; [unrolled: 19-line block ×3, first 2 shown]
	global_load_dword v3, v[14:15], off
	v_lshlrev_b64 v[14:15], 2, v[5:6]
	v_add_u32_e32 v5, -1, v4
	v_add_co_u32_e32 v14, vcc, s14, v14
	v_addc_co_u32_e32 v15, vcc, v12, v15, vcc
	global_load_dword v16, v[14:15], off
	v_lshlrev_b64 v[14:15], 2, v[5:6]
	v_add_u32_e32 v5, -13, v4
	v_add_co_u32_e32 v14, vcc, s12, v14
	v_addc_co_u32_e32 v15, vcc, v8, v15, vcc
	s_waitcnt vmcnt(0)
	v_fmac_f32_e32 v10, v3, v16
	global_load_dword v3, v[14:15], off
	v_lshlrev_b64 v[14:15], 2, v[5:6]
	v_add_u32_e32 v5, 12, v13
	v_add_co_u32_e32 v14, vcc, s12, v14
	v_addc_co_u32_e32 v15, vcc, v8, v15, vcc
	global_load_dword v15, v[14:15], off
	v_lshlrev_b64 v[13:14], 2, v[5:6]
	v_mov_b32_e32 v5, v6
	v_add_co_u32_e32 v13, vcc, s14, v13
	v_addc_co_u32_e32 v14, vcc, v12, v14, vcc
	s_waitcnt vmcnt(1)
	v_fmac_f32_e32 v11, v3, v16
	global_load_dword v3, v[13:14], off
	v_lshlrev_b64 v[13:14], 2, v[4:5]
	v_add_u32_e32 v4, 0x1a0, v4
	v_add_co_u32_e32 v13, vcc, s12, v13
	v_addc_co_u32_e32 v14, vcc, v8, v14, vcc
	global_load_dword v5, v[13:14], off
	v_cmp_ge_i32_e32 vcc, v2, v9
	s_or_b64 s[0:1], vcc, s[0:1]
	s_waitcnt vmcnt(1)
	v_fmac_f32_e32 v10, v15, v3
	s_waitcnt vmcnt(0)
	v_fmac_f32_e32 v11, v5, v3
	s_andn2_b64 exec, exec, s[0:1]
	s_cbranch_execnz .LBB57_15
; %bb.16:
	s_or_b64 exec, exec, s[0:1]
.LBB57_17:
	s_or_b64 exec, exec, s[6:7]
.LBB57_18:
	v_mov_b32_dpp v2, v10 row_shr:1 row_mask:0xf bank_mask:0xf
	v_mov_b32_dpp v4, v11 row_shr:1 row_mask:0xf bank_mask:0xf
	v_add_f32_e32 v2, v10, v2
	v_add_f32_e32 v4, v11, v4
	v_cmp_eq_u32_e32 vcc, 15, v0
	v_mov_b32_dpp v3, v2 row_shr:2 row_mask:0xf bank_mask:0xf
	v_mov_b32_dpp v5, v4 row_shr:2 row_mask:0xf bank_mask:0xf
	v_add_f32_e32 v2, v2, v3
	v_add_f32_e32 v4, v4, v5
	s_nop 0
	v_mov_b32_dpp v3, v2 row_shr:4 row_mask:0xf bank_mask:0xe
	v_mov_b32_dpp v5, v4 row_shr:4 row_mask:0xf bank_mask:0xe
	v_add_f32_e32 v2, v2, v3
	v_add_f32_e32 v4, v4, v5
	s_nop 0
	v_mov_b32_dpp v3, v2 row_shr:8 row_mask:0xf bank_mask:0xc
	v_mov_b32_dpp v5, v4 row_shr:8 row_mask:0xf bank_mask:0xc
	s_and_b64 exec, exec, vcc
	s_cbranch_execz .LBB57_22
; %bb.19:
	s_load_dwordx2 s[0:1], s[4:5], 0x38
	v_add_f32_e32 v0, v2, v3
	v_add_f32_e32 v3, v4, v5
	v_cmp_eq_f32_e64 s[4:5], s2, 0
	s_and_b64 vcc, exec, s[4:5]
	v_mul_f32_e32 v2, s16, v0
	v_mul_f32_e32 v3, s16, v3
	v_lshlrev_b32_e32 v0, 1, v1
	s_cbranch_vccz .LBB57_23
; %bb.20:
	v_ashrrev_i32_e32 v1, 31, v0
	v_lshlrev_b64 v[4:5], 2, v[0:1]
	s_waitcnt lgkmcnt(0)
	v_mov_b32_e32 v1, s1
	v_add_co_u32_e32 v4, vcc, s0, v4
	v_addc_co_u32_e32 v5, vcc, v1, v5, vcc
	global_store_dwordx2 v[4:5], v[2:3], off
	s_cbranch_execnz .LBB57_22
.LBB57_21:
	v_ashrrev_i32_e32 v1, 31, v0
	v_lshlrev_b64 v[0:1], 2, v[0:1]
	s_waitcnt lgkmcnt(0)
	v_mov_b32_e32 v4, s1
	v_add_co_u32_e32 v0, vcc, s0, v0
	v_addc_co_u32_e32 v1, vcc, v4, v1, vcc
	global_load_dwordx2 v[4:5], v[0:1], off
	s_waitcnt vmcnt(0)
	v_fmac_f32_e32 v2, s2, v4
	v_fmac_f32_e32 v3, s2, v5
	global_store_dwordx2 v[0:1], v[2:3], off
.LBB57_22:
	s_endpgm
.LBB57_23:
	s_branch .LBB57_21
	.section	.rodata,"a",@progbits
	.p2align	6, 0x0
	.amdhsa_kernel _ZN9rocsparseL19gebsrmvn_2xn_kernelILj128ELj13ELj16EfEEvi20rocsparse_direction_NS_24const_host_device_scalarIT2_EEPKiS6_PKS3_S8_S4_PS3_21rocsparse_index_base_b
		.amdhsa_group_segment_fixed_size 0
		.amdhsa_private_segment_fixed_size 0
		.amdhsa_kernarg_size 72
		.amdhsa_user_sgpr_count 6
		.amdhsa_user_sgpr_private_segment_buffer 1
		.amdhsa_user_sgpr_dispatch_ptr 0
		.amdhsa_user_sgpr_queue_ptr 0
		.amdhsa_user_sgpr_kernarg_segment_ptr 1
		.amdhsa_user_sgpr_dispatch_id 0
		.amdhsa_user_sgpr_flat_scratch_init 0
		.amdhsa_user_sgpr_private_segment_size 0
		.amdhsa_uses_dynamic_stack 0
		.amdhsa_system_sgpr_private_segment_wavefront_offset 0
		.amdhsa_system_sgpr_workgroup_id_x 1
		.amdhsa_system_sgpr_workgroup_id_y 0
		.amdhsa_system_sgpr_workgroup_id_z 0
		.amdhsa_system_sgpr_workgroup_info 0
		.amdhsa_system_vgpr_workitem_id 0
		.amdhsa_next_free_vgpr 26
		.amdhsa_next_free_sgpr 20
		.amdhsa_reserve_vcc 1
		.amdhsa_reserve_flat_scratch 0
		.amdhsa_float_round_mode_32 0
		.amdhsa_float_round_mode_16_64 0
		.amdhsa_float_denorm_mode_32 3
		.amdhsa_float_denorm_mode_16_64 3
		.amdhsa_dx10_clamp 1
		.amdhsa_ieee_mode 1
		.amdhsa_fp16_overflow 0
		.amdhsa_exception_fp_ieee_invalid_op 0
		.amdhsa_exception_fp_denorm_src 0
		.amdhsa_exception_fp_ieee_div_zero 0
		.amdhsa_exception_fp_ieee_overflow 0
		.amdhsa_exception_fp_ieee_underflow 0
		.amdhsa_exception_fp_ieee_inexact 0
		.amdhsa_exception_int_div_zero 0
	.end_amdhsa_kernel
	.section	.text._ZN9rocsparseL19gebsrmvn_2xn_kernelILj128ELj13ELj16EfEEvi20rocsparse_direction_NS_24const_host_device_scalarIT2_EEPKiS6_PKS3_S8_S4_PS3_21rocsparse_index_base_b,"axG",@progbits,_ZN9rocsparseL19gebsrmvn_2xn_kernelILj128ELj13ELj16EfEEvi20rocsparse_direction_NS_24const_host_device_scalarIT2_EEPKiS6_PKS3_S8_S4_PS3_21rocsparse_index_base_b,comdat
.Lfunc_end57:
	.size	_ZN9rocsparseL19gebsrmvn_2xn_kernelILj128ELj13ELj16EfEEvi20rocsparse_direction_NS_24const_host_device_scalarIT2_EEPKiS6_PKS3_S8_S4_PS3_21rocsparse_index_base_b, .Lfunc_end57-_ZN9rocsparseL19gebsrmvn_2xn_kernelILj128ELj13ELj16EfEEvi20rocsparse_direction_NS_24const_host_device_scalarIT2_EEPKiS6_PKS3_S8_S4_PS3_21rocsparse_index_base_b
                                        ; -- End function
	.set _ZN9rocsparseL19gebsrmvn_2xn_kernelILj128ELj13ELj16EfEEvi20rocsparse_direction_NS_24const_host_device_scalarIT2_EEPKiS6_PKS3_S8_S4_PS3_21rocsparse_index_base_b.num_vgpr, 26
	.set _ZN9rocsparseL19gebsrmvn_2xn_kernelILj128ELj13ELj16EfEEvi20rocsparse_direction_NS_24const_host_device_scalarIT2_EEPKiS6_PKS3_S8_S4_PS3_21rocsparse_index_base_b.num_agpr, 0
	.set _ZN9rocsparseL19gebsrmvn_2xn_kernelILj128ELj13ELj16EfEEvi20rocsparse_direction_NS_24const_host_device_scalarIT2_EEPKiS6_PKS3_S8_S4_PS3_21rocsparse_index_base_b.numbered_sgpr, 20
	.set _ZN9rocsparseL19gebsrmvn_2xn_kernelILj128ELj13ELj16EfEEvi20rocsparse_direction_NS_24const_host_device_scalarIT2_EEPKiS6_PKS3_S8_S4_PS3_21rocsparse_index_base_b.num_named_barrier, 0
	.set _ZN9rocsparseL19gebsrmvn_2xn_kernelILj128ELj13ELj16EfEEvi20rocsparse_direction_NS_24const_host_device_scalarIT2_EEPKiS6_PKS3_S8_S4_PS3_21rocsparse_index_base_b.private_seg_size, 0
	.set _ZN9rocsparseL19gebsrmvn_2xn_kernelILj128ELj13ELj16EfEEvi20rocsparse_direction_NS_24const_host_device_scalarIT2_EEPKiS6_PKS3_S8_S4_PS3_21rocsparse_index_base_b.uses_vcc, 1
	.set _ZN9rocsparseL19gebsrmvn_2xn_kernelILj128ELj13ELj16EfEEvi20rocsparse_direction_NS_24const_host_device_scalarIT2_EEPKiS6_PKS3_S8_S4_PS3_21rocsparse_index_base_b.uses_flat_scratch, 0
	.set _ZN9rocsparseL19gebsrmvn_2xn_kernelILj128ELj13ELj16EfEEvi20rocsparse_direction_NS_24const_host_device_scalarIT2_EEPKiS6_PKS3_S8_S4_PS3_21rocsparse_index_base_b.has_dyn_sized_stack, 0
	.set _ZN9rocsparseL19gebsrmvn_2xn_kernelILj128ELj13ELj16EfEEvi20rocsparse_direction_NS_24const_host_device_scalarIT2_EEPKiS6_PKS3_S8_S4_PS3_21rocsparse_index_base_b.has_recursion, 0
	.set _ZN9rocsparseL19gebsrmvn_2xn_kernelILj128ELj13ELj16EfEEvi20rocsparse_direction_NS_24const_host_device_scalarIT2_EEPKiS6_PKS3_S8_S4_PS3_21rocsparse_index_base_b.has_indirect_call, 0
	.section	.AMDGPU.csdata,"",@progbits
; Kernel info:
; codeLenInByte = 2912
; TotalNumSgprs: 24
; NumVgprs: 26
; ScratchSize: 0
; MemoryBound: 0
; FloatMode: 240
; IeeeMode: 1
; LDSByteSize: 0 bytes/workgroup (compile time only)
; SGPRBlocks: 2
; VGPRBlocks: 6
; NumSGPRsForWavesPerEU: 24
; NumVGPRsForWavesPerEU: 26
; Occupancy: 9
; WaveLimiterHint : 1
; COMPUTE_PGM_RSRC2:SCRATCH_EN: 0
; COMPUTE_PGM_RSRC2:USER_SGPR: 6
; COMPUTE_PGM_RSRC2:TRAP_HANDLER: 0
; COMPUTE_PGM_RSRC2:TGID_X_EN: 1
; COMPUTE_PGM_RSRC2:TGID_Y_EN: 0
; COMPUTE_PGM_RSRC2:TGID_Z_EN: 0
; COMPUTE_PGM_RSRC2:TIDIG_COMP_CNT: 0
	.section	.text._ZN9rocsparseL19gebsrmvn_2xn_kernelILj128ELj13ELj32EfEEvi20rocsparse_direction_NS_24const_host_device_scalarIT2_EEPKiS6_PKS3_S8_S4_PS3_21rocsparse_index_base_b,"axG",@progbits,_ZN9rocsparseL19gebsrmvn_2xn_kernelILj128ELj13ELj32EfEEvi20rocsparse_direction_NS_24const_host_device_scalarIT2_EEPKiS6_PKS3_S8_S4_PS3_21rocsparse_index_base_b,comdat
	.globl	_ZN9rocsparseL19gebsrmvn_2xn_kernelILj128ELj13ELj32EfEEvi20rocsparse_direction_NS_24const_host_device_scalarIT2_EEPKiS6_PKS3_S8_S4_PS3_21rocsparse_index_base_b ; -- Begin function _ZN9rocsparseL19gebsrmvn_2xn_kernelILj128ELj13ELj32EfEEvi20rocsparse_direction_NS_24const_host_device_scalarIT2_EEPKiS6_PKS3_S8_S4_PS3_21rocsparse_index_base_b
	.p2align	8
	.type	_ZN9rocsparseL19gebsrmvn_2xn_kernelILj128ELj13ELj32EfEEvi20rocsparse_direction_NS_24const_host_device_scalarIT2_EEPKiS6_PKS3_S8_S4_PS3_21rocsparse_index_base_b,@function
_ZN9rocsparseL19gebsrmvn_2xn_kernelILj128ELj13ELj32EfEEvi20rocsparse_direction_NS_24const_host_device_scalarIT2_EEPKiS6_PKS3_S8_S4_PS3_21rocsparse_index_base_b: ; @_ZN9rocsparseL19gebsrmvn_2xn_kernelILj128ELj13ELj32EfEEvi20rocsparse_direction_NS_24const_host_device_scalarIT2_EEPKiS6_PKS3_S8_S4_PS3_21rocsparse_index_base_b
; %bb.0:
	s_load_dwordx2 s[18:19], s[4:5], 0x40
	s_load_dwordx2 s[16:17], s[4:5], 0x8
	;; [unrolled: 1-line block ×3, first 2 shown]
	s_waitcnt lgkmcnt(0)
	s_bitcmp1_b32 s19, 0
	s_cselect_b64 s[8:9], -1, 0
	s_xor_b64 s[0:1], s[8:9], -1
	s_and_b64 vcc, exec, s[8:9]
	s_cbranch_vccnz .LBB58_2
; %bb.1:
	s_load_dword s16, s[16:17], 0x0
.LBB58_2:
	s_andn2_b64 vcc, exec, s[0:1]
	s_cbranch_vccnz .LBB58_4
; %bb.3:
	s_load_dword s2, s[2:3], 0x0
.LBB58_4:
	s_waitcnt lgkmcnt(0)
	v_cmp_eq_f32_e64 s[0:1], s16, 0
	v_cmp_eq_f32_e64 s[8:9], s2, 1.0
	s_and_b64 s[0:1], s[0:1], s[8:9]
	s_and_b64 vcc, exec, s[0:1]
	s_cbranch_vccnz .LBB58_22
; %bb.5:
	s_load_dwordx2 s[0:1], s[4:5], 0x0
	v_lshrrev_b32_e32 v1, 5, v0
	v_lshl_or_b32 v1, s6, 2, v1
	s_waitcnt lgkmcnt(0)
	v_cmp_gt_i32_e32 vcc, s0, v1
	s_and_saveexec_b64 s[6:7], vcc
	s_cbranch_execz .LBB58_22
; %bb.6:
	s_load_dwordx8 s[8:15], s[4:5], 0x10
	v_ashrrev_i32_e32 v2, 31, v1
	v_lshlrev_b64 v[2:3], 2, v[1:2]
	v_and_b32_e32 v0, 31, v0
	s_cmp_lg_u32 s1, 0
	s_waitcnt lgkmcnt(0)
	v_mov_b32_e32 v4, s9
	v_add_co_u32_e32 v2, vcc, s8, v2
	v_addc_co_u32_e32 v3, vcc, v4, v3, vcc
	global_load_dwordx2 v[2:3], v[2:3], off
	s_waitcnt vmcnt(0)
	v_subrev_u32_e32 v2, s18, v2
	v_subrev_u32_e32 v9, s18, v3
	v_add_u32_e32 v2, v2, v0
	v_cmp_lt_i32_e64 s[0:1], v2, v9
	s_cbranch_scc0 .LBB58_12
; %bb.7:
	v_mov_b32_e32 v11, 0
	v_mov_b32_e32 v10, 0
	s_and_saveexec_b64 s[6:7], s[0:1]
	s_cbranch_execz .LBB58_11
; %bb.8:
	v_mad_u64_u32 v[3:4], s[8:9], v2, 26, 24
	v_mov_b32_e32 v6, 0
	s_mov_b64 s[8:9], 0
	v_mov_b32_e32 v12, s11
	v_mov_b32_e32 v13, s13
	v_mov_b32_e32 v14, s15
	v_mov_b32_e32 v7, v2
	v_mov_b32_e32 v11, 0
	v_mov_b32_e32 v10, 0
.LBB58_9:                               ; =>This Inner Loop Header: Depth=1
	v_ashrrev_i32_e32 v8, 31, v7
	v_lshlrev_b64 v[17:18], 2, v[7:8]
	v_subrev_u32_e32 v5, 24, v3
	v_add_co_u32_e32 v17, vcc, s10, v17
	v_addc_co_u32_e32 v18, vcc, v12, v18, vcc
	global_load_dword v8, v[17:18], off
	v_lshlrev_b64 v[19:20], 2, v[5:6]
	v_mov_b32_e32 v16, v6
	v_add_co_u32_e32 v19, vcc, s12, v19
	v_addc_co_u32_e32 v20, vcc, v13, v20, vcc
	v_mov_b32_e32 v4, v6
	v_lshlrev_b64 v[21:22], 2, v[3:4]
	v_subrev_u32_e32 v5, 22, v3
	v_add_u32_e32 v7, 32, v7
	s_waitcnt vmcnt(0)
	v_subrev_u32_e32 v8, s18, v8
	v_mul_lo_u32 v15, v8, 13
	v_lshlrev_b64 v[16:17], 2, v[15:16]
	v_add_co_u32_e32 v16, vcc, s14, v16
	v_addc_co_u32_e32 v17, vcc, v14, v17, vcc
	global_load_dwordx2 v[23:24], v[19:20], off
	global_load_dword v4, v[16:17], off
	v_add_co_u32_e32 v16, vcc, s12, v21
	v_addc_co_u32_e32 v17, vcc, v13, v22, vcc
	s_waitcnt vmcnt(0)
	v_fmac_f32_e32 v11, v23, v4
	v_fmac_f32_e32 v10, v24, v4
	v_lshlrev_b64 v[4:5], 2, v[5:6]
	v_add_co_u32_e32 v18, vcc, s12, v4
	v_addc_co_u32_e32 v19, vcc, v13, v5, vcc
	v_add_u32_e32 v5, 1, v15
	v_lshlrev_b64 v[4:5], 2, v[5:6]
	global_load_dwordx2 v[18:19], v[18:19], off
	v_add_co_u32_e32 v20, vcc, s14, v4
	v_addc_co_u32_e32 v21, vcc, v14, v5, vcc
	global_load_dword v4, v[20:21], off
	v_subrev_u32_e32 v5, 20, v3
	s_waitcnt vmcnt(0)
	v_fmac_f32_e32 v11, v18, v4
	v_fmac_f32_e32 v10, v19, v4
	v_lshlrev_b64 v[18:19], 2, v[5:6]
	v_add_u32_e32 v5, 2, v15
	v_add_co_u32_e32 v18, vcc, s12, v18
	v_lshlrev_b64 v[4:5], 2, v[5:6]
	v_addc_co_u32_e32 v19, vcc, v13, v19, vcc
	v_add_co_u32_e32 v20, vcc, s14, v4
	v_addc_co_u32_e32 v21, vcc, v14, v5, vcc
	global_load_dwordx2 v[22:23], v[18:19], off
	global_load_dword v4, v[20:21], off
	v_subrev_u32_e32 v5, 18, v3
	v_lshlrev_b64 v[18:19], 2, v[5:6]
	v_add_u32_e32 v5, 3, v15
	v_add_co_u32_e32 v18, vcc, s12, v18
	v_addc_co_u32_e32 v19, vcc, v13, v19, vcc
	s_waitcnt vmcnt(0)
	v_fmac_f32_e32 v11, v22, v4
	v_fmac_f32_e32 v10, v23, v4
	v_lshlrev_b64 v[4:5], 2, v[5:6]
	v_add_co_u32_e32 v20, vcc, s14, v4
	v_addc_co_u32_e32 v21, vcc, v14, v5, vcc
	global_load_dwordx2 v[22:23], v[18:19], off
	global_load_dword v4, v[20:21], off
	v_add_u32_e32 v5, -16, v3
	v_lshlrev_b64 v[18:19], 2, v[5:6]
	v_add_u32_e32 v5, 4, v15
	v_add_co_u32_e32 v18, vcc, s12, v18
	v_addc_co_u32_e32 v19, vcc, v13, v19, vcc
	s_waitcnt vmcnt(0)
	v_fmac_f32_e32 v11, v22, v4
	v_fmac_f32_e32 v10, v23, v4
	v_lshlrev_b64 v[4:5], 2, v[5:6]
	v_add_co_u32_e32 v20, vcc, s14, v4
	v_addc_co_u32_e32 v21, vcc, v14, v5, vcc
	global_load_dwordx2 v[22:23], v[18:19], off
	global_load_dword v4, v[20:21], off
	v_add_u32_e32 v5, -14, v3
	;; [unrolled: 13-line block ×8, first 2 shown]
	v_lshlrev_b64 v[18:19], 2, v[5:6]
	v_add_u32_e32 v5, 11, v15
	v_lshlrev_b64 v[20:21], 2, v[5:6]
	v_add_co_u32_e32 v18, vcc, s12, v18
	v_add_u32_e32 v5, 12, v15
	v_addc_co_u32_e32 v19, vcc, v13, v19, vcc
	v_add_co_u32_e32 v20, vcc, s14, v20
	v_addc_co_u32_e32 v21, vcc, v14, v21, vcc
	v_add_u32_e32 v3, 0x340, v3
	s_waitcnt vmcnt(0)
	v_fmac_f32_e32 v11, v22, v4
	v_fmac_f32_e32 v10, v23, v4
	v_lshlrev_b64 v[4:5], 2, v[5:6]
	v_add_co_u32_e32 v4, vcc, s14, v4
	v_addc_co_u32_e32 v5, vcc, v14, v5, vcc
	global_load_dwordx2 v[22:23], v[16:17], off
	global_load_dwordx2 v[24:25], v[18:19], off
	global_load_dword v8, v[20:21], off
	global_load_dword v15, v[4:5], off
	v_cmp_ge_i32_e32 vcc, v7, v9
	s_or_b64 s[8:9], vcc, s[8:9]
	s_waitcnt vmcnt(1)
	v_fmac_f32_e32 v11, v24, v8
	v_fmac_f32_e32 v10, v25, v8
	s_waitcnt vmcnt(0)
	v_fmac_f32_e32 v11, v22, v15
	v_fmac_f32_e32 v10, v23, v15
	s_andn2_b64 exec, exec, s[8:9]
	s_cbranch_execnz .LBB58_9
; %bb.10:
	s_or_b64 exec, exec, s[8:9]
.LBB58_11:
	s_or_b64 exec, exec, s[6:7]
	s_cbranch_execz .LBB58_13
	s_branch .LBB58_18
.LBB58_12:
                                        ; implicit-def: $vgpr11
                                        ; implicit-def: $vgpr10
.LBB58_13:
	v_mov_b32_e32 v11, 0
	v_mov_b32_e32 v10, 0
	s_and_saveexec_b64 s[6:7], s[0:1]
	s_cbranch_execz .LBB58_17
; %bb.14:
	v_mad_u64_u32 v[4:5], s[0:1], v2, 26, 25
	v_mov_b32_e32 v6, 0
	s_mov_b64 s[0:1], 0
	v_mov_b32_e32 v7, s11
	v_mov_b32_e32 v8, s13
	;; [unrolled: 1-line block ×5, first 2 shown]
.LBB58_15:                              ; =>This Inner Loop Header: Depth=1
	v_ashrrev_i32_e32 v3, 31, v2
	v_lshlrev_b64 v[13:14], 2, v[2:3]
	v_subrev_u32_e32 v5, 25, v4
	v_add_co_u32_e32 v13, vcc, s10, v13
	v_addc_co_u32_e32 v14, vcc, v7, v14, vcc
	global_load_dword v3, v[13:14], off
	v_lshlrev_b64 v[16:17], 2, v[5:6]
	v_mov_b32_e32 v14, v6
	v_add_co_u32_e32 v16, vcc, s12, v16
	v_addc_co_u32_e32 v17, vcc, v8, v17, vcc
	global_load_dwordx2 v[16:17], v[16:17], off
	v_add_u32_e32 v15, -12, v4
	v_add_u32_e32 v2, 32, v2
	s_waitcnt vmcnt(1)
	v_subrev_u32_e32 v3, s18, v3
	v_mul_lo_u32 v13, v3, 13
	v_lshlrev_b64 v[18:19], 2, v[13:14]
	v_add_co_u32_e32 v18, vcc, s14, v18
	v_addc_co_u32_e32 v19, vcc, v12, v19, vcc
	global_load_dword v3, v[18:19], off
	s_waitcnt vmcnt(0)
	v_fmac_f32_e32 v11, v16, v3
	v_mov_b32_e32 v16, v6
	v_lshlrev_b64 v[14:15], 2, v[15:16]
	v_add_co_u32_e32 v14, vcc, s12, v14
	v_addc_co_u32_e32 v15, vcc, v8, v15, vcc
	global_load_dword v5, v[14:15], off
	s_waitcnt vmcnt(0)
	v_fmac_f32_e32 v10, v5, v3
	v_add_u32_e32 v5, 1, v13
	v_lshlrev_b64 v[14:15], 2, v[5:6]
	v_add_u32_e32 v5, -11, v4
	v_add_co_u32_e32 v14, vcc, s14, v14
	v_addc_co_u32_e32 v15, vcc, v12, v15, vcc
	global_load_dword v3, v[14:15], off
	v_lshlrev_b64 v[14:15], 2, v[5:6]
	v_add_co_u32_e32 v14, vcc, s12, v14
	v_addc_co_u32_e32 v15, vcc, v8, v15, vcc
	global_load_dword v5, v[14:15], off
	s_waitcnt vmcnt(1)
	v_fmac_f32_e32 v11, v17, v3
	s_waitcnt vmcnt(0)
	v_fmac_f32_e32 v10, v5, v3
	v_subrev_u32_e32 v5, 23, v4
	v_lshlrev_b64 v[14:15], 2, v[5:6]
	v_add_u32_e32 v5, 2, v13
	v_add_co_u32_e32 v14, vcc, s12, v14
	v_addc_co_u32_e32 v15, vcc, v8, v15, vcc
	global_load_dword v3, v[14:15], off
	v_lshlrev_b64 v[14:15], 2, v[5:6]
	v_add_u32_e32 v5, -10, v4
	v_add_co_u32_e32 v14, vcc, s14, v14
	v_addc_co_u32_e32 v15, vcc, v12, v15, vcc
	global_load_dword v16, v[14:15], off
	v_lshlrev_b64 v[14:15], 2, v[5:6]
	v_subrev_u32_e32 v5, 22, v4
	v_add_co_u32_e32 v14, vcc, s12, v14
	v_addc_co_u32_e32 v15, vcc, v8, v15, vcc
	s_waitcnt vmcnt(0)
	v_fmac_f32_e32 v11, v3, v16
	global_load_dword v3, v[14:15], off
	v_lshlrev_b64 v[14:15], 2, v[5:6]
	v_add_u32_e32 v5, 3, v13
	v_add_co_u32_e32 v14, vcc, s12, v14
	v_addc_co_u32_e32 v15, vcc, v8, v15, vcc
	s_waitcnt vmcnt(0)
	v_fmac_f32_e32 v10, v3, v16
	global_load_dword v3, v[14:15], off
	v_lshlrev_b64 v[14:15], 2, v[5:6]
	v_add_u32_e32 v5, -9, v4
	v_add_co_u32_e32 v14, vcc, s14, v14
	v_addc_co_u32_e32 v15, vcc, v12, v15, vcc
	global_load_dword v16, v[14:15], off
	v_lshlrev_b64 v[14:15], 2, v[5:6]
	v_subrev_u32_e32 v5, 21, v4
	v_add_co_u32_e32 v14, vcc, s12, v14
	v_addc_co_u32_e32 v15, vcc, v8, v15, vcc
	s_waitcnt vmcnt(0)
	v_fmac_f32_e32 v11, v3, v16
	global_load_dword v3, v[14:15], off
	v_lshlrev_b64 v[14:15], 2, v[5:6]
	v_add_u32_e32 v5, 4, v13
	v_add_co_u32_e32 v14, vcc, s12, v14
	v_addc_co_u32_e32 v15, vcc, v8, v15, vcc
	s_waitcnt vmcnt(0)
	v_fmac_f32_e32 v10, v3, v16
	;; [unrolled: 19-line block ×6, first 2 shown]
	global_load_dword v3, v[14:15], off
	v_lshlrev_b64 v[14:15], 2, v[5:6]
	v_add_u32_e32 v5, -4, v4
	v_add_co_u32_e32 v14, vcc, s14, v14
	v_addc_co_u32_e32 v15, vcc, v12, v15, vcc
	global_load_dword v16, v[14:15], off
	v_lshlrev_b64 v[14:15], 2, v[5:6]
	v_add_u32_e32 v5, -16, v4
	v_add_co_u32_e32 v14, vcc, s12, v14
	v_addc_co_u32_e32 v15, vcc, v8, v15, vcc
	s_waitcnt vmcnt(0)
	v_fmac_f32_e32 v11, v3, v16
	global_load_dword v3, v[14:15], off
	v_lshlrev_b64 v[14:15], 2, v[5:6]
	v_add_u32_e32 v5, 9, v13
	v_add_co_u32_e32 v14, vcc, s12, v14
	v_addc_co_u32_e32 v15, vcc, v8, v15, vcc
	s_waitcnt vmcnt(0)
	v_fmac_f32_e32 v10, v3, v16
	global_load_dword v3, v[14:15], off
	v_lshlrev_b64 v[14:15], 2, v[5:6]
	v_add_u32_e32 v5, -3, v4
	v_add_co_u32_e32 v14, vcc, s14, v14
	v_addc_co_u32_e32 v15, vcc, v12, v15, vcc
	global_load_dword v16, v[14:15], off
	v_lshlrev_b64 v[14:15], 2, v[5:6]
	v_add_u32_e32 v5, -15, v4
	v_add_co_u32_e32 v14, vcc, s12, v14
	v_addc_co_u32_e32 v15, vcc, v8, v15, vcc
	s_waitcnt vmcnt(0)
	v_fmac_f32_e32 v11, v3, v16
	global_load_dword v3, v[14:15], off
	v_lshlrev_b64 v[14:15], 2, v[5:6]
	v_add_u32_e32 v5, 10, v13
	v_add_co_u32_e32 v14, vcc, s12, v14
	v_addc_co_u32_e32 v15, vcc, v8, v15, vcc
	s_waitcnt vmcnt(0)
	v_fmac_f32_e32 v10, v3, v16
	;; [unrolled: 19-line block ×3, first 2 shown]
	global_load_dword v3, v[14:15], off
	v_lshlrev_b64 v[14:15], 2, v[5:6]
	v_add_u32_e32 v5, -1, v4
	v_add_co_u32_e32 v14, vcc, s14, v14
	v_addc_co_u32_e32 v15, vcc, v12, v15, vcc
	global_load_dword v16, v[14:15], off
	v_lshlrev_b64 v[14:15], 2, v[5:6]
	v_add_u32_e32 v5, -13, v4
	v_add_co_u32_e32 v14, vcc, s12, v14
	v_addc_co_u32_e32 v15, vcc, v8, v15, vcc
	s_waitcnt vmcnt(0)
	v_fmac_f32_e32 v11, v3, v16
	global_load_dword v3, v[14:15], off
	v_lshlrev_b64 v[14:15], 2, v[5:6]
	v_add_u32_e32 v5, 12, v13
	v_add_co_u32_e32 v14, vcc, s12, v14
	v_addc_co_u32_e32 v15, vcc, v8, v15, vcc
	global_load_dword v15, v[14:15], off
	v_lshlrev_b64 v[13:14], 2, v[5:6]
	v_mov_b32_e32 v5, v6
	v_add_co_u32_e32 v13, vcc, s14, v13
	v_addc_co_u32_e32 v14, vcc, v12, v14, vcc
	s_waitcnt vmcnt(1)
	v_fmac_f32_e32 v10, v3, v16
	global_load_dword v3, v[13:14], off
	v_lshlrev_b64 v[13:14], 2, v[4:5]
	v_add_u32_e32 v4, 0x340, v4
	v_add_co_u32_e32 v13, vcc, s12, v13
	v_addc_co_u32_e32 v14, vcc, v8, v14, vcc
	global_load_dword v5, v[13:14], off
	v_cmp_ge_i32_e32 vcc, v2, v9
	s_or_b64 s[0:1], vcc, s[0:1]
	s_waitcnt vmcnt(1)
	v_fmac_f32_e32 v11, v15, v3
	s_waitcnt vmcnt(0)
	v_fmac_f32_e32 v10, v5, v3
	s_andn2_b64 exec, exec, s[0:1]
	s_cbranch_execnz .LBB58_15
; %bb.16:
	s_or_b64 exec, exec, s[0:1]
.LBB58_17:
	s_or_b64 exec, exec, s[6:7]
.LBB58_18:
	v_mov_b32_dpp v2, v11 row_shr:1 row_mask:0xf bank_mask:0xf
	v_mov_b32_dpp v4, v10 row_shr:1 row_mask:0xf bank_mask:0xf
	v_add_f32_e32 v2, v11, v2
	v_add_f32_e32 v4, v10, v4
	v_cmp_eq_u32_e32 vcc, 31, v0
	v_mov_b32_dpp v3, v2 row_shr:2 row_mask:0xf bank_mask:0xf
	v_mov_b32_dpp v5, v4 row_shr:2 row_mask:0xf bank_mask:0xf
	v_add_f32_e32 v2, v2, v3
	v_add_f32_e32 v4, v4, v5
	s_nop 0
	v_mov_b32_dpp v3, v2 row_shr:4 row_mask:0xf bank_mask:0xe
	v_mov_b32_dpp v5, v4 row_shr:4 row_mask:0xf bank_mask:0xe
	v_add_f32_e32 v2, v2, v3
	v_add_f32_e32 v4, v4, v5
	s_nop 0
	;; [unrolled: 5-line block ×3, first 2 shown]
	v_mov_b32_dpp v3, v2 row_bcast:15 row_mask:0xa bank_mask:0xf
	v_mov_b32_dpp v5, v4 row_bcast:15 row_mask:0xa bank_mask:0xf
	s_and_b64 exec, exec, vcc
	s_cbranch_execz .LBB58_22
; %bb.19:
	s_load_dwordx2 s[0:1], s[4:5], 0x38
	v_add_f32_e32 v0, v2, v3
	v_add_f32_e32 v3, v4, v5
	v_cmp_eq_f32_e64 s[4:5], s2, 0
	s_and_b64 vcc, exec, s[4:5]
	v_mul_f32_e32 v2, s16, v0
	v_mul_f32_e32 v3, s16, v3
	v_lshlrev_b32_e32 v0, 1, v1
	s_cbranch_vccz .LBB58_23
; %bb.20:
	v_ashrrev_i32_e32 v1, 31, v0
	v_lshlrev_b64 v[4:5], 2, v[0:1]
	s_waitcnt lgkmcnt(0)
	v_mov_b32_e32 v1, s1
	v_add_co_u32_e32 v4, vcc, s0, v4
	v_addc_co_u32_e32 v5, vcc, v1, v5, vcc
	global_store_dwordx2 v[4:5], v[2:3], off
	s_cbranch_execnz .LBB58_22
.LBB58_21:
	v_ashrrev_i32_e32 v1, 31, v0
	v_lshlrev_b64 v[0:1], 2, v[0:1]
	s_waitcnt lgkmcnt(0)
	v_mov_b32_e32 v4, s1
	v_add_co_u32_e32 v0, vcc, s0, v0
	v_addc_co_u32_e32 v1, vcc, v4, v1, vcc
	global_load_dwordx2 v[4:5], v[0:1], off
	s_waitcnt vmcnt(0)
	v_fmac_f32_e32 v2, s2, v4
	v_fmac_f32_e32 v3, s2, v5
	global_store_dwordx2 v[0:1], v[2:3], off
.LBB58_22:
	s_endpgm
.LBB58_23:
	s_branch .LBB58_21
	.section	.rodata,"a",@progbits
	.p2align	6, 0x0
	.amdhsa_kernel _ZN9rocsparseL19gebsrmvn_2xn_kernelILj128ELj13ELj32EfEEvi20rocsparse_direction_NS_24const_host_device_scalarIT2_EEPKiS6_PKS3_S8_S4_PS3_21rocsparse_index_base_b
		.amdhsa_group_segment_fixed_size 0
		.amdhsa_private_segment_fixed_size 0
		.amdhsa_kernarg_size 72
		.amdhsa_user_sgpr_count 6
		.amdhsa_user_sgpr_private_segment_buffer 1
		.amdhsa_user_sgpr_dispatch_ptr 0
		.amdhsa_user_sgpr_queue_ptr 0
		.amdhsa_user_sgpr_kernarg_segment_ptr 1
		.amdhsa_user_sgpr_dispatch_id 0
		.amdhsa_user_sgpr_flat_scratch_init 0
		.amdhsa_user_sgpr_private_segment_size 0
		.amdhsa_uses_dynamic_stack 0
		.amdhsa_system_sgpr_private_segment_wavefront_offset 0
		.amdhsa_system_sgpr_workgroup_id_x 1
		.amdhsa_system_sgpr_workgroup_id_y 0
		.amdhsa_system_sgpr_workgroup_id_z 0
		.amdhsa_system_sgpr_workgroup_info 0
		.amdhsa_system_vgpr_workitem_id 0
		.amdhsa_next_free_vgpr 26
		.amdhsa_next_free_sgpr 20
		.amdhsa_reserve_vcc 1
		.amdhsa_reserve_flat_scratch 0
		.amdhsa_float_round_mode_32 0
		.amdhsa_float_round_mode_16_64 0
		.amdhsa_float_denorm_mode_32 3
		.amdhsa_float_denorm_mode_16_64 3
		.amdhsa_dx10_clamp 1
		.amdhsa_ieee_mode 1
		.amdhsa_fp16_overflow 0
		.amdhsa_exception_fp_ieee_invalid_op 0
		.amdhsa_exception_fp_denorm_src 0
		.amdhsa_exception_fp_ieee_div_zero 0
		.amdhsa_exception_fp_ieee_overflow 0
		.amdhsa_exception_fp_ieee_underflow 0
		.amdhsa_exception_fp_ieee_inexact 0
		.amdhsa_exception_int_div_zero 0
	.end_amdhsa_kernel
	.section	.text._ZN9rocsparseL19gebsrmvn_2xn_kernelILj128ELj13ELj32EfEEvi20rocsparse_direction_NS_24const_host_device_scalarIT2_EEPKiS6_PKS3_S8_S4_PS3_21rocsparse_index_base_b,"axG",@progbits,_ZN9rocsparseL19gebsrmvn_2xn_kernelILj128ELj13ELj32EfEEvi20rocsparse_direction_NS_24const_host_device_scalarIT2_EEPKiS6_PKS3_S8_S4_PS3_21rocsparse_index_base_b,comdat
.Lfunc_end58:
	.size	_ZN9rocsparseL19gebsrmvn_2xn_kernelILj128ELj13ELj32EfEEvi20rocsparse_direction_NS_24const_host_device_scalarIT2_EEPKiS6_PKS3_S8_S4_PS3_21rocsparse_index_base_b, .Lfunc_end58-_ZN9rocsparseL19gebsrmvn_2xn_kernelILj128ELj13ELj32EfEEvi20rocsparse_direction_NS_24const_host_device_scalarIT2_EEPKiS6_PKS3_S8_S4_PS3_21rocsparse_index_base_b
                                        ; -- End function
	.set _ZN9rocsparseL19gebsrmvn_2xn_kernelILj128ELj13ELj32EfEEvi20rocsparse_direction_NS_24const_host_device_scalarIT2_EEPKiS6_PKS3_S8_S4_PS3_21rocsparse_index_base_b.num_vgpr, 26
	.set _ZN9rocsparseL19gebsrmvn_2xn_kernelILj128ELj13ELj32EfEEvi20rocsparse_direction_NS_24const_host_device_scalarIT2_EEPKiS6_PKS3_S8_S4_PS3_21rocsparse_index_base_b.num_agpr, 0
	.set _ZN9rocsparseL19gebsrmvn_2xn_kernelILj128ELj13ELj32EfEEvi20rocsparse_direction_NS_24const_host_device_scalarIT2_EEPKiS6_PKS3_S8_S4_PS3_21rocsparse_index_base_b.numbered_sgpr, 20
	.set _ZN9rocsparseL19gebsrmvn_2xn_kernelILj128ELj13ELj32EfEEvi20rocsparse_direction_NS_24const_host_device_scalarIT2_EEPKiS6_PKS3_S8_S4_PS3_21rocsparse_index_base_b.num_named_barrier, 0
	.set _ZN9rocsparseL19gebsrmvn_2xn_kernelILj128ELj13ELj32EfEEvi20rocsparse_direction_NS_24const_host_device_scalarIT2_EEPKiS6_PKS3_S8_S4_PS3_21rocsparse_index_base_b.private_seg_size, 0
	.set _ZN9rocsparseL19gebsrmvn_2xn_kernelILj128ELj13ELj32EfEEvi20rocsparse_direction_NS_24const_host_device_scalarIT2_EEPKiS6_PKS3_S8_S4_PS3_21rocsparse_index_base_b.uses_vcc, 1
	.set _ZN9rocsparseL19gebsrmvn_2xn_kernelILj128ELj13ELj32EfEEvi20rocsparse_direction_NS_24const_host_device_scalarIT2_EEPKiS6_PKS3_S8_S4_PS3_21rocsparse_index_base_b.uses_flat_scratch, 0
	.set _ZN9rocsparseL19gebsrmvn_2xn_kernelILj128ELj13ELj32EfEEvi20rocsparse_direction_NS_24const_host_device_scalarIT2_EEPKiS6_PKS3_S8_S4_PS3_21rocsparse_index_base_b.has_dyn_sized_stack, 0
	.set _ZN9rocsparseL19gebsrmvn_2xn_kernelILj128ELj13ELj32EfEEvi20rocsparse_direction_NS_24const_host_device_scalarIT2_EEPKiS6_PKS3_S8_S4_PS3_21rocsparse_index_base_b.has_recursion, 0
	.set _ZN9rocsparseL19gebsrmvn_2xn_kernelILj128ELj13ELj32EfEEvi20rocsparse_direction_NS_24const_host_device_scalarIT2_EEPKiS6_PKS3_S8_S4_PS3_21rocsparse_index_base_b.has_indirect_call, 0
	.section	.AMDGPU.csdata,"",@progbits
; Kernel info:
; codeLenInByte = 2940
; TotalNumSgprs: 24
; NumVgprs: 26
; ScratchSize: 0
; MemoryBound: 0
; FloatMode: 240
; IeeeMode: 1
; LDSByteSize: 0 bytes/workgroup (compile time only)
; SGPRBlocks: 2
; VGPRBlocks: 6
; NumSGPRsForWavesPerEU: 24
; NumVGPRsForWavesPerEU: 26
; Occupancy: 9
; WaveLimiterHint : 1
; COMPUTE_PGM_RSRC2:SCRATCH_EN: 0
; COMPUTE_PGM_RSRC2:USER_SGPR: 6
; COMPUTE_PGM_RSRC2:TRAP_HANDLER: 0
; COMPUTE_PGM_RSRC2:TGID_X_EN: 1
; COMPUTE_PGM_RSRC2:TGID_Y_EN: 0
; COMPUTE_PGM_RSRC2:TGID_Z_EN: 0
; COMPUTE_PGM_RSRC2:TIDIG_COMP_CNT: 0
	.section	.text._ZN9rocsparseL19gebsrmvn_2xn_kernelILj128ELj13ELj64EfEEvi20rocsparse_direction_NS_24const_host_device_scalarIT2_EEPKiS6_PKS3_S8_S4_PS3_21rocsparse_index_base_b,"axG",@progbits,_ZN9rocsparseL19gebsrmvn_2xn_kernelILj128ELj13ELj64EfEEvi20rocsparse_direction_NS_24const_host_device_scalarIT2_EEPKiS6_PKS3_S8_S4_PS3_21rocsparse_index_base_b,comdat
	.globl	_ZN9rocsparseL19gebsrmvn_2xn_kernelILj128ELj13ELj64EfEEvi20rocsparse_direction_NS_24const_host_device_scalarIT2_EEPKiS6_PKS3_S8_S4_PS3_21rocsparse_index_base_b ; -- Begin function _ZN9rocsparseL19gebsrmvn_2xn_kernelILj128ELj13ELj64EfEEvi20rocsparse_direction_NS_24const_host_device_scalarIT2_EEPKiS6_PKS3_S8_S4_PS3_21rocsparse_index_base_b
	.p2align	8
	.type	_ZN9rocsparseL19gebsrmvn_2xn_kernelILj128ELj13ELj64EfEEvi20rocsparse_direction_NS_24const_host_device_scalarIT2_EEPKiS6_PKS3_S8_S4_PS3_21rocsparse_index_base_b,@function
_ZN9rocsparseL19gebsrmvn_2xn_kernelILj128ELj13ELj64EfEEvi20rocsparse_direction_NS_24const_host_device_scalarIT2_EEPKiS6_PKS3_S8_S4_PS3_21rocsparse_index_base_b: ; @_ZN9rocsparseL19gebsrmvn_2xn_kernelILj128ELj13ELj64EfEEvi20rocsparse_direction_NS_24const_host_device_scalarIT2_EEPKiS6_PKS3_S8_S4_PS3_21rocsparse_index_base_b
; %bb.0:
	s_load_dwordx2 s[18:19], s[4:5], 0x40
	s_load_dwordx2 s[16:17], s[4:5], 0x8
	;; [unrolled: 1-line block ×3, first 2 shown]
	s_waitcnt lgkmcnt(0)
	s_bitcmp1_b32 s19, 0
	s_cselect_b64 s[8:9], -1, 0
	s_xor_b64 s[0:1], s[8:9], -1
	s_and_b64 vcc, exec, s[8:9]
	s_cbranch_vccnz .LBB59_2
; %bb.1:
	s_load_dword s16, s[16:17], 0x0
.LBB59_2:
	s_andn2_b64 vcc, exec, s[0:1]
	s_cbranch_vccnz .LBB59_4
; %bb.3:
	s_load_dword s2, s[2:3], 0x0
.LBB59_4:
	s_waitcnt lgkmcnt(0)
	v_cmp_eq_f32_e64 s[0:1], s16, 0
	v_cmp_eq_f32_e64 s[8:9], s2, 1.0
	s_and_b64 s[0:1], s[0:1], s[8:9]
	s_and_b64 vcc, exec, s[0:1]
	s_cbranch_vccnz .LBB59_22
; %bb.5:
	s_load_dwordx2 s[0:1], s[4:5], 0x0
	v_lshrrev_b32_e32 v1, 6, v0
	v_lshl_or_b32 v1, s6, 1, v1
	s_waitcnt lgkmcnt(0)
	v_cmp_gt_i32_e32 vcc, s0, v1
	s_and_saveexec_b64 s[6:7], vcc
	s_cbranch_execz .LBB59_22
; %bb.6:
	s_load_dwordx8 s[8:15], s[4:5], 0x10
	v_ashrrev_i32_e32 v2, 31, v1
	v_lshlrev_b64 v[2:3], 2, v[1:2]
	v_and_b32_e32 v0, 63, v0
	s_cmp_lg_u32 s1, 0
	s_waitcnt lgkmcnt(0)
	v_mov_b32_e32 v4, s9
	v_add_co_u32_e32 v2, vcc, s8, v2
	v_addc_co_u32_e32 v3, vcc, v4, v3, vcc
	global_load_dwordx2 v[2:3], v[2:3], off
	s_waitcnt vmcnt(0)
	v_subrev_u32_e32 v2, s18, v2
	v_subrev_u32_e32 v9, s18, v3
	v_add_u32_e32 v2, v2, v0
	v_cmp_lt_i32_e64 s[0:1], v2, v9
	s_cbranch_scc0 .LBB59_12
; %bb.7:
	v_mov_b32_e32 v11, 0
	v_mov_b32_e32 v10, 0
	s_and_saveexec_b64 s[6:7], s[0:1]
	s_cbranch_execz .LBB59_11
; %bb.8:
	v_mad_u64_u32 v[3:4], s[8:9], v2, 26, 24
	v_mov_b32_e32 v6, 0
	s_mov_b64 s[8:9], 0
	v_mov_b32_e32 v12, s11
	v_mov_b32_e32 v13, s13
	;; [unrolled: 1-line block ×6, first 2 shown]
.LBB59_9:                               ; =>This Inner Loop Header: Depth=1
	v_ashrrev_i32_e32 v8, 31, v7
	v_lshlrev_b64 v[17:18], 2, v[7:8]
	v_subrev_u32_e32 v5, 24, v3
	v_add_co_u32_e32 v17, vcc, s10, v17
	v_addc_co_u32_e32 v18, vcc, v12, v18, vcc
	global_load_dword v8, v[17:18], off
	v_lshlrev_b64 v[19:20], 2, v[5:6]
	v_mov_b32_e32 v16, v6
	v_add_co_u32_e32 v19, vcc, s12, v19
	v_addc_co_u32_e32 v20, vcc, v13, v20, vcc
	v_mov_b32_e32 v4, v6
	v_lshlrev_b64 v[21:22], 2, v[3:4]
	v_subrev_u32_e32 v5, 22, v3
	v_add_u32_e32 v7, 64, v7
	s_waitcnt vmcnt(0)
	v_subrev_u32_e32 v8, s18, v8
	v_mul_lo_u32 v15, v8, 13
	v_lshlrev_b64 v[16:17], 2, v[15:16]
	v_add_co_u32_e32 v16, vcc, s14, v16
	v_addc_co_u32_e32 v17, vcc, v14, v17, vcc
	global_load_dwordx2 v[23:24], v[19:20], off
	global_load_dword v4, v[16:17], off
	v_add_co_u32_e32 v16, vcc, s12, v21
	v_addc_co_u32_e32 v17, vcc, v13, v22, vcc
	s_waitcnt vmcnt(0)
	v_fmac_f32_e32 v11, v23, v4
	v_fmac_f32_e32 v10, v24, v4
	v_lshlrev_b64 v[4:5], 2, v[5:6]
	v_add_co_u32_e32 v18, vcc, s12, v4
	v_addc_co_u32_e32 v19, vcc, v13, v5, vcc
	v_add_u32_e32 v5, 1, v15
	v_lshlrev_b64 v[4:5], 2, v[5:6]
	global_load_dwordx2 v[18:19], v[18:19], off
	v_add_co_u32_e32 v20, vcc, s14, v4
	v_addc_co_u32_e32 v21, vcc, v14, v5, vcc
	global_load_dword v4, v[20:21], off
	v_subrev_u32_e32 v5, 20, v3
	s_waitcnt vmcnt(0)
	v_fmac_f32_e32 v11, v18, v4
	v_fmac_f32_e32 v10, v19, v4
	v_lshlrev_b64 v[18:19], 2, v[5:6]
	v_add_u32_e32 v5, 2, v15
	v_add_co_u32_e32 v18, vcc, s12, v18
	v_lshlrev_b64 v[4:5], 2, v[5:6]
	v_addc_co_u32_e32 v19, vcc, v13, v19, vcc
	v_add_co_u32_e32 v20, vcc, s14, v4
	v_addc_co_u32_e32 v21, vcc, v14, v5, vcc
	global_load_dwordx2 v[22:23], v[18:19], off
	global_load_dword v4, v[20:21], off
	v_subrev_u32_e32 v5, 18, v3
	v_lshlrev_b64 v[18:19], 2, v[5:6]
	v_add_u32_e32 v5, 3, v15
	v_add_co_u32_e32 v18, vcc, s12, v18
	v_addc_co_u32_e32 v19, vcc, v13, v19, vcc
	s_waitcnt vmcnt(0)
	v_fmac_f32_e32 v11, v22, v4
	v_fmac_f32_e32 v10, v23, v4
	v_lshlrev_b64 v[4:5], 2, v[5:6]
	v_add_co_u32_e32 v20, vcc, s14, v4
	v_addc_co_u32_e32 v21, vcc, v14, v5, vcc
	global_load_dwordx2 v[22:23], v[18:19], off
	global_load_dword v4, v[20:21], off
	v_add_u32_e32 v5, -16, v3
	v_lshlrev_b64 v[18:19], 2, v[5:6]
	v_add_u32_e32 v5, 4, v15
	v_add_co_u32_e32 v18, vcc, s12, v18
	v_addc_co_u32_e32 v19, vcc, v13, v19, vcc
	s_waitcnt vmcnt(0)
	v_fmac_f32_e32 v11, v22, v4
	v_fmac_f32_e32 v10, v23, v4
	v_lshlrev_b64 v[4:5], 2, v[5:6]
	v_add_co_u32_e32 v20, vcc, s14, v4
	v_addc_co_u32_e32 v21, vcc, v14, v5, vcc
	global_load_dwordx2 v[22:23], v[18:19], off
	global_load_dword v4, v[20:21], off
	v_add_u32_e32 v5, -14, v3
	;; [unrolled: 13-line block ×8, first 2 shown]
	v_lshlrev_b64 v[18:19], 2, v[5:6]
	v_add_u32_e32 v5, 11, v15
	v_lshlrev_b64 v[20:21], 2, v[5:6]
	v_add_co_u32_e32 v18, vcc, s12, v18
	v_add_u32_e32 v5, 12, v15
	v_addc_co_u32_e32 v19, vcc, v13, v19, vcc
	v_add_co_u32_e32 v20, vcc, s14, v20
	v_addc_co_u32_e32 v21, vcc, v14, v21, vcc
	v_add_u32_e32 v3, 0x680, v3
	s_waitcnt vmcnt(0)
	v_fmac_f32_e32 v11, v22, v4
	v_fmac_f32_e32 v10, v23, v4
	v_lshlrev_b64 v[4:5], 2, v[5:6]
	v_add_co_u32_e32 v4, vcc, s14, v4
	v_addc_co_u32_e32 v5, vcc, v14, v5, vcc
	global_load_dwordx2 v[22:23], v[16:17], off
	global_load_dwordx2 v[24:25], v[18:19], off
	global_load_dword v8, v[20:21], off
	global_load_dword v15, v[4:5], off
	v_cmp_ge_i32_e32 vcc, v7, v9
	s_or_b64 s[8:9], vcc, s[8:9]
	s_waitcnt vmcnt(1)
	v_fmac_f32_e32 v11, v24, v8
	v_fmac_f32_e32 v10, v25, v8
	s_waitcnt vmcnt(0)
	v_fmac_f32_e32 v11, v22, v15
	v_fmac_f32_e32 v10, v23, v15
	s_andn2_b64 exec, exec, s[8:9]
	s_cbranch_execnz .LBB59_9
; %bb.10:
	s_or_b64 exec, exec, s[8:9]
.LBB59_11:
	s_or_b64 exec, exec, s[6:7]
	s_cbranch_execz .LBB59_13
	s_branch .LBB59_18
.LBB59_12:
                                        ; implicit-def: $vgpr11
                                        ; implicit-def: $vgpr10
.LBB59_13:
	v_mov_b32_e32 v11, 0
	v_mov_b32_e32 v10, 0
	s_and_saveexec_b64 s[6:7], s[0:1]
	s_cbranch_execz .LBB59_17
; %bb.14:
	v_mad_u64_u32 v[4:5], s[0:1], v2, 26, 25
	v_mov_b32_e32 v6, 0
	s_mov_b64 s[0:1], 0
	v_mov_b32_e32 v7, s11
	v_mov_b32_e32 v8, s13
	;; [unrolled: 1-line block ×5, first 2 shown]
.LBB59_15:                              ; =>This Inner Loop Header: Depth=1
	v_ashrrev_i32_e32 v3, 31, v2
	v_lshlrev_b64 v[13:14], 2, v[2:3]
	v_subrev_u32_e32 v5, 25, v4
	v_add_co_u32_e32 v13, vcc, s10, v13
	v_addc_co_u32_e32 v14, vcc, v7, v14, vcc
	global_load_dword v3, v[13:14], off
	v_lshlrev_b64 v[16:17], 2, v[5:6]
	v_mov_b32_e32 v14, v6
	v_add_co_u32_e32 v16, vcc, s12, v16
	v_addc_co_u32_e32 v17, vcc, v8, v17, vcc
	global_load_dwordx2 v[16:17], v[16:17], off
	v_add_u32_e32 v15, -12, v4
	v_add_u32_e32 v2, 64, v2
	s_waitcnt vmcnt(1)
	v_subrev_u32_e32 v3, s18, v3
	v_mul_lo_u32 v13, v3, 13
	v_lshlrev_b64 v[18:19], 2, v[13:14]
	v_add_co_u32_e32 v18, vcc, s14, v18
	v_addc_co_u32_e32 v19, vcc, v12, v19, vcc
	global_load_dword v3, v[18:19], off
	s_waitcnt vmcnt(0)
	v_fmac_f32_e32 v11, v16, v3
	v_mov_b32_e32 v16, v6
	v_lshlrev_b64 v[14:15], 2, v[15:16]
	v_add_co_u32_e32 v14, vcc, s12, v14
	v_addc_co_u32_e32 v15, vcc, v8, v15, vcc
	global_load_dword v5, v[14:15], off
	s_waitcnt vmcnt(0)
	v_fmac_f32_e32 v10, v5, v3
	v_add_u32_e32 v5, 1, v13
	v_lshlrev_b64 v[14:15], 2, v[5:6]
	v_add_u32_e32 v5, -11, v4
	v_add_co_u32_e32 v14, vcc, s14, v14
	v_addc_co_u32_e32 v15, vcc, v12, v15, vcc
	global_load_dword v3, v[14:15], off
	v_lshlrev_b64 v[14:15], 2, v[5:6]
	v_add_co_u32_e32 v14, vcc, s12, v14
	v_addc_co_u32_e32 v15, vcc, v8, v15, vcc
	global_load_dword v5, v[14:15], off
	s_waitcnt vmcnt(1)
	v_fmac_f32_e32 v11, v17, v3
	s_waitcnt vmcnt(0)
	v_fmac_f32_e32 v10, v5, v3
	v_subrev_u32_e32 v5, 23, v4
	v_lshlrev_b64 v[14:15], 2, v[5:6]
	v_add_u32_e32 v5, 2, v13
	v_add_co_u32_e32 v14, vcc, s12, v14
	v_addc_co_u32_e32 v15, vcc, v8, v15, vcc
	global_load_dword v3, v[14:15], off
	v_lshlrev_b64 v[14:15], 2, v[5:6]
	v_add_u32_e32 v5, -10, v4
	v_add_co_u32_e32 v14, vcc, s14, v14
	v_addc_co_u32_e32 v15, vcc, v12, v15, vcc
	global_load_dword v16, v[14:15], off
	v_lshlrev_b64 v[14:15], 2, v[5:6]
	v_subrev_u32_e32 v5, 22, v4
	v_add_co_u32_e32 v14, vcc, s12, v14
	v_addc_co_u32_e32 v15, vcc, v8, v15, vcc
	s_waitcnt vmcnt(0)
	v_fmac_f32_e32 v11, v3, v16
	global_load_dword v3, v[14:15], off
	v_lshlrev_b64 v[14:15], 2, v[5:6]
	v_add_u32_e32 v5, 3, v13
	v_add_co_u32_e32 v14, vcc, s12, v14
	v_addc_co_u32_e32 v15, vcc, v8, v15, vcc
	s_waitcnt vmcnt(0)
	v_fmac_f32_e32 v10, v3, v16
	global_load_dword v3, v[14:15], off
	v_lshlrev_b64 v[14:15], 2, v[5:6]
	v_add_u32_e32 v5, -9, v4
	v_add_co_u32_e32 v14, vcc, s14, v14
	v_addc_co_u32_e32 v15, vcc, v12, v15, vcc
	global_load_dword v16, v[14:15], off
	v_lshlrev_b64 v[14:15], 2, v[5:6]
	v_subrev_u32_e32 v5, 21, v4
	v_add_co_u32_e32 v14, vcc, s12, v14
	v_addc_co_u32_e32 v15, vcc, v8, v15, vcc
	s_waitcnt vmcnt(0)
	v_fmac_f32_e32 v11, v3, v16
	global_load_dword v3, v[14:15], off
	v_lshlrev_b64 v[14:15], 2, v[5:6]
	v_add_u32_e32 v5, 4, v13
	v_add_co_u32_e32 v14, vcc, s12, v14
	v_addc_co_u32_e32 v15, vcc, v8, v15, vcc
	s_waitcnt vmcnt(0)
	v_fmac_f32_e32 v10, v3, v16
	;; [unrolled: 19-line block ×6, first 2 shown]
	global_load_dword v3, v[14:15], off
	v_lshlrev_b64 v[14:15], 2, v[5:6]
	v_add_u32_e32 v5, -4, v4
	v_add_co_u32_e32 v14, vcc, s14, v14
	v_addc_co_u32_e32 v15, vcc, v12, v15, vcc
	global_load_dword v16, v[14:15], off
	v_lshlrev_b64 v[14:15], 2, v[5:6]
	v_add_u32_e32 v5, -16, v4
	v_add_co_u32_e32 v14, vcc, s12, v14
	v_addc_co_u32_e32 v15, vcc, v8, v15, vcc
	s_waitcnt vmcnt(0)
	v_fmac_f32_e32 v11, v3, v16
	global_load_dword v3, v[14:15], off
	v_lshlrev_b64 v[14:15], 2, v[5:6]
	v_add_u32_e32 v5, 9, v13
	v_add_co_u32_e32 v14, vcc, s12, v14
	v_addc_co_u32_e32 v15, vcc, v8, v15, vcc
	s_waitcnt vmcnt(0)
	v_fmac_f32_e32 v10, v3, v16
	global_load_dword v3, v[14:15], off
	v_lshlrev_b64 v[14:15], 2, v[5:6]
	v_add_u32_e32 v5, -3, v4
	v_add_co_u32_e32 v14, vcc, s14, v14
	v_addc_co_u32_e32 v15, vcc, v12, v15, vcc
	global_load_dword v16, v[14:15], off
	v_lshlrev_b64 v[14:15], 2, v[5:6]
	v_add_u32_e32 v5, -15, v4
	v_add_co_u32_e32 v14, vcc, s12, v14
	v_addc_co_u32_e32 v15, vcc, v8, v15, vcc
	s_waitcnt vmcnt(0)
	v_fmac_f32_e32 v11, v3, v16
	global_load_dword v3, v[14:15], off
	v_lshlrev_b64 v[14:15], 2, v[5:6]
	v_add_u32_e32 v5, 10, v13
	v_add_co_u32_e32 v14, vcc, s12, v14
	v_addc_co_u32_e32 v15, vcc, v8, v15, vcc
	s_waitcnt vmcnt(0)
	v_fmac_f32_e32 v10, v3, v16
	global_load_dword v3, v[14:15], off
	v_lshlrev_b64 v[14:15], 2, v[5:6]
	v_add_u32_e32 v5, -2, v4
	v_add_co_u32_e32 v14, vcc, s14, v14
	v_addc_co_u32_e32 v15, vcc, v12, v15, vcc
	global_load_dword v16, v[14:15], off
	v_lshlrev_b64 v[14:15], 2, v[5:6]
	v_add_u32_e32 v5, -14, v4
	v_add_co_u32_e32 v14, vcc, s12, v14
	v_addc_co_u32_e32 v15, vcc, v8, v15, vcc
	s_waitcnt vmcnt(0)
	v_fmac_f32_e32 v11, v3, v16
	global_load_dword v3, v[14:15], off
	v_lshlrev_b64 v[14:15], 2, v[5:6]
	v_add_u32_e32 v5, 11, v13
	v_add_co_u32_e32 v14, vcc, s12, v14
	v_addc_co_u32_e32 v15, vcc, v8, v15, vcc
	s_waitcnt vmcnt(0)
	v_fmac_f32_e32 v10, v3, v16
	global_load_dword v3, v[14:15], off
	v_lshlrev_b64 v[14:15], 2, v[5:6]
	v_add_u32_e32 v5, -1, v4
	v_add_co_u32_e32 v14, vcc, s14, v14
	v_addc_co_u32_e32 v15, vcc, v12, v15, vcc
	global_load_dword v16, v[14:15], off
	v_lshlrev_b64 v[14:15], 2, v[5:6]
	v_add_u32_e32 v5, -13, v4
	v_add_co_u32_e32 v14, vcc, s12, v14
	v_addc_co_u32_e32 v15, vcc, v8, v15, vcc
	s_waitcnt vmcnt(0)
	v_fmac_f32_e32 v11, v3, v16
	global_load_dword v3, v[14:15], off
	v_lshlrev_b64 v[14:15], 2, v[5:6]
	v_add_u32_e32 v5, 12, v13
	v_add_co_u32_e32 v14, vcc, s12, v14
	v_addc_co_u32_e32 v15, vcc, v8, v15, vcc
	global_load_dword v15, v[14:15], off
	v_lshlrev_b64 v[13:14], 2, v[5:6]
	v_mov_b32_e32 v5, v6
	v_add_co_u32_e32 v13, vcc, s14, v13
	v_addc_co_u32_e32 v14, vcc, v12, v14, vcc
	s_waitcnt vmcnt(1)
	v_fmac_f32_e32 v10, v3, v16
	global_load_dword v3, v[13:14], off
	v_lshlrev_b64 v[13:14], 2, v[4:5]
	v_add_u32_e32 v4, 0x680, v4
	v_add_co_u32_e32 v13, vcc, s12, v13
	v_addc_co_u32_e32 v14, vcc, v8, v14, vcc
	global_load_dword v5, v[13:14], off
	v_cmp_ge_i32_e32 vcc, v2, v9
	s_or_b64 s[0:1], vcc, s[0:1]
	s_waitcnt vmcnt(1)
	v_fmac_f32_e32 v11, v15, v3
	s_waitcnt vmcnt(0)
	v_fmac_f32_e32 v10, v5, v3
	s_andn2_b64 exec, exec, s[0:1]
	s_cbranch_execnz .LBB59_15
; %bb.16:
	s_or_b64 exec, exec, s[0:1]
.LBB59_17:
	s_or_b64 exec, exec, s[6:7]
.LBB59_18:
	v_mov_b32_dpp v2, v11 row_shr:1 row_mask:0xf bank_mask:0xf
	v_mov_b32_dpp v4, v10 row_shr:1 row_mask:0xf bank_mask:0xf
	v_add_f32_e32 v2, v11, v2
	v_add_f32_e32 v4, v10, v4
	v_cmp_eq_u32_e32 vcc, 63, v0
	v_mov_b32_dpp v3, v2 row_shr:2 row_mask:0xf bank_mask:0xf
	v_mov_b32_dpp v5, v4 row_shr:2 row_mask:0xf bank_mask:0xf
	v_add_f32_e32 v2, v2, v3
	v_add_f32_e32 v4, v4, v5
	s_nop 0
	v_mov_b32_dpp v3, v2 row_shr:4 row_mask:0xf bank_mask:0xe
	v_mov_b32_dpp v5, v4 row_shr:4 row_mask:0xf bank_mask:0xe
	v_add_f32_e32 v2, v2, v3
	v_add_f32_e32 v4, v4, v5
	s_nop 0
	;; [unrolled: 5-line block ×3, first 2 shown]
	v_mov_b32_dpp v3, v2 row_bcast:15 row_mask:0xa bank_mask:0xf
	v_mov_b32_dpp v5, v4 row_bcast:15 row_mask:0xa bank_mask:0xf
	v_add_f32_e32 v2, v2, v3
	v_add_f32_e32 v4, v4, v5
	s_nop 0
	v_mov_b32_dpp v3, v2 row_bcast:31 row_mask:0xc bank_mask:0xf
	v_mov_b32_dpp v5, v4 row_bcast:31 row_mask:0xc bank_mask:0xf
	s_and_b64 exec, exec, vcc
	s_cbranch_execz .LBB59_22
; %bb.19:
	s_load_dwordx2 s[0:1], s[4:5], 0x38
	v_add_f32_e32 v0, v2, v3
	v_add_f32_e32 v3, v4, v5
	v_cmp_eq_f32_e64 s[4:5], s2, 0
	s_and_b64 vcc, exec, s[4:5]
	v_mul_f32_e32 v2, s16, v0
	v_mul_f32_e32 v3, s16, v3
	v_lshlrev_b32_e32 v0, 1, v1
	s_cbranch_vccz .LBB59_23
; %bb.20:
	v_ashrrev_i32_e32 v1, 31, v0
	v_lshlrev_b64 v[4:5], 2, v[0:1]
	s_waitcnt lgkmcnt(0)
	v_mov_b32_e32 v1, s1
	v_add_co_u32_e32 v4, vcc, s0, v4
	v_addc_co_u32_e32 v5, vcc, v1, v5, vcc
	global_store_dwordx2 v[4:5], v[2:3], off
	s_cbranch_execnz .LBB59_22
.LBB59_21:
	v_ashrrev_i32_e32 v1, 31, v0
	v_lshlrev_b64 v[0:1], 2, v[0:1]
	s_waitcnt lgkmcnt(0)
	v_mov_b32_e32 v4, s1
	v_add_co_u32_e32 v0, vcc, s0, v0
	v_addc_co_u32_e32 v1, vcc, v4, v1, vcc
	global_load_dwordx2 v[4:5], v[0:1], off
	s_waitcnt vmcnt(0)
	v_fmac_f32_e32 v2, s2, v4
	v_fmac_f32_e32 v3, s2, v5
	global_store_dwordx2 v[0:1], v[2:3], off
.LBB59_22:
	s_endpgm
.LBB59_23:
	s_branch .LBB59_21
	.section	.rodata,"a",@progbits
	.p2align	6, 0x0
	.amdhsa_kernel _ZN9rocsparseL19gebsrmvn_2xn_kernelILj128ELj13ELj64EfEEvi20rocsparse_direction_NS_24const_host_device_scalarIT2_EEPKiS6_PKS3_S8_S4_PS3_21rocsparse_index_base_b
		.amdhsa_group_segment_fixed_size 0
		.amdhsa_private_segment_fixed_size 0
		.amdhsa_kernarg_size 72
		.amdhsa_user_sgpr_count 6
		.amdhsa_user_sgpr_private_segment_buffer 1
		.amdhsa_user_sgpr_dispatch_ptr 0
		.amdhsa_user_sgpr_queue_ptr 0
		.amdhsa_user_sgpr_kernarg_segment_ptr 1
		.amdhsa_user_sgpr_dispatch_id 0
		.amdhsa_user_sgpr_flat_scratch_init 0
		.amdhsa_user_sgpr_private_segment_size 0
		.amdhsa_uses_dynamic_stack 0
		.amdhsa_system_sgpr_private_segment_wavefront_offset 0
		.amdhsa_system_sgpr_workgroup_id_x 1
		.amdhsa_system_sgpr_workgroup_id_y 0
		.amdhsa_system_sgpr_workgroup_id_z 0
		.amdhsa_system_sgpr_workgroup_info 0
		.amdhsa_system_vgpr_workitem_id 0
		.amdhsa_next_free_vgpr 26
		.amdhsa_next_free_sgpr 20
		.amdhsa_reserve_vcc 1
		.amdhsa_reserve_flat_scratch 0
		.amdhsa_float_round_mode_32 0
		.amdhsa_float_round_mode_16_64 0
		.amdhsa_float_denorm_mode_32 3
		.amdhsa_float_denorm_mode_16_64 3
		.amdhsa_dx10_clamp 1
		.amdhsa_ieee_mode 1
		.amdhsa_fp16_overflow 0
		.amdhsa_exception_fp_ieee_invalid_op 0
		.amdhsa_exception_fp_denorm_src 0
		.amdhsa_exception_fp_ieee_div_zero 0
		.amdhsa_exception_fp_ieee_overflow 0
		.amdhsa_exception_fp_ieee_underflow 0
		.amdhsa_exception_fp_ieee_inexact 0
		.amdhsa_exception_int_div_zero 0
	.end_amdhsa_kernel
	.section	.text._ZN9rocsparseL19gebsrmvn_2xn_kernelILj128ELj13ELj64EfEEvi20rocsparse_direction_NS_24const_host_device_scalarIT2_EEPKiS6_PKS3_S8_S4_PS3_21rocsparse_index_base_b,"axG",@progbits,_ZN9rocsparseL19gebsrmvn_2xn_kernelILj128ELj13ELj64EfEEvi20rocsparse_direction_NS_24const_host_device_scalarIT2_EEPKiS6_PKS3_S8_S4_PS3_21rocsparse_index_base_b,comdat
.Lfunc_end59:
	.size	_ZN9rocsparseL19gebsrmvn_2xn_kernelILj128ELj13ELj64EfEEvi20rocsparse_direction_NS_24const_host_device_scalarIT2_EEPKiS6_PKS3_S8_S4_PS3_21rocsparse_index_base_b, .Lfunc_end59-_ZN9rocsparseL19gebsrmvn_2xn_kernelILj128ELj13ELj64EfEEvi20rocsparse_direction_NS_24const_host_device_scalarIT2_EEPKiS6_PKS3_S8_S4_PS3_21rocsparse_index_base_b
                                        ; -- End function
	.set _ZN9rocsparseL19gebsrmvn_2xn_kernelILj128ELj13ELj64EfEEvi20rocsparse_direction_NS_24const_host_device_scalarIT2_EEPKiS6_PKS3_S8_S4_PS3_21rocsparse_index_base_b.num_vgpr, 26
	.set _ZN9rocsparseL19gebsrmvn_2xn_kernelILj128ELj13ELj64EfEEvi20rocsparse_direction_NS_24const_host_device_scalarIT2_EEPKiS6_PKS3_S8_S4_PS3_21rocsparse_index_base_b.num_agpr, 0
	.set _ZN9rocsparseL19gebsrmvn_2xn_kernelILj128ELj13ELj64EfEEvi20rocsparse_direction_NS_24const_host_device_scalarIT2_EEPKiS6_PKS3_S8_S4_PS3_21rocsparse_index_base_b.numbered_sgpr, 20
	.set _ZN9rocsparseL19gebsrmvn_2xn_kernelILj128ELj13ELj64EfEEvi20rocsparse_direction_NS_24const_host_device_scalarIT2_EEPKiS6_PKS3_S8_S4_PS3_21rocsparse_index_base_b.num_named_barrier, 0
	.set _ZN9rocsparseL19gebsrmvn_2xn_kernelILj128ELj13ELj64EfEEvi20rocsparse_direction_NS_24const_host_device_scalarIT2_EEPKiS6_PKS3_S8_S4_PS3_21rocsparse_index_base_b.private_seg_size, 0
	.set _ZN9rocsparseL19gebsrmvn_2xn_kernelILj128ELj13ELj64EfEEvi20rocsparse_direction_NS_24const_host_device_scalarIT2_EEPKiS6_PKS3_S8_S4_PS3_21rocsparse_index_base_b.uses_vcc, 1
	.set _ZN9rocsparseL19gebsrmvn_2xn_kernelILj128ELj13ELj64EfEEvi20rocsparse_direction_NS_24const_host_device_scalarIT2_EEPKiS6_PKS3_S8_S4_PS3_21rocsparse_index_base_b.uses_flat_scratch, 0
	.set _ZN9rocsparseL19gebsrmvn_2xn_kernelILj128ELj13ELj64EfEEvi20rocsparse_direction_NS_24const_host_device_scalarIT2_EEPKiS6_PKS3_S8_S4_PS3_21rocsparse_index_base_b.has_dyn_sized_stack, 0
	.set _ZN9rocsparseL19gebsrmvn_2xn_kernelILj128ELj13ELj64EfEEvi20rocsparse_direction_NS_24const_host_device_scalarIT2_EEPKiS6_PKS3_S8_S4_PS3_21rocsparse_index_base_b.has_recursion, 0
	.set _ZN9rocsparseL19gebsrmvn_2xn_kernelILj128ELj13ELj64EfEEvi20rocsparse_direction_NS_24const_host_device_scalarIT2_EEPKiS6_PKS3_S8_S4_PS3_21rocsparse_index_base_b.has_indirect_call, 0
	.section	.AMDGPU.csdata,"",@progbits
; Kernel info:
; codeLenInByte = 2968
; TotalNumSgprs: 24
; NumVgprs: 26
; ScratchSize: 0
; MemoryBound: 0
; FloatMode: 240
; IeeeMode: 1
; LDSByteSize: 0 bytes/workgroup (compile time only)
; SGPRBlocks: 2
; VGPRBlocks: 6
; NumSGPRsForWavesPerEU: 24
; NumVGPRsForWavesPerEU: 26
; Occupancy: 9
; WaveLimiterHint : 1
; COMPUTE_PGM_RSRC2:SCRATCH_EN: 0
; COMPUTE_PGM_RSRC2:USER_SGPR: 6
; COMPUTE_PGM_RSRC2:TRAP_HANDLER: 0
; COMPUTE_PGM_RSRC2:TGID_X_EN: 1
; COMPUTE_PGM_RSRC2:TGID_Y_EN: 0
; COMPUTE_PGM_RSRC2:TGID_Z_EN: 0
; COMPUTE_PGM_RSRC2:TIDIG_COMP_CNT: 0
	.section	.text._ZN9rocsparseL19gebsrmvn_2xn_kernelILj128ELj14ELj4EfEEvi20rocsparse_direction_NS_24const_host_device_scalarIT2_EEPKiS6_PKS3_S8_S4_PS3_21rocsparse_index_base_b,"axG",@progbits,_ZN9rocsparseL19gebsrmvn_2xn_kernelILj128ELj14ELj4EfEEvi20rocsparse_direction_NS_24const_host_device_scalarIT2_EEPKiS6_PKS3_S8_S4_PS3_21rocsparse_index_base_b,comdat
	.globl	_ZN9rocsparseL19gebsrmvn_2xn_kernelILj128ELj14ELj4EfEEvi20rocsparse_direction_NS_24const_host_device_scalarIT2_EEPKiS6_PKS3_S8_S4_PS3_21rocsparse_index_base_b ; -- Begin function _ZN9rocsparseL19gebsrmvn_2xn_kernelILj128ELj14ELj4EfEEvi20rocsparse_direction_NS_24const_host_device_scalarIT2_EEPKiS6_PKS3_S8_S4_PS3_21rocsparse_index_base_b
	.p2align	8
	.type	_ZN9rocsparseL19gebsrmvn_2xn_kernelILj128ELj14ELj4EfEEvi20rocsparse_direction_NS_24const_host_device_scalarIT2_EEPKiS6_PKS3_S8_S4_PS3_21rocsparse_index_base_b,@function
_ZN9rocsparseL19gebsrmvn_2xn_kernelILj128ELj14ELj4EfEEvi20rocsparse_direction_NS_24const_host_device_scalarIT2_EEPKiS6_PKS3_S8_S4_PS3_21rocsparse_index_base_b: ; @_ZN9rocsparseL19gebsrmvn_2xn_kernelILj128ELj14ELj4EfEEvi20rocsparse_direction_NS_24const_host_device_scalarIT2_EEPKiS6_PKS3_S8_S4_PS3_21rocsparse_index_base_b
; %bb.0:
	s_load_dwordx2 s[18:19], s[4:5], 0x40
	s_load_dwordx2 s[16:17], s[4:5], 0x8
	;; [unrolled: 1-line block ×3, first 2 shown]
	s_waitcnt lgkmcnt(0)
	s_bitcmp1_b32 s19, 0
	s_cselect_b64 s[8:9], -1, 0
	s_xor_b64 s[0:1], s[8:9], -1
	s_and_b64 vcc, exec, s[8:9]
	s_cbranch_vccnz .LBB60_2
; %bb.1:
	s_load_dword s16, s[16:17], 0x0
.LBB60_2:
	s_andn2_b64 vcc, exec, s[0:1]
	s_cbranch_vccnz .LBB60_4
; %bb.3:
	s_load_dword s2, s[2:3], 0x0
.LBB60_4:
	s_waitcnt lgkmcnt(0)
	v_cmp_eq_f32_e64 s[0:1], s16, 0
	v_cmp_eq_f32_e64 s[8:9], s2, 1.0
	s_and_b64 s[0:1], s[0:1], s[8:9]
	s_and_b64 vcc, exec, s[0:1]
	s_cbranch_vccnz .LBB60_22
; %bb.5:
	s_load_dwordx2 s[0:1], s[4:5], 0x0
	v_lshrrev_b32_e32 v1, 2, v0
	v_lshl_or_b32 v1, s6, 5, v1
	s_waitcnt lgkmcnt(0)
	v_cmp_gt_i32_e32 vcc, s0, v1
	s_and_saveexec_b64 s[6:7], vcc
	s_cbranch_execz .LBB60_22
; %bb.6:
	s_load_dwordx8 s[8:15], s[4:5], 0x10
	v_ashrrev_i32_e32 v2, 31, v1
	v_lshlrev_b64 v[2:3], 2, v[1:2]
	v_and_b32_e32 v0, 3, v0
	s_cmp_lg_u32 s1, 0
	s_waitcnt lgkmcnt(0)
	v_mov_b32_e32 v4, s9
	v_add_co_u32_e32 v2, vcc, s8, v2
	v_addc_co_u32_e32 v3, vcc, v4, v3, vcc
	global_load_dwordx2 v[2:3], v[2:3], off
	s_waitcnt vmcnt(0)
	v_subrev_u32_e32 v2, s18, v2
	v_subrev_u32_e32 v9, s18, v3
	v_add_u32_e32 v2, v2, v0
	v_cmp_lt_i32_e64 s[0:1], v2, v9
	s_cbranch_scc0 .LBB60_12
; %bb.7:
	v_mov_b32_e32 v10, 0
	v_mov_b32_e32 v11, 0
	s_and_saveexec_b64 s[6:7], s[0:1]
	s_cbranch_execz .LBB60_11
; %bb.8:
	v_mad_u64_u32 v[3:4], s[8:9], v2, 28, 26
	v_mov_b32_e32 v5, 0
	s_mov_b64 s[8:9], 0
	v_mov_b32_e32 v8, s11
	v_mov_b32_e32 v12, s13
	;; [unrolled: 1-line block ×6, first 2 shown]
.LBB60_9:                               ; =>This Inner Loop Header: Depth=1
	v_ashrrev_i32_e32 v7, 31, v6
	v_lshlrev_b64 v[14:15], 2, v[6:7]
	v_subrev_u32_e32 v4, 26, v3
	v_add_co_u32_e32 v14, vcc, s10, v14
	v_addc_co_u32_e32 v15, vcc, v8, v15, vcc
	v_lshlrev_b64 v[16:17], 2, v[4:5]
	global_load_dword v4, v[14:15], off
	v_mov_b32_e32 v21, v5
	v_add_co_u32_e32 v18, vcc, s12, v16
	v_addc_co_u32_e32 v19, vcc, v12, v17, vcc
	v_add_u32_e32 v6, 4, v6
	s_waitcnt vmcnt(0)
	v_subrev_u32_e32 v4, s18, v4
	v_mul_lo_u32 v20, v4, 14
	v_subrev_u32_e32 v4, 22, v3
	v_lshlrev_b64 v[14:15], 2, v[20:21]
	v_add_co_u32_e32 v21, vcc, s14, v14
	v_addc_co_u32_e32 v22, vcc, v13, v15, vcc
	global_load_dwordx2 v[23:24], v[21:22], off
	global_load_dwordx4 v[14:17], v[18:19], off
	s_waitcnt vmcnt(0)
	v_fmac_f32_e32 v10, v14, v23
	v_fmac_f32_e32 v11, v15, v23
	v_lshlrev_b64 v[14:15], 2, v[4:5]
	v_add_u32_e32 v4, 2, v20
	v_fmac_f32_e32 v10, v16, v24
	v_fmac_f32_e32 v11, v17, v24
	v_add_co_u32_e32 v14, vcc, s12, v14
	v_lshlrev_b64 v[16:17], 2, v[4:5]
	v_addc_co_u32_e32 v15, vcc, v12, v15, vcc
	v_subrev_u32_e32 v4, 20, v3
	v_add_co_u32_e32 v16, vcc, s14, v16
	v_lshlrev_b64 v[18:19], 2, v[4:5]
	v_addc_co_u32_e32 v17, vcc, v13, v17, vcc
	v_add_co_u32_e32 v18, vcc, s12, v18
	v_addc_co_u32_e32 v19, vcc, v12, v19, vcc
	global_load_dwordx2 v[21:22], v[14:15], off
	global_load_dwordx2 v[23:24], v[16:17], off
	v_subrev_u32_e32 v4, 18, v3
	global_load_dwordx2 v[14:15], v[18:19], off
	s_waitcnt vmcnt(1)
	v_fmac_f32_e32 v10, v21, v23
	v_fmac_f32_e32 v11, v22, v23
	s_waitcnt vmcnt(0)
	v_fmac_f32_e32 v10, v14, v24
	v_fmac_f32_e32 v11, v15, v24
	v_lshlrev_b64 v[14:15], 2, v[4:5]
	v_add_u32_e32 v4, 4, v20
	v_add_co_u32_e32 v14, vcc, s12, v14
	v_lshlrev_b64 v[16:17], 2, v[4:5]
	v_addc_co_u32_e32 v15, vcc, v12, v15, vcc
	v_add_u32_e32 v4, -16, v3
	v_add_co_u32_e32 v16, vcc, s14, v16
	v_lshlrev_b64 v[18:19], 2, v[4:5]
	v_addc_co_u32_e32 v17, vcc, v13, v17, vcc
	v_add_co_u32_e32 v18, vcc, s12, v18
	v_addc_co_u32_e32 v19, vcc, v12, v19, vcc
	global_load_dwordx2 v[21:22], v[14:15], off
	global_load_dwordx2 v[23:24], v[16:17], off
	v_add_u32_e32 v4, -14, v3
	global_load_dwordx2 v[14:15], v[18:19], off
	s_waitcnt vmcnt(1)
	v_fmac_f32_e32 v10, v21, v23
	v_fmac_f32_e32 v11, v22, v23
	s_waitcnt vmcnt(0)
	v_fmac_f32_e32 v10, v14, v24
	v_fmac_f32_e32 v11, v15, v24
	v_lshlrev_b64 v[14:15], 2, v[4:5]
	v_add_u32_e32 v4, 6, v20
	v_add_co_u32_e32 v14, vcc, s12, v14
	v_lshlrev_b64 v[16:17], 2, v[4:5]
	v_addc_co_u32_e32 v15, vcc, v12, v15, vcc
	v_add_u32_e32 v4, -12, v3
	v_add_co_u32_e32 v16, vcc, s14, v16
	v_lshlrev_b64 v[18:19], 2, v[4:5]
	v_addc_co_u32_e32 v17, vcc, v13, v17, vcc
	v_add_co_u32_e32 v18, vcc, s12, v18
	v_addc_co_u32_e32 v19, vcc, v12, v19, vcc
	global_load_dwordx2 v[21:22], v[14:15], off
	global_load_dwordx2 v[23:24], v[16:17], off
	v_add_u32_e32 v4, -10, v3
	global_load_dwordx2 v[14:15], v[18:19], off
	s_waitcnt vmcnt(1)
	v_fmac_f32_e32 v10, v21, v23
	v_fmac_f32_e32 v11, v22, v23
	s_waitcnt vmcnt(0)
	v_fmac_f32_e32 v10, v14, v24
	v_fmac_f32_e32 v11, v15, v24
	v_lshlrev_b64 v[14:15], 2, v[4:5]
	v_add_u32_e32 v4, 8, v20
	v_add_co_u32_e32 v14, vcc, s12, v14
	v_lshlrev_b64 v[16:17], 2, v[4:5]
	v_addc_co_u32_e32 v15, vcc, v12, v15, vcc
	v_add_u32_e32 v4, -8, v3
	v_add_co_u32_e32 v16, vcc, s14, v16
	v_lshlrev_b64 v[18:19], 2, v[4:5]
	v_addc_co_u32_e32 v17, vcc, v13, v17, vcc
	v_add_co_u32_e32 v18, vcc, s12, v18
	v_addc_co_u32_e32 v19, vcc, v12, v19, vcc
	global_load_dwordx2 v[21:22], v[14:15], off
	global_load_dwordx2 v[23:24], v[16:17], off
	v_add_u32_e32 v4, -6, v3
	global_load_dwordx2 v[14:15], v[18:19], off
	s_waitcnt vmcnt(1)
	v_fmac_f32_e32 v10, v21, v23
	v_fmac_f32_e32 v11, v22, v23
	s_waitcnt vmcnt(0)
	v_fmac_f32_e32 v10, v14, v24
	v_fmac_f32_e32 v11, v15, v24
	v_lshlrev_b64 v[14:15], 2, v[4:5]
	v_add_u32_e32 v4, 10, v20
	v_add_co_u32_e32 v14, vcc, s12, v14
	v_lshlrev_b64 v[16:17], 2, v[4:5]
	v_addc_co_u32_e32 v15, vcc, v12, v15, vcc
	v_add_u32_e32 v4, -4, v3
	v_add_co_u32_e32 v16, vcc, s14, v16
	v_lshlrev_b64 v[18:19], 2, v[4:5]
	v_addc_co_u32_e32 v17, vcc, v13, v17, vcc
	v_add_co_u32_e32 v18, vcc, s12, v18
	v_addc_co_u32_e32 v19, vcc, v12, v19, vcc
	global_load_dwordx2 v[21:22], v[14:15], off
	global_load_dwordx2 v[23:24], v[16:17], off
	v_mov_b32_e32 v4, v5
	global_load_dwordx2 v[14:15], v[18:19], off
	s_waitcnt vmcnt(1)
	v_fmac_f32_e32 v10, v21, v23
	v_fmac_f32_e32 v11, v22, v23
	s_waitcnt vmcnt(0)
	v_fmac_f32_e32 v10, v14, v24
	v_fmac_f32_e32 v11, v15, v24
	v_lshlrev_b64 v[14:15], 2, v[3:4]
	v_add_u32_e32 v4, -2, v3
	v_add_co_u32_e32 v14, vcc, s12, v14
	v_lshlrev_b64 v[16:17], 2, v[4:5]
	v_addc_co_u32_e32 v15, vcc, v12, v15, vcc
	v_add_u32_e32 v4, 12, v20
	v_add_co_u32_e32 v16, vcc, s12, v16
	v_lshlrev_b64 v[18:19], 2, v[4:5]
	v_addc_co_u32_e32 v17, vcc, v12, v17, vcc
	v_add_co_u32_e32 v18, vcc, s14, v18
	v_addc_co_u32_e32 v19, vcc, v13, v19, vcc
	global_load_dwordx2 v[20:21], v[16:17], off
	global_load_dwordx2 v[22:23], v[18:19], off
	v_cmp_ge_i32_e32 vcc, v6, v9
	global_load_dwordx2 v[14:15], v[14:15], off
	s_or_b64 s[8:9], vcc, s[8:9]
	v_add_u32_e32 v3, 0x70, v3
	s_waitcnt vmcnt(1)
	v_fmac_f32_e32 v10, v20, v22
	v_fmac_f32_e32 v11, v21, v22
	s_waitcnt vmcnt(0)
	v_fmac_f32_e32 v10, v14, v23
	v_fmac_f32_e32 v11, v15, v23
	s_andn2_b64 exec, exec, s[8:9]
	s_cbranch_execnz .LBB60_9
; %bb.10:
	s_or_b64 exec, exec, s[8:9]
.LBB60_11:
	s_or_b64 exec, exec, s[6:7]
	s_cbranch_execz .LBB60_13
	s_branch .LBB60_18
.LBB60_12:
                                        ; implicit-def: $vgpr10
                                        ; implicit-def: $vgpr11
.LBB60_13:
	v_mov_b32_e32 v10, 0
	v_mov_b32_e32 v11, 0
	s_and_saveexec_b64 s[6:7], s[0:1]
	s_cbranch_execz .LBB60_17
; %bb.14:
	v_mad_u64_u32 v[4:5], s[0:1], v2, 28, 27
	v_mov_b32_e32 v6, 0
	s_mov_b64 s[0:1], 0
	v_mov_b32_e32 v12, s11
	v_mov_b32_e32 v13, s13
	;; [unrolled: 1-line block ×5, first 2 shown]
.LBB60_15:                              ; =>This Inner Loop Header: Depth=1
	v_ashrrev_i32_e32 v3, 31, v2
	v_lshlrev_b64 v[7:8], 2, v[2:3]
	v_subrev_u32_e32 v5, 27, v4
	v_add_co_u32_e32 v7, vcc, s10, v7
	v_addc_co_u32_e32 v8, vcc, v12, v8, vcc
	global_load_dword v3, v[7:8], off
	v_lshlrev_b64 v[15:16], 2, v[5:6]
	v_mov_b32_e32 v8, v6
	v_add_co_u32_e32 v19, vcc, s12, v15
	v_addc_co_u32_e32 v20, vcc, v13, v16, vcc
	v_add_u32_e32 v5, -12, v4
	v_lshlrev_b64 v[23:24], 2, v[5:6]
	v_add_u32_e32 v2, 4, v2
	s_waitcnt vmcnt(0)
	v_subrev_u32_e32 v3, s18, v3
	v_mul_lo_u32 v7, v3, 14
	v_lshlrev_b64 v[15:16], 2, v[7:8]
	v_add_u32_e32 v5, 2, v7
	v_add_co_u32_e32 v21, vcc, s14, v15
	v_addc_co_u32_e32 v22, vcc, v14, v16, vcc
	v_lshlrev_b64 v[15:16], 2, v[5:6]
	v_add_co_u32_e32 v25, vcc, s14, v15
	v_addc_co_u32_e32 v26, vcc, v14, v16, vcc
	global_load_dwordx2 v[27:28], v[21:22], off
	global_load_dwordx2 v[29:30], v[25:26], off
	global_load_dwordx4 v[15:18], v[19:20], off
	s_waitcnt vmcnt(0)
	v_fmac_f32_e32 v10, v15, v27
	v_fmac_f32_e32 v10, v16, v28
	v_add_u32_e32 v15, -13, v4
	v_mov_b32_e32 v16, v6
	v_lshlrev_b64 v[15:16], 2, v[15:16]
	v_fmac_f32_e32 v10, v17, v29
	v_add_co_u32_e32 v15, vcc, s12, v15
	v_addc_co_u32_e32 v16, vcc, v13, v16, vcc
	v_add_co_u32_e32 v17, vcc, s12, v23
	v_fmac_f32_e32 v10, v18, v30
	v_addc_co_u32_e32 v18, vcc, v13, v24, vcc
	global_load_dword v3, v[15:16], off
	global_load_dword v5, v[17:18], off
	s_waitcnt vmcnt(1)
	v_fmac_f32_e32 v11, v3, v27
	s_waitcnt vmcnt(0)
	v_fmac_f32_e32 v11, v5, v28
	v_add_u32_e32 v5, -11, v4
	v_lshlrev_b64 v[15:16], 2, v[5:6]
	v_add_u32_e32 v5, -10, v4
	v_add_co_u32_e32 v15, vcc, s12, v15
	v_lshlrev_b64 v[17:18], 2, v[5:6]
	v_addc_co_u32_e32 v16, vcc, v13, v16, vcc
	v_add_co_u32_e32 v17, vcc, s12, v17
	v_addc_co_u32_e32 v18, vcc, v13, v18, vcc
	global_load_dword v3, v[15:16], off
	global_load_dword v5, v[17:18], off
	s_waitcnt vmcnt(1)
	v_fmac_f32_e32 v11, v3, v29
	s_waitcnt vmcnt(0)
	v_fmac_f32_e32 v11, v5, v30
	v_subrev_u32_e32 v5, 23, v4
	v_lshlrev_b64 v[15:16], 2, v[5:6]
	v_add_u32_e32 v5, 4, v7
	v_add_co_u32_e32 v15, vcc, s12, v15
	v_lshlrev_b64 v[17:18], 2, v[5:6]
	v_addc_co_u32_e32 v16, vcc, v13, v16, vcc
	v_add_u32_e32 v5, -9, v4
	v_add_co_u32_e32 v17, vcc, s14, v17
	v_lshlrev_b64 v[19:20], 2, v[5:6]
	v_addc_co_u32_e32 v18, vcc, v14, v18, vcc
	v_subrev_u32_e32 v5, 22, v4
	v_add_co_u32_e32 v19, vcc, s12, v19
	v_lshlrev_b64 v[21:22], 2, v[5:6]
	v_addc_co_u32_e32 v20, vcc, v13, v20, vcc
	v_add_u32_e32 v5, -8, v4
	v_add_co_u32_e32 v21, vcc, s12, v21
	v_lshlrev_b64 v[23:24], 2, v[5:6]
	v_addc_co_u32_e32 v22, vcc, v13, v22, vcc
	v_add_co_u32_e32 v23, vcc, s12, v23
	v_addc_co_u32_e32 v24, vcc, v13, v24, vcc
	global_load_dword v3, v[15:16], off
	global_load_dword v5, v[19:20], off
	;; [unrolled: 1-line block ×4, first 2 shown]
	global_load_dwordx2 v[25:26], v[17:18], off
	s_waitcnt vmcnt(0)
	v_fmac_f32_e32 v11, v5, v25
	v_subrev_u32_e32 v5, 21, v4
	v_lshlrev_b64 v[15:16], 2, v[5:6]
	v_add_u32_e32 v5, 6, v7
	v_add_co_u32_e32 v15, vcc, s12, v15
	v_lshlrev_b64 v[17:18], 2, v[5:6]
	v_addc_co_u32_e32 v16, vcc, v13, v16, vcc
	v_add_u32_e32 v5, -7, v4
	v_add_co_u32_e32 v17, vcc, s14, v17
	v_lshlrev_b64 v[19:20], 2, v[5:6]
	v_addc_co_u32_e32 v18, vcc, v14, v18, vcc
	v_subrev_u32_e32 v5, 20, v4
	v_add_co_u32_e32 v19, vcc, s12, v19
	v_lshlrev_b64 v[21:22], 2, v[5:6]
	v_addc_co_u32_e32 v20, vcc, v13, v20, vcc
	v_add_u32_e32 v5, -6, v4
	v_add_co_u32_e32 v21, vcc, s12, v21
	v_lshlrev_b64 v[23:24], 2, v[5:6]
	v_addc_co_u32_e32 v22, vcc, v13, v22, vcc
	v_fmac_f32_e32 v10, v3, v25
	v_add_co_u32_e32 v23, vcc, s12, v23
	v_fmac_f32_e32 v10, v8, v26
	v_fmac_f32_e32 v11, v27, v26
	v_addc_co_u32_e32 v24, vcc, v13, v24, vcc
	global_load_dword v3, v[15:16], off
	global_load_dword v5, v[19:20], off
	global_load_dword v8, v[21:22], off
	global_load_dword v27, v[23:24], off
	global_load_dwordx2 v[25:26], v[17:18], off
	s_waitcnt vmcnt(0)
	v_fmac_f32_e32 v11, v5, v25
	v_subrev_u32_e32 v5, 19, v4
	v_lshlrev_b64 v[15:16], 2, v[5:6]
	v_add_u32_e32 v5, 8, v7
	v_add_co_u32_e32 v15, vcc, s12, v15
	v_lshlrev_b64 v[17:18], 2, v[5:6]
	v_addc_co_u32_e32 v16, vcc, v13, v16, vcc
	v_add_u32_e32 v5, -5, v4
	v_add_co_u32_e32 v17, vcc, s14, v17
	v_lshlrev_b64 v[19:20], 2, v[5:6]
	v_addc_co_u32_e32 v18, vcc, v14, v18, vcc
	v_subrev_u32_e32 v5, 18, v4
	v_add_co_u32_e32 v19, vcc, s12, v19
	v_lshlrev_b64 v[21:22], 2, v[5:6]
	v_addc_co_u32_e32 v20, vcc, v13, v20, vcc
	v_add_u32_e32 v5, -4, v4
	v_add_co_u32_e32 v21, vcc, s12, v21
	v_lshlrev_b64 v[23:24], 2, v[5:6]
	v_addc_co_u32_e32 v22, vcc, v13, v22, vcc
	v_fmac_f32_e32 v10, v3, v25
	v_add_co_u32_e32 v23, vcc, s12, v23
	v_fmac_f32_e32 v10, v8, v26
	v_fmac_f32_e32 v11, v27, v26
	v_addc_co_u32_e32 v24, vcc, v13, v24, vcc
	global_load_dword v3, v[15:16], off
	global_load_dword v5, v[19:20], off
	;; [unrolled: 1-line block ×4, first 2 shown]
	global_load_dwordx2 v[25:26], v[17:18], off
	s_waitcnt vmcnt(0)
	v_fmac_f32_e32 v11, v5, v25
	v_subrev_u32_e32 v5, 17, v4
	v_lshlrev_b64 v[15:16], 2, v[5:6]
	v_add_u32_e32 v5, 10, v7
	v_add_co_u32_e32 v15, vcc, s12, v15
	v_lshlrev_b64 v[17:18], 2, v[5:6]
	v_addc_co_u32_e32 v16, vcc, v13, v16, vcc
	v_add_u32_e32 v5, -3, v4
	v_add_co_u32_e32 v17, vcc, s14, v17
	v_lshlrev_b64 v[19:20], 2, v[5:6]
	v_addc_co_u32_e32 v18, vcc, v14, v18, vcc
	v_add_u32_e32 v5, -16, v4
	;; [unrolled: 4-line block ×3, first 2 shown]
	v_add_co_u32_e32 v21, vcc, s12, v21
	v_lshlrev_b64 v[23:24], 2, v[5:6]
	v_addc_co_u32_e32 v22, vcc, v13, v22, vcc
	v_fmac_f32_e32 v10, v3, v25
	v_add_co_u32_e32 v23, vcc, s12, v23
	v_fmac_f32_e32 v10, v8, v26
	v_fmac_f32_e32 v11, v27, v26
	v_addc_co_u32_e32 v24, vcc, v13, v24, vcc
	global_load_dword v3, v[15:16], off
	global_load_dword v5, v[19:20], off
	;; [unrolled: 1-line block ×4, first 2 shown]
	global_load_dwordx2 v[25:26], v[17:18], off
	s_waitcnt vmcnt(0)
	v_fmac_f32_e32 v11, v5, v25
	v_mov_b32_e32 v5, v6
	v_lshlrev_b64 v[15:16], 2, v[4:5]
	v_add_u32_e32 v5, -15, v4
	v_add_co_u32_e32 v15, vcc, s12, v15
	v_lshlrev_b64 v[17:18], 2, v[5:6]
	v_addc_co_u32_e32 v16, vcc, v13, v16, vcc
	v_fmac_f32_e32 v10, v3, v25
	v_add_u32_e32 v5, 12, v7
	v_add_co_u32_e32 v7, vcc, s12, v17
	v_fmac_f32_e32 v10, v8, v26
	v_addc_co_u32_e32 v8, vcc, v13, v18, vcc
	v_lshlrev_b64 v[17:18], 2, v[5:6]
	v_add_u32_e32 v5, -1, v4
	v_add_co_u32_e32 v17, vcc, s14, v17
	v_lshlrev_b64 v[19:20], 2, v[5:6]
	v_addc_co_u32_e32 v18, vcc, v14, v18, vcc
	v_add_u32_e32 v5, -14, v4
	v_add_co_u32_e32 v19, vcc, s12, v19
	v_lshlrev_b64 v[21:22], 2, v[5:6]
	v_addc_co_u32_e32 v20, vcc, v13, v20, vcc
	v_add_co_u32_e32 v21, vcc, s12, v21
	v_fmac_f32_e32 v11, v27, v26
	v_addc_co_u32_e32 v22, vcc, v13, v22, vcc
	global_load_dword v3, v[15:16], off
	global_load_dword v5, v[7:8], off
	;; [unrolled: 1-line block ×4, first 2 shown]
	global_load_dwordx2 v[23:24], v[17:18], off
	v_cmp_ge_i32_e32 vcc, v2, v9
	s_or_b64 s[0:1], vcc, s[0:1]
	v_add_u32_e32 v4, 0x70, v4
	s_waitcnt vmcnt(0)
	v_fmac_f32_e32 v10, v5, v23
	v_fmac_f32_e32 v11, v25, v23
	;; [unrolled: 1-line block ×4, first 2 shown]
	s_andn2_b64 exec, exec, s[0:1]
	s_cbranch_execnz .LBB60_15
; %bb.16:
	s_or_b64 exec, exec, s[0:1]
.LBB60_17:
	s_or_b64 exec, exec, s[6:7]
.LBB60_18:
	v_mov_b32_dpp v2, v10 row_shr:1 row_mask:0xf bank_mask:0xf
	v_mov_b32_dpp v4, v11 row_shr:1 row_mask:0xf bank_mask:0xf
	v_add_f32_e32 v2, v10, v2
	v_add_f32_e32 v4, v11, v4
	v_cmp_eq_u32_e32 vcc, 3, v0
	v_mov_b32_dpp v3, v2 row_shr:2 row_mask:0xf bank_mask:0xf
	v_mov_b32_dpp v5, v4 row_shr:2 row_mask:0xf bank_mask:0xf
	s_and_b64 exec, exec, vcc
	s_cbranch_execz .LBB60_22
; %bb.19:
	s_load_dwordx2 s[0:1], s[4:5], 0x38
	v_add_f32_e32 v0, v2, v3
	v_add_f32_e32 v3, v4, v5
	v_cmp_eq_f32_e64 s[4:5], s2, 0
	s_and_b64 vcc, exec, s[4:5]
	v_mul_f32_e32 v2, s16, v0
	v_mul_f32_e32 v3, s16, v3
	v_lshlrev_b32_e32 v0, 1, v1
	s_cbranch_vccz .LBB60_23
; %bb.20:
	v_ashrrev_i32_e32 v1, 31, v0
	v_lshlrev_b64 v[4:5], 2, v[0:1]
	s_waitcnt lgkmcnt(0)
	v_mov_b32_e32 v1, s1
	v_add_co_u32_e32 v4, vcc, s0, v4
	v_addc_co_u32_e32 v5, vcc, v1, v5, vcc
	global_store_dwordx2 v[4:5], v[2:3], off
	s_cbranch_execnz .LBB60_22
.LBB60_21:
	v_ashrrev_i32_e32 v1, 31, v0
	v_lshlrev_b64 v[0:1], 2, v[0:1]
	s_waitcnt lgkmcnt(0)
	v_mov_b32_e32 v4, s1
	v_add_co_u32_e32 v0, vcc, s0, v0
	v_addc_co_u32_e32 v1, vcc, v4, v1, vcc
	global_load_dwordx2 v[4:5], v[0:1], off
	s_waitcnt vmcnt(0)
	v_fmac_f32_e32 v2, s2, v4
	v_fmac_f32_e32 v3, s2, v5
	global_store_dwordx2 v[0:1], v[2:3], off
.LBB60_22:
	s_endpgm
.LBB60_23:
	s_branch .LBB60_21
	.section	.rodata,"a",@progbits
	.p2align	6, 0x0
	.amdhsa_kernel _ZN9rocsparseL19gebsrmvn_2xn_kernelILj128ELj14ELj4EfEEvi20rocsparse_direction_NS_24const_host_device_scalarIT2_EEPKiS6_PKS3_S8_S4_PS3_21rocsparse_index_base_b
		.amdhsa_group_segment_fixed_size 0
		.amdhsa_private_segment_fixed_size 0
		.amdhsa_kernarg_size 72
		.amdhsa_user_sgpr_count 6
		.amdhsa_user_sgpr_private_segment_buffer 1
		.amdhsa_user_sgpr_dispatch_ptr 0
		.amdhsa_user_sgpr_queue_ptr 0
		.amdhsa_user_sgpr_kernarg_segment_ptr 1
		.amdhsa_user_sgpr_dispatch_id 0
		.amdhsa_user_sgpr_flat_scratch_init 0
		.amdhsa_user_sgpr_private_segment_size 0
		.amdhsa_uses_dynamic_stack 0
		.amdhsa_system_sgpr_private_segment_wavefront_offset 0
		.amdhsa_system_sgpr_workgroup_id_x 1
		.amdhsa_system_sgpr_workgroup_id_y 0
		.amdhsa_system_sgpr_workgroup_id_z 0
		.amdhsa_system_sgpr_workgroup_info 0
		.amdhsa_system_vgpr_workitem_id 0
		.amdhsa_next_free_vgpr 31
		.amdhsa_next_free_sgpr 20
		.amdhsa_reserve_vcc 1
		.amdhsa_reserve_flat_scratch 0
		.amdhsa_float_round_mode_32 0
		.amdhsa_float_round_mode_16_64 0
		.amdhsa_float_denorm_mode_32 3
		.amdhsa_float_denorm_mode_16_64 3
		.amdhsa_dx10_clamp 1
		.amdhsa_ieee_mode 1
		.amdhsa_fp16_overflow 0
		.amdhsa_exception_fp_ieee_invalid_op 0
		.amdhsa_exception_fp_denorm_src 0
		.amdhsa_exception_fp_ieee_div_zero 0
		.amdhsa_exception_fp_ieee_overflow 0
		.amdhsa_exception_fp_ieee_underflow 0
		.amdhsa_exception_fp_ieee_inexact 0
		.amdhsa_exception_int_div_zero 0
	.end_amdhsa_kernel
	.section	.text._ZN9rocsparseL19gebsrmvn_2xn_kernelILj128ELj14ELj4EfEEvi20rocsparse_direction_NS_24const_host_device_scalarIT2_EEPKiS6_PKS3_S8_S4_PS3_21rocsparse_index_base_b,"axG",@progbits,_ZN9rocsparseL19gebsrmvn_2xn_kernelILj128ELj14ELj4EfEEvi20rocsparse_direction_NS_24const_host_device_scalarIT2_EEPKiS6_PKS3_S8_S4_PS3_21rocsparse_index_base_b,comdat
.Lfunc_end60:
	.size	_ZN9rocsparseL19gebsrmvn_2xn_kernelILj128ELj14ELj4EfEEvi20rocsparse_direction_NS_24const_host_device_scalarIT2_EEPKiS6_PKS3_S8_S4_PS3_21rocsparse_index_base_b, .Lfunc_end60-_ZN9rocsparseL19gebsrmvn_2xn_kernelILj128ELj14ELj4EfEEvi20rocsparse_direction_NS_24const_host_device_scalarIT2_EEPKiS6_PKS3_S8_S4_PS3_21rocsparse_index_base_b
                                        ; -- End function
	.set _ZN9rocsparseL19gebsrmvn_2xn_kernelILj128ELj14ELj4EfEEvi20rocsparse_direction_NS_24const_host_device_scalarIT2_EEPKiS6_PKS3_S8_S4_PS3_21rocsparse_index_base_b.num_vgpr, 31
	.set _ZN9rocsparseL19gebsrmvn_2xn_kernelILj128ELj14ELj4EfEEvi20rocsparse_direction_NS_24const_host_device_scalarIT2_EEPKiS6_PKS3_S8_S4_PS3_21rocsparse_index_base_b.num_agpr, 0
	.set _ZN9rocsparseL19gebsrmvn_2xn_kernelILj128ELj14ELj4EfEEvi20rocsparse_direction_NS_24const_host_device_scalarIT2_EEPKiS6_PKS3_S8_S4_PS3_21rocsparse_index_base_b.numbered_sgpr, 20
	.set _ZN9rocsparseL19gebsrmvn_2xn_kernelILj128ELj14ELj4EfEEvi20rocsparse_direction_NS_24const_host_device_scalarIT2_EEPKiS6_PKS3_S8_S4_PS3_21rocsparse_index_base_b.num_named_barrier, 0
	.set _ZN9rocsparseL19gebsrmvn_2xn_kernelILj128ELj14ELj4EfEEvi20rocsparse_direction_NS_24const_host_device_scalarIT2_EEPKiS6_PKS3_S8_S4_PS3_21rocsparse_index_base_b.private_seg_size, 0
	.set _ZN9rocsparseL19gebsrmvn_2xn_kernelILj128ELj14ELj4EfEEvi20rocsparse_direction_NS_24const_host_device_scalarIT2_EEPKiS6_PKS3_S8_S4_PS3_21rocsparse_index_base_b.uses_vcc, 1
	.set _ZN9rocsparseL19gebsrmvn_2xn_kernelILj128ELj14ELj4EfEEvi20rocsparse_direction_NS_24const_host_device_scalarIT2_EEPKiS6_PKS3_S8_S4_PS3_21rocsparse_index_base_b.uses_flat_scratch, 0
	.set _ZN9rocsparseL19gebsrmvn_2xn_kernelILj128ELj14ELj4EfEEvi20rocsparse_direction_NS_24const_host_device_scalarIT2_EEPKiS6_PKS3_S8_S4_PS3_21rocsparse_index_base_b.has_dyn_sized_stack, 0
	.set _ZN9rocsparseL19gebsrmvn_2xn_kernelILj128ELj14ELj4EfEEvi20rocsparse_direction_NS_24const_host_device_scalarIT2_EEPKiS6_PKS3_S8_S4_PS3_21rocsparse_index_base_b.has_recursion, 0
	.set _ZN9rocsparseL19gebsrmvn_2xn_kernelILj128ELj14ELj4EfEEvi20rocsparse_direction_NS_24const_host_device_scalarIT2_EEPKiS6_PKS3_S8_S4_PS3_21rocsparse_index_base_b.has_indirect_call, 0
	.section	.AMDGPU.csdata,"",@progbits
; Kernel info:
; codeLenInByte = 2472
; TotalNumSgprs: 24
; NumVgprs: 31
; ScratchSize: 0
; MemoryBound: 0
; FloatMode: 240
; IeeeMode: 1
; LDSByteSize: 0 bytes/workgroup (compile time only)
; SGPRBlocks: 2
; VGPRBlocks: 7
; NumSGPRsForWavesPerEU: 24
; NumVGPRsForWavesPerEU: 31
; Occupancy: 8
; WaveLimiterHint : 1
; COMPUTE_PGM_RSRC2:SCRATCH_EN: 0
; COMPUTE_PGM_RSRC2:USER_SGPR: 6
; COMPUTE_PGM_RSRC2:TRAP_HANDLER: 0
; COMPUTE_PGM_RSRC2:TGID_X_EN: 1
; COMPUTE_PGM_RSRC2:TGID_Y_EN: 0
; COMPUTE_PGM_RSRC2:TGID_Z_EN: 0
; COMPUTE_PGM_RSRC2:TIDIG_COMP_CNT: 0
	.section	.text._ZN9rocsparseL19gebsrmvn_2xn_kernelILj128ELj14ELj8EfEEvi20rocsparse_direction_NS_24const_host_device_scalarIT2_EEPKiS6_PKS3_S8_S4_PS3_21rocsparse_index_base_b,"axG",@progbits,_ZN9rocsparseL19gebsrmvn_2xn_kernelILj128ELj14ELj8EfEEvi20rocsparse_direction_NS_24const_host_device_scalarIT2_EEPKiS6_PKS3_S8_S4_PS3_21rocsparse_index_base_b,comdat
	.globl	_ZN9rocsparseL19gebsrmvn_2xn_kernelILj128ELj14ELj8EfEEvi20rocsparse_direction_NS_24const_host_device_scalarIT2_EEPKiS6_PKS3_S8_S4_PS3_21rocsparse_index_base_b ; -- Begin function _ZN9rocsparseL19gebsrmvn_2xn_kernelILj128ELj14ELj8EfEEvi20rocsparse_direction_NS_24const_host_device_scalarIT2_EEPKiS6_PKS3_S8_S4_PS3_21rocsparse_index_base_b
	.p2align	8
	.type	_ZN9rocsparseL19gebsrmvn_2xn_kernelILj128ELj14ELj8EfEEvi20rocsparse_direction_NS_24const_host_device_scalarIT2_EEPKiS6_PKS3_S8_S4_PS3_21rocsparse_index_base_b,@function
_ZN9rocsparseL19gebsrmvn_2xn_kernelILj128ELj14ELj8EfEEvi20rocsparse_direction_NS_24const_host_device_scalarIT2_EEPKiS6_PKS3_S8_S4_PS3_21rocsparse_index_base_b: ; @_ZN9rocsparseL19gebsrmvn_2xn_kernelILj128ELj14ELj8EfEEvi20rocsparse_direction_NS_24const_host_device_scalarIT2_EEPKiS6_PKS3_S8_S4_PS3_21rocsparse_index_base_b
; %bb.0:
	s_load_dwordx2 s[18:19], s[4:5], 0x40
	s_load_dwordx2 s[16:17], s[4:5], 0x8
	;; [unrolled: 1-line block ×3, first 2 shown]
	s_waitcnt lgkmcnt(0)
	s_bitcmp1_b32 s19, 0
	s_cselect_b64 s[8:9], -1, 0
	s_xor_b64 s[0:1], s[8:9], -1
	s_and_b64 vcc, exec, s[8:9]
	s_cbranch_vccnz .LBB61_2
; %bb.1:
	s_load_dword s16, s[16:17], 0x0
.LBB61_2:
	s_andn2_b64 vcc, exec, s[0:1]
	s_cbranch_vccnz .LBB61_4
; %bb.3:
	s_load_dword s2, s[2:3], 0x0
.LBB61_4:
	s_waitcnt lgkmcnt(0)
	v_cmp_eq_f32_e64 s[0:1], s16, 0
	v_cmp_eq_f32_e64 s[8:9], s2, 1.0
	s_and_b64 s[0:1], s[0:1], s[8:9]
	s_and_b64 vcc, exec, s[0:1]
	s_cbranch_vccnz .LBB61_22
; %bb.5:
	s_load_dwordx2 s[0:1], s[4:5], 0x0
	v_lshrrev_b32_e32 v1, 3, v0
	v_lshl_or_b32 v1, s6, 4, v1
	s_waitcnt lgkmcnt(0)
	v_cmp_gt_i32_e32 vcc, s0, v1
	s_and_saveexec_b64 s[6:7], vcc
	s_cbranch_execz .LBB61_22
; %bb.6:
	s_load_dwordx8 s[8:15], s[4:5], 0x10
	v_ashrrev_i32_e32 v2, 31, v1
	v_lshlrev_b64 v[2:3], 2, v[1:2]
	v_and_b32_e32 v0, 7, v0
	s_cmp_lg_u32 s1, 0
	s_waitcnt lgkmcnt(0)
	v_mov_b32_e32 v4, s9
	v_add_co_u32_e32 v2, vcc, s8, v2
	v_addc_co_u32_e32 v3, vcc, v4, v3, vcc
	global_load_dwordx2 v[2:3], v[2:3], off
	s_waitcnt vmcnt(0)
	v_subrev_u32_e32 v2, s18, v2
	v_subrev_u32_e32 v9, s18, v3
	v_add_u32_e32 v2, v2, v0
	v_cmp_lt_i32_e64 s[0:1], v2, v9
	s_cbranch_scc0 .LBB61_12
; %bb.7:
	v_mov_b32_e32 v10, 0
	v_mov_b32_e32 v11, 0
	s_and_saveexec_b64 s[6:7], s[0:1]
	s_cbranch_execz .LBB61_11
; %bb.8:
	v_mad_u64_u32 v[3:4], s[8:9], v2, 28, 26
	v_mov_b32_e32 v5, 0
	s_mov_b64 s[8:9], 0
	v_mov_b32_e32 v8, s11
	v_mov_b32_e32 v12, s13
	;; [unrolled: 1-line block ×6, first 2 shown]
.LBB61_9:                               ; =>This Inner Loop Header: Depth=1
	v_ashrrev_i32_e32 v7, 31, v6
	v_lshlrev_b64 v[14:15], 2, v[6:7]
	v_subrev_u32_e32 v4, 26, v3
	v_add_co_u32_e32 v14, vcc, s10, v14
	v_addc_co_u32_e32 v15, vcc, v8, v15, vcc
	v_lshlrev_b64 v[16:17], 2, v[4:5]
	global_load_dword v4, v[14:15], off
	v_mov_b32_e32 v21, v5
	v_add_co_u32_e32 v18, vcc, s12, v16
	v_addc_co_u32_e32 v19, vcc, v12, v17, vcc
	v_add_u32_e32 v6, 8, v6
	s_waitcnt vmcnt(0)
	v_subrev_u32_e32 v4, s18, v4
	v_mul_lo_u32 v20, v4, 14
	v_subrev_u32_e32 v4, 22, v3
	v_lshlrev_b64 v[14:15], 2, v[20:21]
	v_add_co_u32_e32 v21, vcc, s14, v14
	v_addc_co_u32_e32 v22, vcc, v13, v15, vcc
	global_load_dwordx2 v[23:24], v[21:22], off
	global_load_dwordx4 v[14:17], v[18:19], off
	s_waitcnt vmcnt(0)
	v_fmac_f32_e32 v10, v14, v23
	v_fmac_f32_e32 v11, v15, v23
	v_lshlrev_b64 v[14:15], 2, v[4:5]
	v_add_u32_e32 v4, 2, v20
	v_fmac_f32_e32 v10, v16, v24
	v_fmac_f32_e32 v11, v17, v24
	v_add_co_u32_e32 v14, vcc, s12, v14
	v_lshlrev_b64 v[16:17], 2, v[4:5]
	v_addc_co_u32_e32 v15, vcc, v12, v15, vcc
	v_subrev_u32_e32 v4, 20, v3
	v_add_co_u32_e32 v16, vcc, s14, v16
	v_lshlrev_b64 v[18:19], 2, v[4:5]
	v_addc_co_u32_e32 v17, vcc, v13, v17, vcc
	v_add_co_u32_e32 v18, vcc, s12, v18
	v_addc_co_u32_e32 v19, vcc, v12, v19, vcc
	global_load_dwordx2 v[21:22], v[14:15], off
	global_load_dwordx2 v[23:24], v[16:17], off
	v_subrev_u32_e32 v4, 18, v3
	global_load_dwordx2 v[14:15], v[18:19], off
	s_waitcnt vmcnt(1)
	v_fmac_f32_e32 v10, v21, v23
	v_fmac_f32_e32 v11, v22, v23
	s_waitcnt vmcnt(0)
	v_fmac_f32_e32 v10, v14, v24
	v_fmac_f32_e32 v11, v15, v24
	v_lshlrev_b64 v[14:15], 2, v[4:5]
	v_add_u32_e32 v4, 4, v20
	v_add_co_u32_e32 v14, vcc, s12, v14
	v_lshlrev_b64 v[16:17], 2, v[4:5]
	v_addc_co_u32_e32 v15, vcc, v12, v15, vcc
	v_add_u32_e32 v4, -16, v3
	v_add_co_u32_e32 v16, vcc, s14, v16
	v_lshlrev_b64 v[18:19], 2, v[4:5]
	v_addc_co_u32_e32 v17, vcc, v13, v17, vcc
	v_add_co_u32_e32 v18, vcc, s12, v18
	v_addc_co_u32_e32 v19, vcc, v12, v19, vcc
	global_load_dwordx2 v[21:22], v[14:15], off
	global_load_dwordx2 v[23:24], v[16:17], off
	v_add_u32_e32 v4, -14, v3
	global_load_dwordx2 v[14:15], v[18:19], off
	s_waitcnt vmcnt(1)
	v_fmac_f32_e32 v10, v21, v23
	v_fmac_f32_e32 v11, v22, v23
	s_waitcnt vmcnt(0)
	v_fmac_f32_e32 v10, v14, v24
	v_fmac_f32_e32 v11, v15, v24
	v_lshlrev_b64 v[14:15], 2, v[4:5]
	v_add_u32_e32 v4, 6, v20
	v_add_co_u32_e32 v14, vcc, s12, v14
	v_lshlrev_b64 v[16:17], 2, v[4:5]
	v_addc_co_u32_e32 v15, vcc, v12, v15, vcc
	v_add_u32_e32 v4, -12, v3
	v_add_co_u32_e32 v16, vcc, s14, v16
	v_lshlrev_b64 v[18:19], 2, v[4:5]
	v_addc_co_u32_e32 v17, vcc, v13, v17, vcc
	v_add_co_u32_e32 v18, vcc, s12, v18
	v_addc_co_u32_e32 v19, vcc, v12, v19, vcc
	global_load_dwordx2 v[21:22], v[14:15], off
	global_load_dwordx2 v[23:24], v[16:17], off
	v_add_u32_e32 v4, -10, v3
	;; [unrolled: 21-line block ×3, first 2 shown]
	global_load_dwordx2 v[14:15], v[18:19], off
	s_waitcnt vmcnt(1)
	v_fmac_f32_e32 v10, v21, v23
	v_fmac_f32_e32 v11, v22, v23
	s_waitcnt vmcnt(0)
	v_fmac_f32_e32 v10, v14, v24
	v_fmac_f32_e32 v11, v15, v24
	v_lshlrev_b64 v[14:15], 2, v[4:5]
	v_add_u32_e32 v4, 10, v20
	v_add_co_u32_e32 v14, vcc, s12, v14
	v_lshlrev_b64 v[16:17], 2, v[4:5]
	v_addc_co_u32_e32 v15, vcc, v12, v15, vcc
	v_add_u32_e32 v4, -4, v3
	v_add_co_u32_e32 v16, vcc, s14, v16
	v_lshlrev_b64 v[18:19], 2, v[4:5]
	v_addc_co_u32_e32 v17, vcc, v13, v17, vcc
	v_add_co_u32_e32 v18, vcc, s12, v18
	v_addc_co_u32_e32 v19, vcc, v12, v19, vcc
	global_load_dwordx2 v[21:22], v[14:15], off
	global_load_dwordx2 v[23:24], v[16:17], off
	v_mov_b32_e32 v4, v5
	global_load_dwordx2 v[14:15], v[18:19], off
	s_waitcnt vmcnt(1)
	v_fmac_f32_e32 v10, v21, v23
	v_fmac_f32_e32 v11, v22, v23
	s_waitcnt vmcnt(0)
	v_fmac_f32_e32 v10, v14, v24
	v_fmac_f32_e32 v11, v15, v24
	v_lshlrev_b64 v[14:15], 2, v[3:4]
	v_add_u32_e32 v4, -2, v3
	v_add_co_u32_e32 v14, vcc, s12, v14
	v_lshlrev_b64 v[16:17], 2, v[4:5]
	v_addc_co_u32_e32 v15, vcc, v12, v15, vcc
	v_add_u32_e32 v4, 12, v20
	v_add_co_u32_e32 v16, vcc, s12, v16
	v_lshlrev_b64 v[18:19], 2, v[4:5]
	v_addc_co_u32_e32 v17, vcc, v12, v17, vcc
	v_add_co_u32_e32 v18, vcc, s14, v18
	v_addc_co_u32_e32 v19, vcc, v13, v19, vcc
	global_load_dwordx2 v[20:21], v[16:17], off
	global_load_dwordx2 v[22:23], v[18:19], off
	v_cmp_ge_i32_e32 vcc, v6, v9
	global_load_dwordx2 v[14:15], v[14:15], off
	s_or_b64 s[8:9], vcc, s[8:9]
	v_add_u32_e32 v3, 0xe0, v3
	s_waitcnt vmcnt(1)
	v_fmac_f32_e32 v10, v20, v22
	v_fmac_f32_e32 v11, v21, v22
	s_waitcnt vmcnt(0)
	v_fmac_f32_e32 v10, v14, v23
	v_fmac_f32_e32 v11, v15, v23
	s_andn2_b64 exec, exec, s[8:9]
	s_cbranch_execnz .LBB61_9
; %bb.10:
	s_or_b64 exec, exec, s[8:9]
.LBB61_11:
	s_or_b64 exec, exec, s[6:7]
	s_cbranch_execz .LBB61_13
	s_branch .LBB61_18
.LBB61_12:
                                        ; implicit-def: $vgpr10
                                        ; implicit-def: $vgpr11
.LBB61_13:
	v_mov_b32_e32 v10, 0
	v_mov_b32_e32 v11, 0
	s_and_saveexec_b64 s[6:7], s[0:1]
	s_cbranch_execz .LBB61_17
; %bb.14:
	v_mad_u64_u32 v[4:5], s[0:1], v2, 28, 27
	v_mov_b32_e32 v6, 0
	s_mov_b64 s[0:1], 0
	v_mov_b32_e32 v12, s11
	v_mov_b32_e32 v13, s13
	;; [unrolled: 1-line block ×5, first 2 shown]
.LBB61_15:                              ; =>This Inner Loop Header: Depth=1
	v_ashrrev_i32_e32 v3, 31, v2
	v_lshlrev_b64 v[7:8], 2, v[2:3]
	v_subrev_u32_e32 v5, 27, v4
	v_add_co_u32_e32 v7, vcc, s10, v7
	v_addc_co_u32_e32 v8, vcc, v12, v8, vcc
	global_load_dword v3, v[7:8], off
	v_lshlrev_b64 v[15:16], 2, v[5:6]
	v_mov_b32_e32 v8, v6
	v_add_co_u32_e32 v19, vcc, s12, v15
	v_addc_co_u32_e32 v20, vcc, v13, v16, vcc
	v_add_u32_e32 v5, -12, v4
	v_lshlrev_b64 v[23:24], 2, v[5:6]
	v_add_u32_e32 v2, 8, v2
	s_waitcnt vmcnt(0)
	v_subrev_u32_e32 v3, s18, v3
	v_mul_lo_u32 v7, v3, 14
	v_lshlrev_b64 v[15:16], 2, v[7:8]
	v_add_u32_e32 v5, 2, v7
	v_add_co_u32_e32 v21, vcc, s14, v15
	v_addc_co_u32_e32 v22, vcc, v14, v16, vcc
	v_lshlrev_b64 v[15:16], 2, v[5:6]
	v_add_co_u32_e32 v25, vcc, s14, v15
	v_addc_co_u32_e32 v26, vcc, v14, v16, vcc
	global_load_dwordx2 v[27:28], v[21:22], off
	global_load_dwordx2 v[29:30], v[25:26], off
	global_load_dwordx4 v[15:18], v[19:20], off
	s_waitcnt vmcnt(0)
	v_fmac_f32_e32 v10, v15, v27
	v_fmac_f32_e32 v10, v16, v28
	v_add_u32_e32 v15, -13, v4
	v_mov_b32_e32 v16, v6
	v_lshlrev_b64 v[15:16], 2, v[15:16]
	v_fmac_f32_e32 v10, v17, v29
	v_add_co_u32_e32 v15, vcc, s12, v15
	v_addc_co_u32_e32 v16, vcc, v13, v16, vcc
	v_add_co_u32_e32 v17, vcc, s12, v23
	v_fmac_f32_e32 v10, v18, v30
	v_addc_co_u32_e32 v18, vcc, v13, v24, vcc
	global_load_dword v3, v[15:16], off
	global_load_dword v5, v[17:18], off
	s_waitcnt vmcnt(1)
	v_fmac_f32_e32 v11, v3, v27
	s_waitcnt vmcnt(0)
	v_fmac_f32_e32 v11, v5, v28
	v_add_u32_e32 v5, -11, v4
	v_lshlrev_b64 v[15:16], 2, v[5:6]
	v_add_u32_e32 v5, -10, v4
	v_add_co_u32_e32 v15, vcc, s12, v15
	v_lshlrev_b64 v[17:18], 2, v[5:6]
	v_addc_co_u32_e32 v16, vcc, v13, v16, vcc
	v_add_co_u32_e32 v17, vcc, s12, v17
	v_addc_co_u32_e32 v18, vcc, v13, v18, vcc
	global_load_dword v3, v[15:16], off
	global_load_dword v5, v[17:18], off
	s_waitcnt vmcnt(1)
	v_fmac_f32_e32 v11, v3, v29
	s_waitcnt vmcnt(0)
	v_fmac_f32_e32 v11, v5, v30
	v_subrev_u32_e32 v5, 23, v4
	v_lshlrev_b64 v[15:16], 2, v[5:6]
	v_add_u32_e32 v5, 4, v7
	v_add_co_u32_e32 v15, vcc, s12, v15
	v_lshlrev_b64 v[17:18], 2, v[5:6]
	v_addc_co_u32_e32 v16, vcc, v13, v16, vcc
	v_add_u32_e32 v5, -9, v4
	v_add_co_u32_e32 v17, vcc, s14, v17
	v_lshlrev_b64 v[19:20], 2, v[5:6]
	v_addc_co_u32_e32 v18, vcc, v14, v18, vcc
	v_subrev_u32_e32 v5, 22, v4
	v_add_co_u32_e32 v19, vcc, s12, v19
	v_lshlrev_b64 v[21:22], 2, v[5:6]
	v_addc_co_u32_e32 v20, vcc, v13, v20, vcc
	v_add_u32_e32 v5, -8, v4
	v_add_co_u32_e32 v21, vcc, s12, v21
	v_lshlrev_b64 v[23:24], 2, v[5:6]
	v_addc_co_u32_e32 v22, vcc, v13, v22, vcc
	v_add_co_u32_e32 v23, vcc, s12, v23
	v_addc_co_u32_e32 v24, vcc, v13, v24, vcc
	global_load_dword v3, v[15:16], off
	global_load_dword v5, v[19:20], off
	;; [unrolled: 1-line block ×4, first 2 shown]
	global_load_dwordx2 v[25:26], v[17:18], off
	s_waitcnt vmcnt(0)
	v_fmac_f32_e32 v11, v5, v25
	v_subrev_u32_e32 v5, 21, v4
	v_lshlrev_b64 v[15:16], 2, v[5:6]
	v_add_u32_e32 v5, 6, v7
	v_add_co_u32_e32 v15, vcc, s12, v15
	v_lshlrev_b64 v[17:18], 2, v[5:6]
	v_addc_co_u32_e32 v16, vcc, v13, v16, vcc
	v_add_u32_e32 v5, -7, v4
	v_add_co_u32_e32 v17, vcc, s14, v17
	v_lshlrev_b64 v[19:20], 2, v[5:6]
	v_addc_co_u32_e32 v18, vcc, v14, v18, vcc
	v_subrev_u32_e32 v5, 20, v4
	v_add_co_u32_e32 v19, vcc, s12, v19
	v_lshlrev_b64 v[21:22], 2, v[5:6]
	v_addc_co_u32_e32 v20, vcc, v13, v20, vcc
	v_add_u32_e32 v5, -6, v4
	v_add_co_u32_e32 v21, vcc, s12, v21
	v_lshlrev_b64 v[23:24], 2, v[5:6]
	v_addc_co_u32_e32 v22, vcc, v13, v22, vcc
	v_fmac_f32_e32 v10, v3, v25
	v_add_co_u32_e32 v23, vcc, s12, v23
	v_fmac_f32_e32 v10, v8, v26
	v_fmac_f32_e32 v11, v27, v26
	v_addc_co_u32_e32 v24, vcc, v13, v24, vcc
	global_load_dword v3, v[15:16], off
	global_load_dword v5, v[19:20], off
	;; [unrolled: 1-line block ×4, first 2 shown]
	global_load_dwordx2 v[25:26], v[17:18], off
	s_waitcnt vmcnt(0)
	v_fmac_f32_e32 v11, v5, v25
	v_subrev_u32_e32 v5, 19, v4
	v_lshlrev_b64 v[15:16], 2, v[5:6]
	v_add_u32_e32 v5, 8, v7
	v_add_co_u32_e32 v15, vcc, s12, v15
	v_lshlrev_b64 v[17:18], 2, v[5:6]
	v_addc_co_u32_e32 v16, vcc, v13, v16, vcc
	v_add_u32_e32 v5, -5, v4
	v_add_co_u32_e32 v17, vcc, s14, v17
	v_lshlrev_b64 v[19:20], 2, v[5:6]
	v_addc_co_u32_e32 v18, vcc, v14, v18, vcc
	v_subrev_u32_e32 v5, 18, v4
	v_add_co_u32_e32 v19, vcc, s12, v19
	v_lshlrev_b64 v[21:22], 2, v[5:6]
	v_addc_co_u32_e32 v20, vcc, v13, v20, vcc
	v_add_u32_e32 v5, -4, v4
	v_add_co_u32_e32 v21, vcc, s12, v21
	v_lshlrev_b64 v[23:24], 2, v[5:6]
	v_addc_co_u32_e32 v22, vcc, v13, v22, vcc
	v_fmac_f32_e32 v10, v3, v25
	v_add_co_u32_e32 v23, vcc, s12, v23
	v_fmac_f32_e32 v10, v8, v26
	v_fmac_f32_e32 v11, v27, v26
	v_addc_co_u32_e32 v24, vcc, v13, v24, vcc
	global_load_dword v3, v[15:16], off
	global_load_dword v5, v[19:20], off
	;; [unrolled: 1-line block ×4, first 2 shown]
	global_load_dwordx2 v[25:26], v[17:18], off
	s_waitcnt vmcnt(0)
	v_fmac_f32_e32 v11, v5, v25
	v_subrev_u32_e32 v5, 17, v4
	v_lshlrev_b64 v[15:16], 2, v[5:6]
	v_add_u32_e32 v5, 10, v7
	v_add_co_u32_e32 v15, vcc, s12, v15
	v_lshlrev_b64 v[17:18], 2, v[5:6]
	v_addc_co_u32_e32 v16, vcc, v13, v16, vcc
	v_add_u32_e32 v5, -3, v4
	v_add_co_u32_e32 v17, vcc, s14, v17
	v_lshlrev_b64 v[19:20], 2, v[5:6]
	v_addc_co_u32_e32 v18, vcc, v14, v18, vcc
	v_add_u32_e32 v5, -16, v4
	;; [unrolled: 4-line block ×3, first 2 shown]
	v_add_co_u32_e32 v21, vcc, s12, v21
	v_lshlrev_b64 v[23:24], 2, v[5:6]
	v_addc_co_u32_e32 v22, vcc, v13, v22, vcc
	v_fmac_f32_e32 v10, v3, v25
	v_add_co_u32_e32 v23, vcc, s12, v23
	v_fmac_f32_e32 v10, v8, v26
	v_fmac_f32_e32 v11, v27, v26
	v_addc_co_u32_e32 v24, vcc, v13, v24, vcc
	global_load_dword v3, v[15:16], off
	global_load_dword v5, v[19:20], off
	global_load_dword v8, v[21:22], off
	global_load_dword v27, v[23:24], off
	global_load_dwordx2 v[25:26], v[17:18], off
	s_waitcnt vmcnt(0)
	v_fmac_f32_e32 v11, v5, v25
	v_mov_b32_e32 v5, v6
	v_lshlrev_b64 v[15:16], 2, v[4:5]
	v_add_u32_e32 v5, -15, v4
	v_add_co_u32_e32 v15, vcc, s12, v15
	v_lshlrev_b64 v[17:18], 2, v[5:6]
	v_addc_co_u32_e32 v16, vcc, v13, v16, vcc
	v_fmac_f32_e32 v10, v3, v25
	v_add_u32_e32 v5, 12, v7
	v_add_co_u32_e32 v7, vcc, s12, v17
	v_fmac_f32_e32 v10, v8, v26
	v_addc_co_u32_e32 v8, vcc, v13, v18, vcc
	v_lshlrev_b64 v[17:18], 2, v[5:6]
	v_add_u32_e32 v5, -1, v4
	v_add_co_u32_e32 v17, vcc, s14, v17
	v_lshlrev_b64 v[19:20], 2, v[5:6]
	v_addc_co_u32_e32 v18, vcc, v14, v18, vcc
	v_add_u32_e32 v5, -14, v4
	v_add_co_u32_e32 v19, vcc, s12, v19
	v_lshlrev_b64 v[21:22], 2, v[5:6]
	v_addc_co_u32_e32 v20, vcc, v13, v20, vcc
	v_add_co_u32_e32 v21, vcc, s12, v21
	v_fmac_f32_e32 v11, v27, v26
	v_addc_co_u32_e32 v22, vcc, v13, v22, vcc
	global_load_dword v3, v[15:16], off
	global_load_dword v5, v[7:8], off
	global_load_dword v25, v[19:20], off
	global_load_dword v26, v[21:22], off
	global_load_dwordx2 v[23:24], v[17:18], off
	v_cmp_ge_i32_e32 vcc, v2, v9
	s_or_b64 s[0:1], vcc, s[0:1]
	v_add_u32_e32 v4, 0xe0, v4
	s_waitcnt vmcnt(0)
	v_fmac_f32_e32 v10, v5, v23
	v_fmac_f32_e32 v11, v25, v23
	;; [unrolled: 1-line block ×4, first 2 shown]
	s_andn2_b64 exec, exec, s[0:1]
	s_cbranch_execnz .LBB61_15
; %bb.16:
	s_or_b64 exec, exec, s[0:1]
.LBB61_17:
	s_or_b64 exec, exec, s[6:7]
.LBB61_18:
	v_mov_b32_dpp v2, v10 row_shr:1 row_mask:0xf bank_mask:0xf
	v_mov_b32_dpp v4, v11 row_shr:1 row_mask:0xf bank_mask:0xf
	v_add_f32_e32 v2, v10, v2
	v_add_f32_e32 v4, v11, v4
	v_cmp_eq_u32_e32 vcc, 7, v0
	v_mov_b32_dpp v3, v2 row_shr:2 row_mask:0xf bank_mask:0xf
	v_mov_b32_dpp v5, v4 row_shr:2 row_mask:0xf bank_mask:0xf
	v_add_f32_e32 v2, v2, v3
	v_add_f32_e32 v4, v4, v5
	s_nop 0
	v_mov_b32_dpp v3, v2 row_shr:4 row_mask:0xf bank_mask:0xe
	v_mov_b32_dpp v5, v4 row_shr:4 row_mask:0xf bank_mask:0xe
	s_and_b64 exec, exec, vcc
	s_cbranch_execz .LBB61_22
; %bb.19:
	s_load_dwordx2 s[0:1], s[4:5], 0x38
	v_add_f32_e32 v0, v2, v3
	v_add_f32_e32 v3, v4, v5
	v_cmp_eq_f32_e64 s[4:5], s2, 0
	s_and_b64 vcc, exec, s[4:5]
	v_mul_f32_e32 v2, s16, v0
	v_mul_f32_e32 v3, s16, v3
	v_lshlrev_b32_e32 v0, 1, v1
	s_cbranch_vccz .LBB61_23
; %bb.20:
	v_ashrrev_i32_e32 v1, 31, v0
	v_lshlrev_b64 v[4:5], 2, v[0:1]
	s_waitcnt lgkmcnt(0)
	v_mov_b32_e32 v1, s1
	v_add_co_u32_e32 v4, vcc, s0, v4
	v_addc_co_u32_e32 v5, vcc, v1, v5, vcc
	global_store_dwordx2 v[4:5], v[2:3], off
	s_cbranch_execnz .LBB61_22
.LBB61_21:
	v_ashrrev_i32_e32 v1, 31, v0
	v_lshlrev_b64 v[0:1], 2, v[0:1]
	s_waitcnt lgkmcnt(0)
	v_mov_b32_e32 v4, s1
	v_add_co_u32_e32 v0, vcc, s0, v0
	v_addc_co_u32_e32 v1, vcc, v4, v1, vcc
	global_load_dwordx2 v[4:5], v[0:1], off
	s_waitcnt vmcnt(0)
	v_fmac_f32_e32 v2, s2, v4
	v_fmac_f32_e32 v3, s2, v5
	global_store_dwordx2 v[0:1], v[2:3], off
.LBB61_22:
	s_endpgm
.LBB61_23:
	s_branch .LBB61_21
	.section	.rodata,"a",@progbits
	.p2align	6, 0x0
	.amdhsa_kernel _ZN9rocsparseL19gebsrmvn_2xn_kernelILj128ELj14ELj8EfEEvi20rocsparse_direction_NS_24const_host_device_scalarIT2_EEPKiS6_PKS3_S8_S4_PS3_21rocsparse_index_base_b
		.amdhsa_group_segment_fixed_size 0
		.amdhsa_private_segment_fixed_size 0
		.amdhsa_kernarg_size 72
		.amdhsa_user_sgpr_count 6
		.amdhsa_user_sgpr_private_segment_buffer 1
		.amdhsa_user_sgpr_dispatch_ptr 0
		.amdhsa_user_sgpr_queue_ptr 0
		.amdhsa_user_sgpr_kernarg_segment_ptr 1
		.amdhsa_user_sgpr_dispatch_id 0
		.amdhsa_user_sgpr_flat_scratch_init 0
		.amdhsa_user_sgpr_private_segment_size 0
		.amdhsa_uses_dynamic_stack 0
		.amdhsa_system_sgpr_private_segment_wavefront_offset 0
		.amdhsa_system_sgpr_workgroup_id_x 1
		.amdhsa_system_sgpr_workgroup_id_y 0
		.amdhsa_system_sgpr_workgroup_id_z 0
		.amdhsa_system_sgpr_workgroup_info 0
		.amdhsa_system_vgpr_workitem_id 0
		.amdhsa_next_free_vgpr 31
		.amdhsa_next_free_sgpr 20
		.amdhsa_reserve_vcc 1
		.amdhsa_reserve_flat_scratch 0
		.amdhsa_float_round_mode_32 0
		.amdhsa_float_round_mode_16_64 0
		.amdhsa_float_denorm_mode_32 3
		.amdhsa_float_denorm_mode_16_64 3
		.amdhsa_dx10_clamp 1
		.amdhsa_ieee_mode 1
		.amdhsa_fp16_overflow 0
		.amdhsa_exception_fp_ieee_invalid_op 0
		.amdhsa_exception_fp_denorm_src 0
		.amdhsa_exception_fp_ieee_div_zero 0
		.amdhsa_exception_fp_ieee_overflow 0
		.amdhsa_exception_fp_ieee_underflow 0
		.amdhsa_exception_fp_ieee_inexact 0
		.amdhsa_exception_int_div_zero 0
	.end_amdhsa_kernel
	.section	.text._ZN9rocsparseL19gebsrmvn_2xn_kernelILj128ELj14ELj8EfEEvi20rocsparse_direction_NS_24const_host_device_scalarIT2_EEPKiS6_PKS3_S8_S4_PS3_21rocsparse_index_base_b,"axG",@progbits,_ZN9rocsparseL19gebsrmvn_2xn_kernelILj128ELj14ELj8EfEEvi20rocsparse_direction_NS_24const_host_device_scalarIT2_EEPKiS6_PKS3_S8_S4_PS3_21rocsparse_index_base_b,comdat
.Lfunc_end61:
	.size	_ZN9rocsparseL19gebsrmvn_2xn_kernelILj128ELj14ELj8EfEEvi20rocsparse_direction_NS_24const_host_device_scalarIT2_EEPKiS6_PKS3_S8_S4_PS3_21rocsparse_index_base_b, .Lfunc_end61-_ZN9rocsparseL19gebsrmvn_2xn_kernelILj128ELj14ELj8EfEEvi20rocsparse_direction_NS_24const_host_device_scalarIT2_EEPKiS6_PKS3_S8_S4_PS3_21rocsparse_index_base_b
                                        ; -- End function
	.set _ZN9rocsparseL19gebsrmvn_2xn_kernelILj128ELj14ELj8EfEEvi20rocsparse_direction_NS_24const_host_device_scalarIT2_EEPKiS6_PKS3_S8_S4_PS3_21rocsparse_index_base_b.num_vgpr, 31
	.set _ZN9rocsparseL19gebsrmvn_2xn_kernelILj128ELj14ELj8EfEEvi20rocsparse_direction_NS_24const_host_device_scalarIT2_EEPKiS6_PKS3_S8_S4_PS3_21rocsparse_index_base_b.num_agpr, 0
	.set _ZN9rocsparseL19gebsrmvn_2xn_kernelILj128ELj14ELj8EfEEvi20rocsparse_direction_NS_24const_host_device_scalarIT2_EEPKiS6_PKS3_S8_S4_PS3_21rocsparse_index_base_b.numbered_sgpr, 20
	.set _ZN9rocsparseL19gebsrmvn_2xn_kernelILj128ELj14ELj8EfEEvi20rocsparse_direction_NS_24const_host_device_scalarIT2_EEPKiS6_PKS3_S8_S4_PS3_21rocsparse_index_base_b.num_named_barrier, 0
	.set _ZN9rocsparseL19gebsrmvn_2xn_kernelILj128ELj14ELj8EfEEvi20rocsparse_direction_NS_24const_host_device_scalarIT2_EEPKiS6_PKS3_S8_S4_PS3_21rocsparse_index_base_b.private_seg_size, 0
	.set _ZN9rocsparseL19gebsrmvn_2xn_kernelILj128ELj14ELj8EfEEvi20rocsparse_direction_NS_24const_host_device_scalarIT2_EEPKiS6_PKS3_S8_S4_PS3_21rocsparse_index_base_b.uses_vcc, 1
	.set _ZN9rocsparseL19gebsrmvn_2xn_kernelILj128ELj14ELj8EfEEvi20rocsparse_direction_NS_24const_host_device_scalarIT2_EEPKiS6_PKS3_S8_S4_PS3_21rocsparse_index_base_b.uses_flat_scratch, 0
	.set _ZN9rocsparseL19gebsrmvn_2xn_kernelILj128ELj14ELj8EfEEvi20rocsparse_direction_NS_24const_host_device_scalarIT2_EEPKiS6_PKS3_S8_S4_PS3_21rocsparse_index_base_b.has_dyn_sized_stack, 0
	.set _ZN9rocsparseL19gebsrmvn_2xn_kernelILj128ELj14ELj8EfEEvi20rocsparse_direction_NS_24const_host_device_scalarIT2_EEPKiS6_PKS3_S8_S4_PS3_21rocsparse_index_base_b.has_recursion, 0
	.set _ZN9rocsparseL19gebsrmvn_2xn_kernelILj128ELj14ELj8EfEEvi20rocsparse_direction_NS_24const_host_device_scalarIT2_EEPKiS6_PKS3_S8_S4_PS3_21rocsparse_index_base_b.has_indirect_call, 0
	.section	.AMDGPU.csdata,"",@progbits
; Kernel info:
; codeLenInByte = 2500
; TotalNumSgprs: 24
; NumVgprs: 31
; ScratchSize: 0
; MemoryBound: 0
; FloatMode: 240
; IeeeMode: 1
; LDSByteSize: 0 bytes/workgroup (compile time only)
; SGPRBlocks: 2
; VGPRBlocks: 7
; NumSGPRsForWavesPerEU: 24
; NumVGPRsForWavesPerEU: 31
; Occupancy: 8
; WaveLimiterHint : 1
; COMPUTE_PGM_RSRC2:SCRATCH_EN: 0
; COMPUTE_PGM_RSRC2:USER_SGPR: 6
; COMPUTE_PGM_RSRC2:TRAP_HANDLER: 0
; COMPUTE_PGM_RSRC2:TGID_X_EN: 1
; COMPUTE_PGM_RSRC2:TGID_Y_EN: 0
; COMPUTE_PGM_RSRC2:TGID_Z_EN: 0
; COMPUTE_PGM_RSRC2:TIDIG_COMP_CNT: 0
	.section	.text._ZN9rocsparseL19gebsrmvn_2xn_kernelILj128ELj14ELj16EfEEvi20rocsparse_direction_NS_24const_host_device_scalarIT2_EEPKiS6_PKS3_S8_S4_PS3_21rocsparse_index_base_b,"axG",@progbits,_ZN9rocsparseL19gebsrmvn_2xn_kernelILj128ELj14ELj16EfEEvi20rocsparse_direction_NS_24const_host_device_scalarIT2_EEPKiS6_PKS3_S8_S4_PS3_21rocsparse_index_base_b,comdat
	.globl	_ZN9rocsparseL19gebsrmvn_2xn_kernelILj128ELj14ELj16EfEEvi20rocsparse_direction_NS_24const_host_device_scalarIT2_EEPKiS6_PKS3_S8_S4_PS3_21rocsparse_index_base_b ; -- Begin function _ZN9rocsparseL19gebsrmvn_2xn_kernelILj128ELj14ELj16EfEEvi20rocsparse_direction_NS_24const_host_device_scalarIT2_EEPKiS6_PKS3_S8_S4_PS3_21rocsparse_index_base_b
	.p2align	8
	.type	_ZN9rocsparseL19gebsrmvn_2xn_kernelILj128ELj14ELj16EfEEvi20rocsparse_direction_NS_24const_host_device_scalarIT2_EEPKiS6_PKS3_S8_S4_PS3_21rocsparse_index_base_b,@function
_ZN9rocsparseL19gebsrmvn_2xn_kernelILj128ELj14ELj16EfEEvi20rocsparse_direction_NS_24const_host_device_scalarIT2_EEPKiS6_PKS3_S8_S4_PS3_21rocsparse_index_base_b: ; @_ZN9rocsparseL19gebsrmvn_2xn_kernelILj128ELj14ELj16EfEEvi20rocsparse_direction_NS_24const_host_device_scalarIT2_EEPKiS6_PKS3_S8_S4_PS3_21rocsparse_index_base_b
; %bb.0:
	s_load_dwordx2 s[18:19], s[4:5], 0x40
	s_load_dwordx2 s[16:17], s[4:5], 0x8
	s_load_dwordx2 s[2:3], s[4:5], 0x30
	s_waitcnt lgkmcnt(0)
	s_bitcmp1_b32 s19, 0
	s_cselect_b64 s[8:9], -1, 0
	s_xor_b64 s[0:1], s[8:9], -1
	s_and_b64 vcc, exec, s[8:9]
	s_cbranch_vccnz .LBB62_2
; %bb.1:
	s_load_dword s16, s[16:17], 0x0
.LBB62_2:
	s_andn2_b64 vcc, exec, s[0:1]
	s_cbranch_vccnz .LBB62_4
; %bb.3:
	s_load_dword s2, s[2:3], 0x0
.LBB62_4:
	s_waitcnt lgkmcnt(0)
	v_cmp_eq_f32_e64 s[0:1], s16, 0
	v_cmp_eq_f32_e64 s[8:9], s2, 1.0
	s_and_b64 s[0:1], s[0:1], s[8:9]
	s_and_b64 vcc, exec, s[0:1]
	s_cbranch_vccnz .LBB62_22
; %bb.5:
	s_load_dwordx2 s[0:1], s[4:5], 0x0
	v_lshrrev_b32_e32 v1, 4, v0
	v_lshl_or_b32 v1, s6, 3, v1
	s_waitcnt lgkmcnt(0)
	v_cmp_gt_i32_e32 vcc, s0, v1
	s_and_saveexec_b64 s[6:7], vcc
	s_cbranch_execz .LBB62_22
; %bb.6:
	s_load_dwordx8 s[8:15], s[4:5], 0x10
	v_ashrrev_i32_e32 v2, 31, v1
	v_lshlrev_b64 v[2:3], 2, v[1:2]
	v_and_b32_e32 v0, 15, v0
	s_cmp_lg_u32 s1, 0
	s_waitcnt lgkmcnt(0)
	v_mov_b32_e32 v4, s9
	v_add_co_u32_e32 v2, vcc, s8, v2
	v_addc_co_u32_e32 v3, vcc, v4, v3, vcc
	global_load_dwordx2 v[2:3], v[2:3], off
	s_waitcnt vmcnt(0)
	v_subrev_u32_e32 v2, s18, v2
	v_subrev_u32_e32 v9, s18, v3
	v_add_u32_e32 v2, v2, v0
	v_cmp_lt_i32_e64 s[0:1], v2, v9
	s_cbranch_scc0 .LBB62_12
; %bb.7:
	v_mov_b32_e32 v10, 0
	v_mov_b32_e32 v11, 0
	s_and_saveexec_b64 s[6:7], s[0:1]
	s_cbranch_execz .LBB62_11
; %bb.8:
	v_mad_u64_u32 v[3:4], s[8:9], v2, 28, 26
	v_mov_b32_e32 v5, 0
	s_mov_b64 s[8:9], 0
	v_mov_b32_e32 v8, s11
	v_mov_b32_e32 v12, s13
	;; [unrolled: 1-line block ×6, first 2 shown]
.LBB62_9:                               ; =>This Inner Loop Header: Depth=1
	v_ashrrev_i32_e32 v7, 31, v6
	v_lshlrev_b64 v[14:15], 2, v[6:7]
	v_subrev_u32_e32 v4, 26, v3
	v_add_co_u32_e32 v14, vcc, s10, v14
	v_addc_co_u32_e32 v15, vcc, v8, v15, vcc
	v_lshlrev_b64 v[16:17], 2, v[4:5]
	global_load_dword v4, v[14:15], off
	v_mov_b32_e32 v21, v5
	v_add_co_u32_e32 v18, vcc, s12, v16
	v_addc_co_u32_e32 v19, vcc, v12, v17, vcc
	v_add_u32_e32 v6, 16, v6
	s_waitcnt vmcnt(0)
	v_subrev_u32_e32 v4, s18, v4
	v_mul_lo_u32 v20, v4, 14
	v_subrev_u32_e32 v4, 22, v3
	v_lshlrev_b64 v[14:15], 2, v[20:21]
	v_add_co_u32_e32 v21, vcc, s14, v14
	v_addc_co_u32_e32 v22, vcc, v13, v15, vcc
	global_load_dwordx2 v[23:24], v[21:22], off
	global_load_dwordx4 v[14:17], v[18:19], off
	s_waitcnt vmcnt(0)
	v_fmac_f32_e32 v10, v14, v23
	v_fmac_f32_e32 v11, v15, v23
	v_lshlrev_b64 v[14:15], 2, v[4:5]
	v_add_u32_e32 v4, 2, v20
	v_fmac_f32_e32 v10, v16, v24
	v_fmac_f32_e32 v11, v17, v24
	v_add_co_u32_e32 v14, vcc, s12, v14
	v_lshlrev_b64 v[16:17], 2, v[4:5]
	v_addc_co_u32_e32 v15, vcc, v12, v15, vcc
	v_subrev_u32_e32 v4, 20, v3
	v_add_co_u32_e32 v16, vcc, s14, v16
	v_lshlrev_b64 v[18:19], 2, v[4:5]
	v_addc_co_u32_e32 v17, vcc, v13, v17, vcc
	v_add_co_u32_e32 v18, vcc, s12, v18
	v_addc_co_u32_e32 v19, vcc, v12, v19, vcc
	global_load_dwordx2 v[21:22], v[14:15], off
	global_load_dwordx2 v[23:24], v[16:17], off
	v_subrev_u32_e32 v4, 18, v3
	global_load_dwordx2 v[14:15], v[18:19], off
	s_waitcnt vmcnt(1)
	v_fmac_f32_e32 v10, v21, v23
	v_fmac_f32_e32 v11, v22, v23
	s_waitcnt vmcnt(0)
	v_fmac_f32_e32 v10, v14, v24
	v_fmac_f32_e32 v11, v15, v24
	v_lshlrev_b64 v[14:15], 2, v[4:5]
	v_add_u32_e32 v4, 4, v20
	v_add_co_u32_e32 v14, vcc, s12, v14
	v_lshlrev_b64 v[16:17], 2, v[4:5]
	v_addc_co_u32_e32 v15, vcc, v12, v15, vcc
	v_add_u32_e32 v4, -16, v3
	v_add_co_u32_e32 v16, vcc, s14, v16
	v_lshlrev_b64 v[18:19], 2, v[4:5]
	v_addc_co_u32_e32 v17, vcc, v13, v17, vcc
	v_add_co_u32_e32 v18, vcc, s12, v18
	v_addc_co_u32_e32 v19, vcc, v12, v19, vcc
	global_load_dwordx2 v[21:22], v[14:15], off
	global_load_dwordx2 v[23:24], v[16:17], off
	v_add_u32_e32 v4, -14, v3
	global_load_dwordx2 v[14:15], v[18:19], off
	s_waitcnt vmcnt(1)
	v_fmac_f32_e32 v10, v21, v23
	v_fmac_f32_e32 v11, v22, v23
	s_waitcnt vmcnt(0)
	v_fmac_f32_e32 v10, v14, v24
	v_fmac_f32_e32 v11, v15, v24
	v_lshlrev_b64 v[14:15], 2, v[4:5]
	v_add_u32_e32 v4, 6, v20
	v_add_co_u32_e32 v14, vcc, s12, v14
	v_lshlrev_b64 v[16:17], 2, v[4:5]
	v_addc_co_u32_e32 v15, vcc, v12, v15, vcc
	v_add_u32_e32 v4, -12, v3
	v_add_co_u32_e32 v16, vcc, s14, v16
	v_lshlrev_b64 v[18:19], 2, v[4:5]
	v_addc_co_u32_e32 v17, vcc, v13, v17, vcc
	v_add_co_u32_e32 v18, vcc, s12, v18
	v_addc_co_u32_e32 v19, vcc, v12, v19, vcc
	global_load_dwordx2 v[21:22], v[14:15], off
	global_load_dwordx2 v[23:24], v[16:17], off
	v_add_u32_e32 v4, -10, v3
	;; [unrolled: 21-line block ×3, first 2 shown]
	global_load_dwordx2 v[14:15], v[18:19], off
	s_waitcnt vmcnt(1)
	v_fmac_f32_e32 v10, v21, v23
	v_fmac_f32_e32 v11, v22, v23
	s_waitcnt vmcnt(0)
	v_fmac_f32_e32 v10, v14, v24
	v_fmac_f32_e32 v11, v15, v24
	v_lshlrev_b64 v[14:15], 2, v[4:5]
	v_add_u32_e32 v4, 10, v20
	v_add_co_u32_e32 v14, vcc, s12, v14
	v_lshlrev_b64 v[16:17], 2, v[4:5]
	v_addc_co_u32_e32 v15, vcc, v12, v15, vcc
	v_add_u32_e32 v4, -4, v3
	v_add_co_u32_e32 v16, vcc, s14, v16
	v_lshlrev_b64 v[18:19], 2, v[4:5]
	v_addc_co_u32_e32 v17, vcc, v13, v17, vcc
	v_add_co_u32_e32 v18, vcc, s12, v18
	v_addc_co_u32_e32 v19, vcc, v12, v19, vcc
	global_load_dwordx2 v[21:22], v[14:15], off
	global_load_dwordx2 v[23:24], v[16:17], off
	v_mov_b32_e32 v4, v5
	global_load_dwordx2 v[14:15], v[18:19], off
	s_waitcnt vmcnt(1)
	v_fmac_f32_e32 v10, v21, v23
	v_fmac_f32_e32 v11, v22, v23
	s_waitcnt vmcnt(0)
	v_fmac_f32_e32 v10, v14, v24
	v_fmac_f32_e32 v11, v15, v24
	v_lshlrev_b64 v[14:15], 2, v[3:4]
	v_add_u32_e32 v4, -2, v3
	v_add_co_u32_e32 v14, vcc, s12, v14
	v_lshlrev_b64 v[16:17], 2, v[4:5]
	v_addc_co_u32_e32 v15, vcc, v12, v15, vcc
	v_add_u32_e32 v4, 12, v20
	v_add_co_u32_e32 v16, vcc, s12, v16
	v_lshlrev_b64 v[18:19], 2, v[4:5]
	v_addc_co_u32_e32 v17, vcc, v12, v17, vcc
	v_add_co_u32_e32 v18, vcc, s14, v18
	v_addc_co_u32_e32 v19, vcc, v13, v19, vcc
	global_load_dwordx2 v[20:21], v[16:17], off
	global_load_dwordx2 v[22:23], v[18:19], off
	v_cmp_ge_i32_e32 vcc, v6, v9
	global_load_dwordx2 v[14:15], v[14:15], off
	s_or_b64 s[8:9], vcc, s[8:9]
	v_add_u32_e32 v3, 0x1c0, v3
	s_waitcnt vmcnt(1)
	v_fmac_f32_e32 v10, v20, v22
	v_fmac_f32_e32 v11, v21, v22
	s_waitcnt vmcnt(0)
	v_fmac_f32_e32 v10, v14, v23
	v_fmac_f32_e32 v11, v15, v23
	s_andn2_b64 exec, exec, s[8:9]
	s_cbranch_execnz .LBB62_9
; %bb.10:
	s_or_b64 exec, exec, s[8:9]
.LBB62_11:
	s_or_b64 exec, exec, s[6:7]
	s_cbranch_execz .LBB62_13
	s_branch .LBB62_18
.LBB62_12:
                                        ; implicit-def: $vgpr10
                                        ; implicit-def: $vgpr11
.LBB62_13:
	v_mov_b32_e32 v10, 0
	v_mov_b32_e32 v11, 0
	s_and_saveexec_b64 s[6:7], s[0:1]
	s_cbranch_execz .LBB62_17
; %bb.14:
	v_mad_u64_u32 v[4:5], s[0:1], v2, 28, 27
	v_mov_b32_e32 v6, 0
	s_mov_b64 s[0:1], 0
	v_mov_b32_e32 v12, s11
	v_mov_b32_e32 v13, s13
	;; [unrolled: 1-line block ×5, first 2 shown]
.LBB62_15:                              ; =>This Inner Loop Header: Depth=1
	v_ashrrev_i32_e32 v3, 31, v2
	v_lshlrev_b64 v[7:8], 2, v[2:3]
	v_subrev_u32_e32 v5, 27, v4
	v_add_co_u32_e32 v7, vcc, s10, v7
	v_addc_co_u32_e32 v8, vcc, v12, v8, vcc
	global_load_dword v3, v[7:8], off
	v_lshlrev_b64 v[15:16], 2, v[5:6]
	v_mov_b32_e32 v8, v6
	v_add_co_u32_e32 v19, vcc, s12, v15
	v_addc_co_u32_e32 v20, vcc, v13, v16, vcc
	v_add_u32_e32 v5, -12, v4
	v_lshlrev_b64 v[23:24], 2, v[5:6]
	v_add_u32_e32 v2, 16, v2
	s_waitcnt vmcnt(0)
	v_subrev_u32_e32 v3, s18, v3
	v_mul_lo_u32 v7, v3, 14
	v_lshlrev_b64 v[15:16], 2, v[7:8]
	v_add_u32_e32 v5, 2, v7
	v_add_co_u32_e32 v21, vcc, s14, v15
	v_addc_co_u32_e32 v22, vcc, v14, v16, vcc
	v_lshlrev_b64 v[15:16], 2, v[5:6]
	v_add_co_u32_e32 v25, vcc, s14, v15
	v_addc_co_u32_e32 v26, vcc, v14, v16, vcc
	global_load_dwordx2 v[27:28], v[21:22], off
	global_load_dwordx2 v[29:30], v[25:26], off
	global_load_dwordx4 v[15:18], v[19:20], off
	s_waitcnt vmcnt(0)
	v_fmac_f32_e32 v10, v15, v27
	v_fmac_f32_e32 v10, v16, v28
	v_add_u32_e32 v15, -13, v4
	v_mov_b32_e32 v16, v6
	v_lshlrev_b64 v[15:16], 2, v[15:16]
	v_fmac_f32_e32 v10, v17, v29
	v_add_co_u32_e32 v15, vcc, s12, v15
	v_addc_co_u32_e32 v16, vcc, v13, v16, vcc
	v_add_co_u32_e32 v17, vcc, s12, v23
	v_fmac_f32_e32 v10, v18, v30
	v_addc_co_u32_e32 v18, vcc, v13, v24, vcc
	global_load_dword v3, v[15:16], off
	global_load_dword v5, v[17:18], off
	s_waitcnt vmcnt(1)
	v_fmac_f32_e32 v11, v3, v27
	s_waitcnt vmcnt(0)
	v_fmac_f32_e32 v11, v5, v28
	v_add_u32_e32 v5, -11, v4
	v_lshlrev_b64 v[15:16], 2, v[5:6]
	v_add_u32_e32 v5, -10, v4
	v_add_co_u32_e32 v15, vcc, s12, v15
	v_lshlrev_b64 v[17:18], 2, v[5:6]
	v_addc_co_u32_e32 v16, vcc, v13, v16, vcc
	v_add_co_u32_e32 v17, vcc, s12, v17
	v_addc_co_u32_e32 v18, vcc, v13, v18, vcc
	global_load_dword v3, v[15:16], off
	global_load_dword v5, v[17:18], off
	s_waitcnt vmcnt(1)
	v_fmac_f32_e32 v11, v3, v29
	s_waitcnt vmcnt(0)
	v_fmac_f32_e32 v11, v5, v30
	v_subrev_u32_e32 v5, 23, v4
	v_lshlrev_b64 v[15:16], 2, v[5:6]
	v_add_u32_e32 v5, 4, v7
	v_add_co_u32_e32 v15, vcc, s12, v15
	v_lshlrev_b64 v[17:18], 2, v[5:6]
	v_addc_co_u32_e32 v16, vcc, v13, v16, vcc
	v_add_u32_e32 v5, -9, v4
	v_add_co_u32_e32 v17, vcc, s14, v17
	v_lshlrev_b64 v[19:20], 2, v[5:6]
	v_addc_co_u32_e32 v18, vcc, v14, v18, vcc
	v_subrev_u32_e32 v5, 22, v4
	v_add_co_u32_e32 v19, vcc, s12, v19
	v_lshlrev_b64 v[21:22], 2, v[5:6]
	v_addc_co_u32_e32 v20, vcc, v13, v20, vcc
	v_add_u32_e32 v5, -8, v4
	v_add_co_u32_e32 v21, vcc, s12, v21
	v_lshlrev_b64 v[23:24], 2, v[5:6]
	v_addc_co_u32_e32 v22, vcc, v13, v22, vcc
	v_add_co_u32_e32 v23, vcc, s12, v23
	v_addc_co_u32_e32 v24, vcc, v13, v24, vcc
	global_load_dword v3, v[15:16], off
	global_load_dword v5, v[19:20], off
	;; [unrolled: 1-line block ×4, first 2 shown]
	global_load_dwordx2 v[25:26], v[17:18], off
	s_waitcnt vmcnt(0)
	v_fmac_f32_e32 v11, v5, v25
	v_subrev_u32_e32 v5, 21, v4
	v_lshlrev_b64 v[15:16], 2, v[5:6]
	v_add_u32_e32 v5, 6, v7
	v_add_co_u32_e32 v15, vcc, s12, v15
	v_lshlrev_b64 v[17:18], 2, v[5:6]
	v_addc_co_u32_e32 v16, vcc, v13, v16, vcc
	v_add_u32_e32 v5, -7, v4
	v_add_co_u32_e32 v17, vcc, s14, v17
	v_lshlrev_b64 v[19:20], 2, v[5:6]
	v_addc_co_u32_e32 v18, vcc, v14, v18, vcc
	v_subrev_u32_e32 v5, 20, v4
	v_add_co_u32_e32 v19, vcc, s12, v19
	v_lshlrev_b64 v[21:22], 2, v[5:6]
	v_addc_co_u32_e32 v20, vcc, v13, v20, vcc
	v_add_u32_e32 v5, -6, v4
	v_add_co_u32_e32 v21, vcc, s12, v21
	v_lshlrev_b64 v[23:24], 2, v[5:6]
	v_addc_co_u32_e32 v22, vcc, v13, v22, vcc
	v_fmac_f32_e32 v10, v3, v25
	v_add_co_u32_e32 v23, vcc, s12, v23
	v_fmac_f32_e32 v10, v8, v26
	v_fmac_f32_e32 v11, v27, v26
	v_addc_co_u32_e32 v24, vcc, v13, v24, vcc
	global_load_dword v3, v[15:16], off
	global_load_dword v5, v[19:20], off
	;; [unrolled: 1-line block ×4, first 2 shown]
	global_load_dwordx2 v[25:26], v[17:18], off
	s_waitcnt vmcnt(0)
	v_fmac_f32_e32 v11, v5, v25
	v_subrev_u32_e32 v5, 19, v4
	v_lshlrev_b64 v[15:16], 2, v[5:6]
	v_add_u32_e32 v5, 8, v7
	v_add_co_u32_e32 v15, vcc, s12, v15
	v_lshlrev_b64 v[17:18], 2, v[5:6]
	v_addc_co_u32_e32 v16, vcc, v13, v16, vcc
	v_add_u32_e32 v5, -5, v4
	v_add_co_u32_e32 v17, vcc, s14, v17
	v_lshlrev_b64 v[19:20], 2, v[5:6]
	v_addc_co_u32_e32 v18, vcc, v14, v18, vcc
	v_subrev_u32_e32 v5, 18, v4
	v_add_co_u32_e32 v19, vcc, s12, v19
	v_lshlrev_b64 v[21:22], 2, v[5:6]
	v_addc_co_u32_e32 v20, vcc, v13, v20, vcc
	v_add_u32_e32 v5, -4, v4
	v_add_co_u32_e32 v21, vcc, s12, v21
	v_lshlrev_b64 v[23:24], 2, v[5:6]
	v_addc_co_u32_e32 v22, vcc, v13, v22, vcc
	v_fmac_f32_e32 v10, v3, v25
	v_add_co_u32_e32 v23, vcc, s12, v23
	v_fmac_f32_e32 v10, v8, v26
	v_fmac_f32_e32 v11, v27, v26
	v_addc_co_u32_e32 v24, vcc, v13, v24, vcc
	global_load_dword v3, v[15:16], off
	global_load_dword v5, v[19:20], off
	;; [unrolled: 1-line block ×4, first 2 shown]
	global_load_dwordx2 v[25:26], v[17:18], off
	s_waitcnt vmcnt(0)
	v_fmac_f32_e32 v11, v5, v25
	v_subrev_u32_e32 v5, 17, v4
	v_lshlrev_b64 v[15:16], 2, v[5:6]
	v_add_u32_e32 v5, 10, v7
	v_add_co_u32_e32 v15, vcc, s12, v15
	v_lshlrev_b64 v[17:18], 2, v[5:6]
	v_addc_co_u32_e32 v16, vcc, v13, v16, vcc
	v_add_u32_e32 v5, -3, v4
	v_add_co_u32_e32 v17, vcc, s14, v17
	v_lshlrev_b64 v[19:20], 2, v[5:6]
	v_addc_co_u32_e32 v18, vcc, v14, v18, vcc
	v_add_u32_e32 v5, -16, v4
	;; [unrolled: 4-line block ×3, first 2 shown]
	v_add_co_u32_e32 v21, vcc, s12, v21
	v_lshlrev_b64 v[23:24], 2, v[5:6]
	v_addc_co_u32_e32 v22, vcc, v13, v22, vcc
	v_fmac_f32_e32 v10, v3, v25
	v_add_co_u32_e32 v23, vcc, s12, v23
	v_fmac_f32_e32 v10, v8, v26
	v_fmac_f32_e32 v11, v27, v26
	v_addc_co_u32_e32 v24, vcc, v13, v24, vcc
	global_load_dword v3, v[15:16], off
	global_load_dword v5, v[19:20], off
	;; [unrolled: 1-line block ×4, first 2 shown]
	global_load_dwordx2 v[25:26], v[17:18], off
	s_waitcnt vmcnt(0)
	v_fmac_f32_e32 v11, v5, v25
	v_mov_b32_e32 v5, v6
	v_lshlrev_b64 v[15:16], 2, v[4:5]
	v_add_u32_e32 v5, -15, v4
	v_add_co_u32_e32 v15, vcc, s12, v15
	v_lshlrev_b64 v[17:18], 2, v[5:6]
	v_addc_co_u32_e32 v16, vcc, v13, v16, vcc
	v_fmac_f32_e32 v10, v3, v25
	v_add_u32_e32 v5, 12, v7
	v_add_co_u32_e32 v7, vcc, s12, v17
	v_fmac_f32_e32 v10, v8, v26
	v_addc_co_u32_e32 v8, vcc, v13, v18, vcc
	v_lshlrev_b64 v[17:18], 2, v[5:6]
	v_add_u32_e32 v5, -1, v4
	v_add_co_u32_e32 v17, vcc, s14, v17
	v_lshlrev_b64 v[19:20], 2, v[5:6]
	v_addc_co_u32_e32 v18, vcc, v14, v18, vcc
	v_add_u32_e32 v5, -14, v4
	v_add_co_u32_e32 v19, vcc, s12, v19
	v_lshlrev_b64 v[21:22], 2, v[5:6]
	v_addc_co_u32_e32 v20, vcc, v13, v20, vcc
	v_add_co_u32_e32 v21, vcc, s12, v21
	v_fmac_f32_e32 v11, v27, v26
	v_addc_co_u32_e32 v22, vcc, v13, v22, vcc
	global_load_dword v3, v[15:16], off
	global_load_dword v5, v[7:8], off
	;; [unrolled: 1-line block ×4, first 2 shown]
	global_load_dwordx2 v[23:24], v[17:18], off
	v_cmp_ge_i32_e32 vcc, v2, v9
	s_or_b64 s[0:1], vcc, s[0:1]
	v_add_u32_e32 v4, 0x1c0, v4
	s_waitcnt vmcnt(0)
	v_fmac_f32_e32 v10, v5, v23
	v_fmac_f32_e32 v11, v25, v23
	;; [unrolled: 1-line block ×4, first 2 shown]
	s_andn2_b64 exec, exec, s[0:1]
	s_cbranch_execnz .LBB62_15
; %bb.16:
	s_or_b64 exec, exec, s[0:1]
.LBB62_17:
	s_or_b64 exec, exec, s[6:7]
.LBB62_18:
	v_mov_b32_dpp v2, v10 row_shr:1 row_mask:0xf bank_mask:0xf
	v_mov_b32_dpp v4, v11 row_shr:1 row_mask:0xf bank_mask:0xf
	v_add_f32_e32 v2, v10, v2
	v_add_f32_e32 v4, v11, v4
	v_cmp_eq_u32_e32 vcc, 15, v0
	v_mov_b32_dpp v3, v2 row_shr:2 row_mask:0xf bank_mask:0xf
	v_mov_b32_dpp v5, v4 row_shr:2 row_mask:0xf bank_mask:0xf
	v_add_f32_e32 v2, v2, v3
	v_add_f32_e32 v4, v4, v5
	s_nop 0
	v_mov_b32_dpp v3, v2 row_shr:4 row_mask:0xf bank_mask:0xe
	v_mov_b32_dpp v5, v4 row_shr:4 row_mask:0xf bank_mask:0xe
	v_add_f32_e32 v2, v2, v3
	v_add_f32_e32 v4, v4, v5
	s_nop 0
	v_mov_b32_dpp v3, v2 row_shr:8 row_mask:0xf bank_mask:0xc
	v_mov_b32_dpp v5, v4 row_shr:8 row_mask:0xf bank_mask:0xc
	s_and_b64 exec, exec, vcc
	s_cbranch_execz .LBB62_22
; %bb.19:
	s_load_dwordx2 s[0:1], s[4:5], 0x38
	v_add_f32_e32 v0, v2, v3
	v_add_f32_e32 v3, v4, v5
	v_cmp_eq_f32_e64 s[4:5], s2, 0
	s_and_b64 vcc, exec, s[4:5]
	v_mul_f32_e32 v2, s16, v0
	v_mul_f32_e32 v3, s16, v3
	v_lshlrev_b32_e32 v0, 1, v1
	s_cbranch_vccz .LBB62_23
; %bb.20:
	v_ashrrev_i32_e32 v1, 31, v0
	v_lshlrev_b64 v[4:5], 2, v[0:1]
	s_waitcnt lgkmcnt(0)
	v_mov_b32_e32 v1, s1
	v_add_co_u32_e32 v4, vcc, s0, v4
	v_addc_co_u32_e32 v5, vcc, v1, v5, vcc
	global_store_dwordx2 v[4:5], v[2:3], off
	s_cbranch_execnz .LBB62_22
.LBB62_21:
	v_ashrrev_i32_e32 v1, 31, v0
	v_lshlrev_b64 v[0:1], 2, v[0:1]
	s_waitcnt lgkmcnt(0)
	v_mov_b32_e32 v4, s1
	v_add_co_u32_e32 v0, vcc, s0, v0
	v_addc_co_u32_e32 v1, vcc, v4, v1, vcc
	global_load_dwordx2 v[4:5], v[0:1], off
	s_waitcnt vmcnt(0)
	v_fmac_f32_e32 v2, s2, v4
	v_fmac_f32_e32 v3, s2, v5
	global_store_dwordx2 v[0:1], v[2:3], off
.LBB62_22:
	s_endpgm
.LBB62_23:
	s_branch .LBB62_21
	.section	.rodata,"a",@progbits
	.p2align	6, 0x0
	.amdhsa_kernel _ZN9rocsparseL19gebsrmvn_2xn_kernelILj128ELj14ELj16EfEEvi20rocsparse_direction_NS_24const_host_device_scalarIT2_EEPKiS6_PKS3_S8_S4_PS3_21rocsparse_index_base_b
		.amdhsa_group_segment_fixed_size 0
		.amdhsa_private_segment_fixed_size 0
		.amdhsa_kernarg_size 72
		.amdhsa_user_sgpr_count 6
		.amdhsa_user_sgpr_private_segment_buffer 1
		.amdhsa_user_sgpr_dispatch_ptr 0
		.amdhsa_user_sgpr_queue_ptr 0
		.amdhsa_user_sgpr_kernarg_segment_ptr 1
		.amdhsa_user_sgpr_dispatch_id 0
		.amdhsa_user_sgpr_flat_scratch_init 0
		.amdhsa_user_sgpr_private_segment_size 0
		.amdhsa_uses_dynamic_stack 0
		.amdhsa_system_sgpr_private_segment_wavefront_offset 0
		.amdhsa_system_sgpr_workgroup_id_x 1
		.amdhsa_system_sgpr_workgroup_id_y 0
		.amdhsa_system_sgpr_workgroup_id_z 0
		.amdhsa_system_sgpr_workgroup_info 0
		.amdhsa_system_vgpr_workitem_id 0
		.amdhsa_next_free_vgpr 31
		.amdhsa_next_free_sgpr 20
		.amdhsa_reserve_vcc 1
		.amdhsa_reserve_flat_scratch 0
		.amdhsa_float_round_mode_32 0
		.amdhsa_float_round_mode_16_64 0
		.amdhsa_float_denorm_mode_32 3
		.amdhsa_float_denorm_mode_16_64 3
		.amdhsa_dx10_clamp 1
		.amdhsa_ieee_mode 1
		.amdhsa_fp16_overflow 0
		.amdhsa_exception_fp_ieee_invalid_op 0
		.amdhsa_exception_fp_denorm_src 0
		.amdhsa_exception_fp_ieee_div_zero 0
		.amdhsa_exception_fp_ieee_overflow 0
		.amdhsa_exception_fp_ieee_underflow 0
		.amdhsa_exception_fp_ieee_inexact 0
		.amdhsa_exception_int_div_zero 0
	.end_amdhsa_kernel
	.section	.text._ZN9rocsparseL19gebsrmvn_2xn_kernelILj128ELj14ELj16EfEEvi20rocsparse_direction_NS_24const_host_device_scalarIT2_EEPKiS6_PKS3_S8_S4_PS3_21rocsparse_index_base_b,"axG",@progbits,_ZN9rocsparseL19gebsrmvn_2xn_kernelILj128ELj14ELj16EfEEvi20rocsparse_direction_NS_24const_host_device_scalarIT2_EEPKiS6_PKS3_S8_S4_PS3_21rocsparse_index_base_b,comdat
.Lfunc_end62:
	.size	_ZN9rocsparseL19gebsrmvn_2xn_kernelILj128ELj14ELj16EfEEvi20rocsparse_direction_NS_24const_host_device_scalarIT2_EEPKiS6_PKS3_S8_S4_PS3_21rocsparse_index_base_b, .Lfunc_end62-_ZN9rocsparseL19gebsrmvn_2xn_kernelILj128ELj14ELj16EfEEvi20rocsparse_direction_NS_24const_host_device_scalarIT2_EEPKiS6_PKS3_S8_S4_PS3_21rocsparse_index_base_b
                                        ; -- End function
	.set _ZN9rocsparseL19gebsrmvn_2xn_kernelILj128ELj14ELj16EfEEvi20rocsparse_direction_NS_24const_host_device_scalarIT2_EEPKiS6_PKS3_S8_S4_PS3_21rocsparse_index_base_b.num_vgpr, 31
	.set _ZN9rocsparseL19gebsrmvn_2xn_kernelILj128ELj14ELj16EfEEvi20rocsparse_direction_NS_24const_host_device_scalarIT2_EEPKiS6_PKS3_S8_S4_PS3_21rocsparse_index_base_b.num_agpr, 0
	.set _ZN9rocsparseL19gebsrmvn_2xn_kernelILj128ELj14ELj16EfEEvi20rocsparse_direction_NS_24const_host_device_scalarIT2_EEPKiS6_PKS3_S8_S4_PS3_21rocsparse_index_base_b.numbered_sgpr, 20
	.set _ZN9rocsparseL19gebsrmvn_2xn_kernelILj128ELj14ELj16EfEEvi20rocsparse_direction_NS_24const_host_device_scalarIT2_EEPKiS6_PKS3_S8_S4_PS3_21rocsparse_index_base_b.num_named_barrier, 0
	.set _ZN9rocsparseL19gebsrmvn_2xn_kernelILj128ELj14ELj16EfEEvi20rocsparse_direction_NS_24const_host_device_scalarIT2_EEPKiS6_PKS3_S8_S4_PS3_21rocsparse_index_base_b.private_seg_size, 0
	.set _ZN9rocsparseL19gebsrmvn_2xn_kernelILj128ELj14ELj16EfEEvi20rocsparse_direction_NS_24const_host_device_scalarIT2_EEPKiS6_PKS3_S8_S4_PS3_21rocsparse_index_base_b.uses_vcc, 1
	.set _ZN9rocsparseL19gebsrmvn_2xn_kernelILj128ELj14ELj16EfEEvi20rocsparse_direction_NS_24const_host_device_scalarIT2_EEPKiS6_PKS3_S8_S4_PS3_21rocsparse_index_base_b.uses_flat_scratch, 0
	.set _ZN9rocsparseL19gebsrmvn_2xn_kernelILj128ELj14ELj16EfEEvi20rocsparse_direction_NS_24const_host_device_scalarIT2_EEPKiS6_PKS3_S8_S4_PS3_21rocsparse_index_base_b.has_dyn_sized_stack, 0
	.set _ZN9rocsparseL19gebsrmvn_2xn_kernelILj128ELj14ELj16EfEEvi20rocsparse_direction_NS_24const_host_device_scalarIT2_EEPKiS6_PKS3_S8_S4_PS3_21rocsparse_index_base_b.has_recursion, 0
	.set _ZN9rocsparseL19gebsrmvn_2xn_kernelILj128ELj14ELj16EfEEvi20rocsparse_direction_NS_24const_host_device_scalarIT2_EEPKiS6_PKS3_S8_S4_PS3_21rocsparse_index_base_b.has_indirect_call, 0
	.section	.AMDGPU.csdata,"",@progbits
; Kernel info:
; codeLenInByte = 2528
; TotalNumSgprs: 24
; NumVgprs: 31
; ScratchSize: 0
; MemoryBound: 0
; FloatMode: 240
; IeeeMode: 1
; LDSByteSize: 0 bytes/workgroup (compile time only)
; SGPRBlocks: 2
; VGPRBlocks: 7
; NumSGPRsForWavesPerEU: 24
; NumVGPRsForWavesPerEU: 31
; Occupancy: 8
; WaveLimiterHint : 1
; COMPUTE_PGM_RSRC2:SCRATCH_EN: 0
; COMPUTE_PGM_RSRC2:USER_SGPR: 6
; COMPUTE_PGM_RSRC2:TRAP_HANDLER: 0
; COMPUTE_PGM_RSRC2:TGID_X_EN: 1
; COMPUTE_PGM_RSRC2:TGID_Y_EN: 0
; COMPUTE_PGM_RSRC2:TGID_Z_EN: 0
; COMPUTE_PGM_RSRC2:TIDIG_COMP_CNT: 0
	.section	.text._ZN9rocsparseL19gebsrmvn_2xn_kernelILj128ELj14ELj32EfEEvi20rocsparse_direction_NS_24const_host_device_scalarIT2_EEPKiS6_PKS3_S8_S4_PS3_21rocsparse_index_base_b,"axG",@progbits,_ZN9rocsparseL19gebsrmvn_2xn_kernelILj128ELj14ELj32EfEEvi20rocsparse_direction_NS_24const_host_device_scalarIT2_EEPKiS6_PKS3_S8_S4_PS3_21rocsparse_index_base_b,comdat
	.globl	_ZN9rocsparseL19gebsrmvn_2xn_kernelILj128ELj14ELj32EfEEvi20rocsparse_direction_NS_24const_host_device_scalarIT2_EEPKiS6_PKS3_S8_S4_PS3_21rocsparse_index_base_b ; -- Begin function _ZN9rocsparseL19gebsrmvn_2xn_kernelILj128ELj14ELj32EfEEvi20rocsparse_direction_NS_24const_host_device_scalarIT2_EEPKiS6_PKS3_S8_S4_PS3_21rocsparse_index_base_b
	.p2align	8
	.type	_ZN9rocsparseL19gebsrmvn_2xn_kernelILj128ELj14ELj32EfEEvi20rocsparse_direction_NS_24const_host_device_scalarIT2_EEPKiS6_PKS3_S8_S4_PS3_21rocsparse_index_base_b,@function
_ZN9rocsparseL19gebsrmvn_2xn_kernelILj128ELj14ELj32EfEEvi20rocsparse_direction_NS_24const_host_device_scalarIT2_EEPKiS6_PKS3_S8_S4_PS3_21rocsparse_index_base_b: ; @_ZN9rocsparseL19gebsrmvn_2xn_kernelILj128ELj14ELj32EfEEvi20rocsparse_direction_NS_24const_host_device_scalarIT2_EEPKiS6_PKS3_S8_S4_PS3_21rocsparse_index_base_b
; %bb.0:
	s_load_dwordx2 s[18:19], s[4:5], 0x40
	s_load_dwordx2 s[16:17], s[4:5], 0x8
	;; [unrolled: 1-line block ×3, first 2 shown]
	s_waitcnt lgkmcnt(0)
	s_bitcmp1_b32 s19, 0
	s_cselect_b64 s[8:9], -1, 0
	s_xor_b64 s[0:1], s[8:9], -1
	s_and_b64 vcc, exec, s[8:9]
	s_cbranch_vccnz .LBB63_2
; %bb.1:
	s_load_dword s16, s[16:17], 0x0
.LBB63_2:
	s_andn2_b64 vcc, exec, s[0:1]
	s_cbranch_vccnz .LBB63_4
; %bb.3:
	s_load_dword s2, s[2:3], 0x0
.LBB63_4:
	s_waitcnt lgkmcnt(0)
	v_cmp_eq_f32_e64 s[0:1], s16, 0
	v_cmp_eq_f32_e64 s[8:9], s2, 1.0
	s_and_b64 s[0:1], s[0:1], s[8:9]
	s_and_b64 vcc, exec, s[0:1]
	s_cbranch_vccnz .LBB63_22
; %bb.5:
	s_load_dwordx2 s[0:1], s[4:5], 0x0
	v_lshrrev_b32_e32 v1, 5, v0
	v_lshl_or_b32 v1, s6, 2, v1
	s_waitcnt lgkmcnt(0)
	v_cmp_gt_i32_e32 vcc, s0, v1
	s_and_saveexec_b64 s[6:7], vcc
	s_cbranch_execz .LBB63_22
; %bb.6:
	s_load_dwordx8 s[8:15], s[4:5], 0x10
	v_ashrrev_i32_e32 v2, 31, v1
	v_lshlrev_b64 v[2:3], 2, v[1:2]
	v_and_b32_e32 v0, 31, v0
	s_cmp_lg_u32 s1, 0
	s_waitcnt lgkmcnt(0)
	v_mov_b32_e32 v4, s9
	v_add_co_u32_e32 v2, vcc, s8, v2
	v_addc_co_u32_e32 v3, vcc, v4, v3, vcc
	global_load_dwordx2 v[2:3], v[2:3], off
	s_waitcnt vmcnt(0)
	v_subrev_u32_e32 v2, s18, v2
	v_subrev_u32_e32 v9, s18, v3
	v_add_u32_e32 v2, v2, v0
	v_cmp_lt_i32_e64 s[0:1], v2, v9
	s_cbranch_scc0 .LBB63_12
; %bb.7:
	v_mov_b32_e32 v11, 0
	v_mov_b32_e32 v10, 0
	s_and_saveexec_b64 s[6:7], s[0:1]
	s_cbranch_execz .LBB63_11
; %bb.8:
	v_mad_u64_u32 v[3:4], s[8:9], v2, 28, 26
	v_mov_b32_e32 v5, 0
	s_mov_b64 s[8:9], 0
	v_mov_b32_e32 v8, s11
	v_mov_b32_e32 v12, s13
	;; [unrolled: 1-line block ×6, first 2 shown]
.LBB63_9:                               ; =>This Inner Loop Header: Depth=1
	v_ashrrev_i32_e32 v7, 31, v6
	v_lshlrev_b64 v[14:15], 2, v[6:7]
	v_subrev_u32_e32 v4, 26, v3
	v_add_co_u32_e32 v14, vcc, s10, v14
	v_addc_co_u32_e32 v15, vcc, v8, v15, vcc
	v_lshlrev_b64 v[16:17], 2, v[4:5]
	global_load_dword v4, v[14:15], off
	v_mov_b32_e32 v21, v5
	v_add_co_u32_e32 v18, vcc, s12, v16
	v_addc_co_u32_e32 v19, vcc, v12, v17, vcc
	v_add_u32_e32 v6, 32, v6
	s_waitcnt vmcnt(0)
	v_subrev_u32_e32 v4, s18, v4
	v_mul_lo_u32 v20, v4, 14
	v_subrev_u32_e32 v4, 22, v3
	v_lshlrev_b64 v[14:15], 2, v[20:21]
	v_add_co_u32_e32 v21, vcc, s14, v14
	v_addc_co_u32_e32 v22, vcc, v13, v15, vcc
	global_load_dwordx2 v[23:24], v[21:22], off
	global_load_dwordx4 v[14:17], v[18:19], off
	s_waitcnt vmcnt(0)
	v_fmac_f32_e32 v11, v14, v23
	v_fmac_f32_e32 v10, v15, v23
	v_lshlrev_b64 v[14:15], 2, v[4:5]
	v_add_u32_e32 v4, 2, v20
	v_fmac_f32_e32 v11, v16, v24
	v_fmac_f32_e32 v10, v17, v24
	v_add_co_u32_e32 v14, vcc, s12, v14
	v_lshlrev_b64 v[16:17], 2, v[4:5]
	v_addc_co_u32_e32 v15, vcc, v12, v15, vcc
	v_subrev_u32_e32 v4, 20, v3
	v_add_co_u32_e32 v16, vcc, s14, v16
	v_lshlrev_b64 v[18:19], 2, v[4:5]
	v_addc_co_u32_e32 v17, vcc, v13, v17, vcc
	v_add_co_u32_e32 v18, vcc, s12, v18
	v_addc_co_u32_e32 v19, vcc, v12, v19, vcc
	global_load_dwordx2 v[21:22], v[14:15], off
	global_load_dwordx2 v[23:24], v[16:17], off
	v_subrev_u32_e32 v4, 18, v3
	global_load_dwordx2 v[14:15], v[18:19], off
	s_waitcnt vmcnt(1)
	v_fmac_f32_e32 v11, v21, v23
	v_fmac_f32_e32 v10, v22, v23
	s_waitcnt vmcnt(0)
	v_fmac_f32_e32 v11, v14, v24
	v_fmac_f32_e32 v10, v15, v24
	v_lshlrev_b64 v[14:15], 2, v[4:5]
	v_add_u32_e32 v4, 4, v20
	v_add_co_u32_e32 v14, vcc, s12, v14
	v_lshlrev_b64 v[16:17], 2, v[4:5]
	v_addc_co_u32_e32 v15, vcc, v12, v15, vcc
	v_add_u32_e32 v4, -16, v3
	v_add_co_u32_e32 v16, vcc, s14, v16
	v_lshlrev_b64 v[18:19], 2, v[4:5]
	v_addc_co_u32_e32 v17, vcc, v13, v17, vcc
	v_add_co_u32_e32 v18, vcc, s12, v18
	v_addc_co_u32_e32 v19, vcc, v12, v19, vcc
	global_load_dwordx2 v[21:22], v[14:15], off
	global_load_dwordx2 v[23:24], v[16:17], off
	v_add_u32_e32 v4, -14, v3
	global_load_dwordx2 v[14:15], v[18:19], off
	s_waitcnt vmcnt(1)
	v_fmac_f32_e32 v11, v21, v23
	v_fmac_f32_e32 v10, v22, v23
	s_waitcnt vmcnt(0)
	v_fmac_f32_e32 v11, v14, v24
	v_fmac_f32_e32 v10, v15, v24
	v_lshlrev_b64 v[14:15], 2, v[4:5]
	v_add_u32_e32 v4, 6, v20
	v_add_co_u32_e32 v14, vcc, s12, v14
	v_lshlrev_b64 v[16:17], 2, v[4:5]
	v_addc_co_u32_e32 v15, vcc, v12, v15, vcc
	v_add_u32_e32 v4, -12, v3
	v_add_co_u32_e32 v16, vcc, s14, v16
	v_lshlrev_b64 v[18:19], 2, v[4:5]
	v_addc_co_u32_e32 v17, vcc, v13, v17, vcc
	v_add_co_u32_e32 v18, vcc, s12, v18
	v_addc_co_u32_e32 v19, vcc, v12, v19, vcc
	global_load_dwordx2 v[21:22], v[14:15], off
	global_load_dwordx2 v[23:24], v[16:17], off
	v_add_u32_e32 v4, -10, v3
	global_load_dwordx2 v[14:15], v[18:19], off
	s_waitcnt vmcnt(1)
	v_fmac_f32_e32 v11, v21, v23
	v_fmac_f32_e32 v10, v22, v23
	s_waitcnt vmcnt(0)
	v_fmac_f32_e32 v11, v14, v24
	v_fmac_f32_e32 v10, v15, v24
	v_lshlrev_b64 v[14:15], 2, v[4:5]
	v_add_u32_e32 v4, 8, v20
	v_add_co_u32_e32 v14, vcc, s12, v14
	v_lshlrev_b64 v[16:17], 2, v[4:5]
	v_addc_co_u32_e32 v15, vcc, v12, v15, vcc
	v_add_u32_e32 v4, -8, v3
	v_add_co_u32_e32 v16, vcc, s14, v16
	v_lshlrev_b64 v[18:19], 2, v[4:5]
	v_addc_co_u32_e32 v17, vcc, v13, v17, vcc
	v_add_co_u32_e32 v18, vcc, s12, v18
	v_addc_co_u32_e32 v19, vcc, v12, v19, vcc
	global_load_dwordx2 v[21:22], v[14:15], off
	global_load_dwordx2 v[23:24], v[16:17], off
	v_add_u32_e32 v4, -6, v3
	global_load_dwordx2 v[14:15], v[18:19], off
	s_waitcnt vmcnt(1)
	v_fmac_f32_e32 v11, v21, v23
	v_fmac_f32_e32 v10, v22, v23
	s_waitcnt vmcnt(0)
	v_fmac_f32_e32 v11, v14, v24
	v_fmac_f32_e32 v10, v15, v24
	v_lshlrev_b64 v[14:15], 2, v[4:5]
	v_add_u32_e32 v4, 10, v20
	v_add_co_u32_e32 v14, vcc, s12, v14
	v_lshlrev_b64 v[16:17], 2, v[4:5]
	v_addc_co_u32_e32 v15, vcc, v12, v15, vcc
	v_add_u32_e32 v4, -4, v3
	v_add_co_u32_e32 v16, vcc, s14, v16
	v_lshlrev_b64 v[18:19], 2, v[4:5]
	v_addc_co_u32_e32 v17, vcc, v13, v17, vcc
	v_add_co_u32_e32 v18, vcc, s12, v18
	v_addc_co_u32_e32 v19, vcc, v12, v19, vcc
	global_load_dwordx2 v[21:22], v[14:15], off
	global_load_dwordx2 v[23:24], v[16:17], off
	v_mov_b32_e32 v4, v5
	global_load_dwordx2 v[14:15], v[18:19], off
	s_waitcnt vmcnt(1)
	v_fmac_f32_e32 v11, v21, v23
	v_fmac_f32_e32 v10, v22, v23
	s_waitcnt vmcnt(0)
	v_fmac_f32_e32 v11, v14, v24
	v_fmac_f32_e32 v10, v15, v24
	v_lshlrev_b64 v[14:15], 2, v[3:4]
	v_add_u32_e32 v4, -2, v3
	v_add_co_u32_e32 v14, vcc, s12, v14
	v_lshlrev_b64 v[16:17], 2, v[4:5]
	v_addc_co_u32_e32 v15, vcc, v12, v15, vcc
	v_add_u32_e32 v4, 12, v20
	v_add_co_u32_e32 v16, vcc, s12, v16
	v_lshlrev_b64 v[18:19], 2, v[4:5]
	v_addc_co_u32_e32 v17, vcc, v12, v17, vcc
	v_add_co_u32_e32 v18, vcc, s14, v18
	v_addc_co_u32_e32 v19, vcc, v13, v19, vcc
	global_load_dwordx2 v[20:21], v[16:17], off
	global_load_dwordx2 v[22:23], v[18:19], off
	v_cmp_ge_i32_e32 vcc, v6, v9
	global_load_dwordx2 v[14:15], v[14:15], off
	s_or_b64 s[8:9], vcc, s[8:9]
	v_add_u32_e32 v3, 0x380, v3
	s_waitcnt vmcnt(1)
	v_fmac_f32_e32 v11, v20, v22
	v_fmac_f32_e32 v10, v21, v22
	s_waitcnt vmcnt(0)
	v_fmac_f32_e32 v11, v14, v23
	v_fmac_f32_e32 v10, v15, v23
	s_andn2_b64 exec, exec, s[8:9]
	s_cbranch_execnz .LBB63_9
; %bb.10:
	s_or_b64 exec, exec, s[8:9]
.LBB63_11:
	s_or_b64 exec, exec, s[6:7]
	s_cbranch_execz .LBB63_13
	s_branch .LBB63_18
.LBB63_12:
                                        ; implicit-def: $vgpr11
                                        ; implicit-def: $vgpr10
.LBB63_13:
	v_mov_b32_e32 v11, 0
	v_mov_b32_e32 v10, 0
	s_and_saveexec_b64 s[6:7], s[0:1]
	s_cbranch_execz .LBB63_17
; %bb.14:
	v_mad_u64_u32 v[4:5], s[0:1], v2, 28, 27
	v_mov_b32_e32 v6, 0
	s_mov_b64 s[0:1], 0
	v_mov_b32_e32 v12, s11
	v_mov_b32_e32 v13, s13
	;; [unrolled: 1-line block ×5, first 2 shown]
.LBB63_15:                              ; =>This Inner Loop Header: Depth=1
	v_ashrrev_i32_e32 v3, 31, v2
	v_lshlrev_b64 v[7:8], 2, v[2:3]
	v_subrev_u32_e32 v5, 27, v4
	v_add_co_u32_e32 v7, vcc, s10, v7
	v_addc_co_u32_e32 v8, vcc, v12, v8, vcc
	global_load_dword v3, v[7:8], off
	v_lshlrev_b64 v[15:16], 2, v[5:6]
	v_mov_b32_e32 v8, v6
	v_add_co_u32_e32 v19, vcc, s12, v15
	v_addc_co_u32_e32 v20, vcc, v13, v16, vcc
	v_add_u32_e32 v5, -12, v4
	v_lshlrev_b64 v[23:24], 2, v[5:6]
	v_add_u32_e32 v2, 32, v2
	s_waitcnt vmcnt(0)
	v_subrev_u32_e32 v3, s18, v3
	v_mul_lo_u32 v7, v3, 14
	v_lshlrev_b64 v[15:16], 2, v[7:8]
	v_add_u32_e32 v5, 2, v7
	v_add_co_u32_e32 v21, vcc, s14, v15
	v_addc_co_u32_e32 v22, vcc, v14, v16, vcc
	v_lshlrev_b64 v[15:16], 2, v[5:6]
	v_add_co_u32_e32 v25, vcc, s14, v15
	v_addc_co_u32_e32 v26, vcc, v14, v16, vcc
	global_load_dwordx2 v[27:28], v[21:22], off
	global_load_dwordx2 v[29:30], v[25:26], off
	global_load_dwordx4 v[15:18], v[19:20], off
	s_waitcnt vmcnt(0)
	v_fmac_f32_e32 v11, v15, v27
	v_fmac_f32_e32 v11, v16, v28
	v_add_u32_e32 v15, -13, v4
	v_mov_b32_e32 v16, v6
	v_lshlrev_b64 v[15:16], 2, v[15:16]
	v_fmac_f32_e32 v11, v17, v29
	v_add_co_u32_e32 v15, vcc, s12, v15
	v_addc_co_u32_e32 v16, vcc, v13, v16, vcc
	v_add_co_u32_e32 v17, vcc, s12, v23
	v_fmac_f32_e32 v11, v18, v30
	v_addc_co_u32_e32 v18, vcc, v13, v24, vcc
	global_load_dword v3, v[15:16], off
	global_load_dword v5, v[17:18], off
	s_waitcnt vmcnt(1)
	v_fmac_f32_e32 v10, v3, v27
	s_waitcnt vmcnt(0)
	v_fmac_f32_e32 v10, v5, v28
	v_add_u32_e32 v5, -11, v4
	v_lshlrev_b64 v[15:16], 2, v[5:6]
	v_add_u32_e32 v5, -10, v4
	v_add_co_u32_e32 v15, vcc, s12, v15
	v_lshlrev_b64 v[17:18], 2, v[5:6]
	v_addc_co_u32_e32 v16, vcc, v13, v16, vcc
	v_add_co_u32_e32 v17, vcc, s12, v17
	v_addc_co_u32_e32 v18, vcc, v13, v18, vcc
	global_load_dword v3, v[15:16], off
	global_load_dword v5, v[17:18], off
	s_waitcnt vmcnt(1)
	v_fmac_f32_e32 v10, v3, v29
	s_waitcnt vmcnt(0)
	v_fmac_f32_e32 v10, v5, v30
	v_subrev_u32_e32 v5, 23, v4
	v_lshlrev_b64 v[15:16], 2, v[5:6]
	v_add_u32_e32 v5, 4, v7
	v_add_co_u32_e32 v15, vcc, s12, v15
	v_lshlrev_b64 v[17:18], 2, v[5:6]
	v_addc_co_u32_e32 v16, vcc, v13, v16, vcc
	v_add_u32_e32 v5, -9, v4
	v_add_co_u32_e32 v17, vcc, s14, v17
	v_lshlrev_b64 v[19:20], 2, v[5:6]
	v_addc_co_u32_e32 v18, vcc, v14, v18, vcc
	v_subrev_u32_e32 v5, 22, v4
	v_add_co_u32_e32 v19, vcc, s12, v19
	v_lshlrev_b64 v[21:22], 2, v[5:6]
	v_addc_co_u32_e32 v20, vcc, v13, v20, vcc
	v_add_u32_e32 v5, -8, v4
	v_add_co_u32_e32 v21, vcc, s12, v21
	v_lshlrev_b64 v[23:24], 2, v[5:6]
	v_addc_co_u32_e32 v22, vcc, v13, v22, vcc
	v_add_co_u32_e32 v23, vcc, s12, v23
	v_addc_co_u32_e32 v24, vcc, v13, v24, vcc
	global_load_dword v3, v[15:16], off
	global_load_dword v5, v[19:20], off
	;; [unrolled: 1-line block ×4, first 2 shown]
	global_load_dwordx2 v[25:26], v[17:18], off
	s_waitcnt vmcnt(0)
	v_fmac_f32_e32 v10, v5, v25
	v_subrev_u32_e32 v5, 21, v4
	v_lshlrev_b64 v[15:16], 2, v[5:6]
	v_add_u32_e32 v5, 6, v7
	v_add_co_u32_e32 v15, vcc, s12, v15
	v_lshlrev_b64 v[17:18], 2, v[5:6]
	v_addc_co_u32_e32 v16, vcc, v13, v16, vcc
	v_add_u32_e32 v5, -7, v4
	v_add_co_u32_e32 v17, vcc, s14, v17
	v_lshlrev_b64 v[19:20], 2, v[5:6]
	v_addc_co_u32_e32 v18, vcc, v14, v18, vcc
	v_subrev_u32_e32 v5, 20, v4
	v_add_co_u32_e32 v19, vcc, s12, v19
	v_lshlrev_b64 v[21:22], 2, v[5:6]
	v_addc_co_u32_e32 v20, vcc, v13, v20, vcc
	v_add_u32_e32 v5, -6, v4
	v_add_co_u32_e32 v21, vcc, s12, v21
	v_lshlrev_b64 v[23:24], 2, v[5:6]
	v_addc_co_u32_e32 v22, vcc, v13, v22, vcc
	v_fmac_f32_e32 v11, v3, v25
	v_add_co_u32_e32 v23, vcc, s12, v23
	v_fmac_f32_e32 v11, v8, v26
	v_fmac_f32_e32 v10, v27, v26
	v_addc_co_u32_e32 v24, vcc, v13, v24, vcc
	global_load_dword v3, v[15:16], off
	global_load_dword v5, v[19:20], off
	;; [unrolled: 1-line block ×4, first 2 shown]
	global_load_dwordx2 v[25:26], v[17:18], off
	s_waitcnt vmcnt(0)
	v_fmac_f32_e32 v10, v5, v25
	v_subrev_u32_e32 v5, 19, v4
	v_lshlrev_b64 v[15:16], 2, v[5:6]
	v_add_u32_e32 v5, 8, v7
	v_add_co_u32_e32 v15, vcc, s12, v15
	v_lshlrev_b64 v[17:18], 2, v[5:6]
	v_addc_co_u32_e32 v16, vcc, v13, v16, vcc
	v_add_u32_e32 v5, -5, v4
	v_add_co_u32_e32 v17, vcc, s14, v17
	v_lshlrev_b64 v[19:20], 2, v[5:6]
	v_addc_co_u32_e32 v18, vcc, v14, v18, vcc
	v_subrev_u32_e32 v5, 18, v4
	v_add_co_u32_e32 v19, vcc, s12, v19
	v_lshlrev_b64 v[21:22], 2, v[5:6]
	v_addc_co_u32_e32 v20, vcc, v13, v20, vcc
	v_add_u32_e32 v5, -4, v4
	v_add_co_u32_e32 v21, vcc, s12, v21
	v_lshlrev_b64 v[23:24], 2, v[5:6]
	v_addc_co_u32_e32 v22, vcc, v13, v22, vcc
	v_fmac_f32_e32 v11, v3, v25
	v_add_co_u32_e32 v23, vcc, s12, v23
	v_fmac_f32_e32 v11, v8, v26
	v_fmac_f32_e32 v10, v27, v26
	v_addc_co_u32_e32 v24, vcc, v13, v24, vcc
	global_load_dword v3, v[15:16], off
	global_load_dword v5, v[19:20], off
	;; [unrolled: 1-line block ×4, first 2 shown]
	global_load_dwordx2 v[25:26], v[17:18], off
	s_waitcnt vmcnt(0)
	v_fmac_f32_e32 v10, v5, v25
	v_subrev_u32_e32 v5, 17, v4
	v_lshlrev_b64 v[15:16], 2, v[5:6]
	v_add_u32_e32 v5, 10, v7
	v_add_co_u32_e32 v15, vcc, s12, v15
	v_lshlrev_b64 v[17:18], 2, v[5:6]
	v_addc_co_u32_e32 v16, vcc, v13, v16, vcc
	v_add_u32_e32 v5, -3, v4
	v_add_co_u32_e32 v17, vcc, s14, v17
	v_lshlrev_b64 v[19:20], 2, v[5:6]
	v_addc_co_u32_e32 v18, vcc, v14, v18, vcc
	v_add_u32_e32 v5, -16, v4
	;; [unrolled: 4-line block ×3, first 2 shown]
	v_add_co_u32_e32 v21, vcc, s12, v21
	v_lshlrev_b64 v[23:24], 2, v[5:6]
	v_addc_co_u32_e32 v22, vcc, v13, v22, vcc
	v_fmac_f32_e32 v11, v3, v25
	v_add_co_u32_e32 v23, vcc, s12, v23
	v_fmac_f32_e32 v11, v8, v26
	v_fmac_f32_e32 v10, v27, v26
	v_addc_co_u32_e32 v24, vcc, v13, v24, vcc
	global_load_dword v3, v[15:16], off
	global_load_dword v5, v[19:20], off
	;; [unrolled: 1-line block ×4, first 2 shown]
	global_load_dwordx2 v[25:26], v[17:18], off
	s_waitcnt vmcnt(0)
	v_fmac_f32_e32 v10, v5, v25
	v_mov_b32_e32 v5, v6
	v_lshlrev_b64 v[15:16], 2, v[4:5]
	v_add_u32_e32 v5, -15, v4
	v_add_co_u32_e32 v15, vcc, s12, v15
	v_lshlrev_b64 v[17:18], 2, v[5:6]
	v_addc_co_u32_e32 v16, vcc, v13, v16, vcc
	v_fmac_f32_e32 v11, v3, v25
	v_add_u32_e32 v5, 12, v7
	v_add_co_u32_e32 v7, vcc, s12, v17
	v_fmac_f32_e32 v11, v8, v26
	v_addc_co_u32_e32 v8, vcc, v13, v18, vcc
	v_lshlrev_b64 v[17:18], 2, v[5:6]
	v_add_u32_e32 v5, -1, v4
	v_add_co_u32_e32 v17, vcc, s14, v17
	v_lshlrev_b64 v[19:20], 2, v[5:6]
	v_addc_co_u32_e32 v18, vcc, v14, v18, vcc
	v_add_u32_e32 v5, -14, v4
	v_add_co_u32_e32 v19, vcc, s12, v19
	v_lshlrev_b64 v[21:22], 2, v[5:6]
	v_addc_co_u32_e32 v20, vcc, v13, v20, vcc
	v_add_co_u32_e32 v21, vcc, s12, v21
	v_fmac_f32_e32 v10, v27, v26
	v_addc_co_u32_e32 v22, vcc, v13, v22, vcc
	global_load_dword v3, v[15:16], off
	global_load_dword v5, v[7:8], off
	;; [unrolled: 1-line block ×4, first 2 shown]
	global_load_dwordx2 v[23:24], v[17:18], off
	v_cmp_ge_i32_e32 vcc, v2, v9
	s_or_b64 s[0:1], vcc, s[0:1]
	v_add_u32_e32 v4, 0x380, v4
	s_waitcnt vmcnt(0)
	v_fmac_f32_e32 v11, v5, v23
	v_fmac_f32_e32 v10, v25, v23
	v_fmac_f32_e32 v11, v26, v24
	v_fmac_f32_e32 v10, v3, v24
	s_andn2_b64 exec, exec, s[0:1]
	s_cbranch_execnz .LBB63_15
; %bb.16:
	s_or_b64 exec, exec, s[0:1]
.LBB63_17:
	s_or_b64 exec, exec, s[6:7]
.LBB63_18:
	v_mov_b32_dpp v2, v11 row_shr:1 row_mask:0xf bank_mask:0xf
	v_mov_b32_dpp v4, v10 row_shr:1 row_mask:0xf bank_mask:0xf
	v_add_f32_e32 v2, v11, v2
	v_add_f32_e32 v4, v10, v4
	v_cmp_eq_u32_e32 vcc, 31, v0
	v_mov_b32_dpp v3, v2 row_shr:2 row_mask:0xf bank_mask:0xf
	v_mov_b32_dpp v5, v4 row_shr:2 row_mask:0xf bank_mask:0xf
	v_add_f32_e32 v2, v2, v3
	v_add_f32_e32 v4, v4, v5
	s_nop 0
	v_mov_b32_dpp v3, v2 row_shr:4 row_mask:0xf bank_mask:0xe
	v_mov_b32_dpp v5, v4 row_shr:4 row_mask:0xf bank_mask:0xe
	v_add_f32_e32 v2, v2, v3
	v_add_f32_e32 v4, v4, v5
	s_nop 0
	;; [unrolled: 5-line block ×3, first 2 shown]
	v_mov_b32_dpp v3, v2 row_bcast:15 row_mask:0xa bank_mask:0xf
	v_mov_b32_dpp v5, v4 row_bcast:15 row_mask:0xa bank_mask:0xf
	s_and_b64 exec, exec, vcc
	s_cbranch_execz .LBB63_22
; %bb.19:
	s_load_dwordx2 s[0:1], s[4:5], 0x38
	v_add_f32_e32 v0, v2, v3
	v_add_f32_e32 v3, v4, v5
	v_cmp_eq_f32_e64 s[4:5], s2, 0
	s_and_b64 vcc, exec, s[4:5]
	v_mul_f32_e32 v2, s16, v0
	v_mul_f32_e32 v3, s16, v3
	v_lshlrev_b32_e32 v0, 1, v1
	s_cbranch_vccz .LBB63_23
; %bb.20:
	v_ashrrev_i32_e32 v1, 31, v0
	v_lshlrev_b64 v[4:5], 2, v[0:1]
	s_waitcnt lgkmcnt(0)
	v_mov_b32_e32 v1, s1
	v_add_co_u32_e32 v4, vcc, s0, v4
	v_addc_co_u32_e32 v5, vcc, v1, v5, vcc
	global_store_dwordx2 v[4:5], v[2:3], off
	s_cbranch_execnz .LBB63_22
.LBB63_21:
	v_ashrrev_i32_e32 v1, 31, v0
	v_lshlrev_b64 v[0:1], 2, v[0:1]
	s_waitcnt lgkmcnt(0)
	v_mov_b32_e32 v4, s1
	v_add_co_u32_e32 v0, vcc, s0, v0
	v_addc_co_u32_e32 v1, vcc, v4, v1, vcc
	global_load_dwordx2 v[4:5], v[0:1], off
	s_waitcnt vmcnt(0)
	v_fmac_f32_e32 v2, s2, v4
	v_fmac_f32_e32 v3, s2, v5
	global_store_dwordx2 v[0:1], v[2:3], off
.LBB63_22:
	s_endpgm
.LBB63_23:
	s_branch .LBB63_21
	.section	.rodata,"a",@progbits
	.p2align	6, 0x0
	.amdhsa_kernel _ZN9rocsparseL19gebsrmvn_2xn_kernelILj128ELj14ELj32EfEEvi20rocsparse_direction_NS_24const_host_device_scalarIT2_EEPKiS6_PKS3_S8_S4_PS3_21rocsparse_index_base_b
		.amdhsa_group_segment_fixed_size 0
		.amdhsa_private_segment_fixed_size 0
		.amdhsa_kernarg_size 72
		.amdhsa_user_sgpr_count 6
		.amdhsa_user_sgpr_private_segment_buffer 1
		.amdhsa_user_sgpr_dispatch_ptr 0
		.amdhsa_user_sgpr_queue_ptr 0
		.amdhsa_user_sgpr_kernarg_segment_ptr 1
		.amdhsa_user_sgpr_dispatch_id 0
		.amdhsa_user_sgpr_flat_scratch_init 0
		.amdhsa_user_sgpr_private_segment_size 0
		.amdhsa_uses_dynamic_stack 0
		.amdhsa_system_sgpr_private_segment_wavefront_offset 0
		.amdhsa_system_sgpr_workgroup_id_x 1
		.amdhsa_system_sgpr_workgroup_id_y 0
		.amdhsa_system_sgpr_workgroup_id_z 0
		.amdhsa_system_sgpr_workgroup_info 0
		.amdhsa_system_vgpr_workitem_id 0
		.amdhsa_next_free_vgpr 31
		.amdhsa_next_free_sgpr 20
		.amdhsa_reserve_vcc 1
		.amdhsa_reserve_flat_scratch 0
		.amdhsa_float_round_mode_32 0
		.amdhsa_float_round_mode_16_64 0
		.amdhsa_float_denorm_mode_32 3
		.amdhsa_float_denorm_mode_16_64 3
		.amdhsa_dx10_clamp 1
		.amdhsa_ieee_mode 1
		.amdhsa_fp16_overflow 0
		.amdhsa_exception_fp_ieee_invalid_op 0
		.amdhsa_exception_fp_denorm_src 0
		.amdhsa_exception_fp_ieee_div_zero 0
		.amdhsa_exception_fp_ieee_overflow 0
		.amdhsa_exception_fp_ieee_underflow 0
		.amdhsa_exception_fp_ieee_inexact 0
		.amdhsa_exception_int_div_zero 0
	.end_amdhsa_kernel
	.section	.text._ZN9rocsparseL19gebsrmvn_2xn_kernelILj128ELj14ELj32EfEEvi20rocsparse_direction_NS_24const_host_device_scalarIT2_EEPKiS6_PKS3_S8_S4_PS3_21rocsparse_index_base_b,"axG",@progbits,_ZN9rocsparseL19gebsrmvn_2xn_kernelILj128ELj14ELj32EfEEvi20rocsparse_direction_NS_24const_host_device_scalarIT2_EEPKiS6_PKS3_S8_S4_PS3_21rocsparse_index_base_b,comdat
.Lfunc_end63:
	.size	_ZN9rocsparseL19gebsrmvn_2xn_kernelILj128ELj14ELj32EfEEvi20rocsparse_direction_NS_24const_host_device_scalarIT2_EEPKiS6_PKS3_S8_S4_PS3_21rocsparse_index_base_b, .Lfunc_end63-_ZN9rocsparseL19gebsrmvn_2xn_kernelILj128ELj14ELj32EfEEvi20rocsparse_direction_NS_24const_host_device_scalarIT2_EEPKiS6_PKS3_S8_S4_PS3_21rocsparse_index_base_b
                                        ; -- End function
	.set _ZN9rocsparseL19gebsrmvn_2xn_kernelILj128ELj14ELj32EfEEvi20rocsparse_direction_NS_24const_host_device_scalarIT2_EEPKiS6_PKS3_S8_S4_PS3_21rocsparse_index_base_b.num_vgpr, 31
	.set _ZN9rocsparseL19gebsrmvn_2xn_kernelILj128ELj14ELj32EfEEvi20rocsparse_direction_NS_24const_host_device_scalarIT2_EEPKiS6_PKS3_S8_S4_PS3_21rocsparse_index_base_b.num_agpr, 0
	.set _ZN9rocsparseL19gebsrmvn_2xn_kernelILj128ELj14ELj32EfEEvi20rocsparse_direction_NS_24const_host_device_scalarIT2_EEPKiS6_PKS3_S8_S4_PS3_21rocsparse_index_base_b.numbered_sgpr, 20
	.set _ZN9rocsparseL19gebsrmvn_2xn_kernelILj128ELj14ELj32EfEEvi20rocsparse_direction_NS_24const_host_device_scalarIT2_EEPKiS6_PKS3_S8_S4_PS3_21rocsparse_index_base_b.num_named_barrier, 0
	.set _ZN9rocsparseL19gebsrmvn_2xn_kernelILj128ELj14ELj32EfEEvi20rocsparse_direction_NS_24const_host_device_scalarIT2_EEPKiS6_PKS3_S8_S4_PS3_21rocsparse_index_base_b.private_seg_size, 0
	.set _ZN9rocsparseL19gebsrmvn_2xn_kernelILj128ELj14ELj32EfEEvi20rocsparse_direction_NS_24const_host_device_scalarIT2_EEPKiS6_PKS3_S8_S4_PS3_21rocsparse_index_base_b.uses_vcc, 1
	.set _ZN9rocsparseL19gebsrmvn_2xn_kernelILj128ELj14ELj32EfEEvi20rocsparse_direction_NS_24const_host_device_scalarIT2_EEPKiS6_PKS3_S8_S4_PS3_21rocsparse_index_base_b.uses_flat_scratch, 0
	.set _ZN9rocsparseL19gebsrmvn_2xn_kernelILj128ELj14ELj32EfEEvi20rocsparse_direction_NS_24const_host_device_scalarIT2_EEPKiS6_PKS3_S8_S4_PS3_21rocsparse_index_base_b.has_dyn_sized_stack, 0
	.set _ZN9rocsparseL19gebsrmvn_2xn_kernelILj128ELj14ELj32EfEEvi20rocsparse_direction_NS_24const_host_device_scalarIT2_EEPKiS6_PKS3_S8_S4_PS3_21rocsparse_index_base_b.has_recursion, 0
	.set _ZN9rocsparseL19gebsrmvn_2xn_kernelILj128ELj14ELj32EfEEvi20rocsparse_direction_NS_24const_host_device_scalarIT2_EEPKiS6_PKS3_S8_S4_PS3_21rocsparse_index_base_b.has_indirect_call, 0
	.section	.AMDGPU.csdata,"",@progbits
; Kernel info:
; codeLenInByte = 2556
; TotalNumSgprs: 24
; NumVgprs: 31
; ScratchSize: 0
; MemoryBound: 0
; FloatMode: 240
; IeeeMode: 1
; LDSByteSize: 0 bytes/workgroup (compile time only)
; SGPRBlocks: 2
; VGPRBlocks: 7
; NumSGPRsForWavesPerEU: 24
; NumVGPRsForWavesPerEU: 31
; Occupancy: 8
; WaveLimiterHint : 1
; COMPUTE_PGM_RSRC2:SCRATCH_EN: 0
; COMPUTE_PGM_RSRC2:USER_SGPR: 6
; COMPUTE_PGM_RSRC2:TRAP_HANDLER: 0
; COMPUTE_PGM_RSRC2:TGID_X_EN: 1
; COMPUTE_PGM_RSRC2:TGID_Y_EN: 0
; COMPUTE_PGM_RSRC2:TGID_Z_EN: 0
; COMPUTE_PGM_RSRC2:TIDIG_COMP_CNT: 0
	.section	.text._ZN9rocsparseL19gebsrmvn_2xn_kernelILj128ELj14ELj64EfEEvi20rocsparse_direction_NS_24const_host_device_scalarIT2_EEPKiS6_PKS3_S8_S4_PS3_21rocsparse_index_base_b,"axG",@progbits,_ZN9rocsparseL19gebsrmvn_2xn_kernelILj128ELj14ELj64EfEEvi20rocsparse_direction_NS_24const_host_device_scalarIT2_EEPKiS6_PKS3_S8_S4_PS3_21rocsparse_index_base_b,comdat
	.globl	_ZN9rocsparseL19gebsrmvn_2xn_kernelILj128ELj14ELj64EfEEvi20rocsparse_direction_NS_24const_host_device_scalarIT2_EEPKiS6_PKS3_S8_S4_PS3_21rocsparse_index_base_b ; -- Begin function _ZN9rocsparseL19gebsrmvn_2xn_kernelILj128ELj14ELj64EfEEvi20rocsparse_direction_NS_24const_host_device_scalarIT2_EEPKiS6_PKS3_S8_S4_PS3_21rocsparse_index_base_b
	.p2align	8
	.type	_ZN9rocsparseL19gebsrmvn_2xn_kernelILj128ELj14ELj64EfEEvi20rocsparse_direction_NS_24const_host_device_scalarIT2_EEPKiS6_PKS3_S8_S4_PS3_21rocsparse_index_base_b,@function
_ZN9rocsparseL19gebsrmvn_2xn_kernelILj128ELj14ELj64EfEEvi20rocsparse_direction_NS_24const_host_device_scalarIT2_EEPKiS6_PKS3_S8_S4_PS3_21rocsparse_index_base_b: ; @_ZN9rocsparseL19gebsrmvn_2xn_kernelILj128ELj14ELj64EfEEvi20rocsparse_direction_NS_24const_host_device_scalarIT2_EEPKiS6_PKS3_S8_S4_PS3_21rocsparse_index_base_b
; %bb.0:
	s_load_dwordx2 s[18:19], s[4:5], 0x40
	s_load_dwordx2 s[16:17], s[4:5], 0x8
	;; [unrolled: 1-line block ×3, first 2 shown]
	s_waitcnt lgkmcnt(0)
	s_bitcmp1_b32 s19, 0
	s_cselect_b64 s[8:9], -1, 0
	s_xor_b64 s[0:1], s[8:9], -1
	s_and_b64 vcc, exec, s[8:9]
	s_cbranch_vccnz .LBB64_2
; %bb.1:
	s_load_dword s16, s[16:17], 0x0
.LBB64_2:
	s_andn2_b64 vcc, exec, s[0:1]
	s_cbranch_vccnz .LBB64_4
; %bb.3:
	s_load_dword s2, s[2:3], 0x0
.LBB64_4:
	s_waitcnt lgkmcnt(0)
	v_cmp_eq_f32_e64 s[0:1], s16, 0
	v_cmp_eq_f32_e64 s[8:9], s2, 1.0
	s_and_b64 s[0:1], s[0:1], s[8:9]
	s_and_b64 vcc, exec, s[0:1]
	s_cbranch_vccnz .LBB64_22
; %bb.5:
	s_load_dwordx2 s[0:1], s[4:5], 0x0
	v_lshrrev_b32_e32 v1, 6, v0
	v_lshl_or_b32 v1, s6, 1, v1
	s_waitcnt lgkmcnt(0)
	v_cmp_gt_i32_e32 vcc, s0, v1
	s_and_saveexec_b64 s[6:7], vcc
	s_cbranch_execz .LBB64_22
; %bb.6:
	s_load_dwordx8 s[8:15], s[4:5], 0x10
	v_ashrrev_i32_e32 v2, 31, v1
	v_lshlrev_b64 v[2:3], 2, v[1:2]
	v_and_b32_e32 v0, 63, v0
	s_cmp_lg_u32 s1, 0
	s_waitcnt lgkmcnt(0)
	v_mov_b32_e32 v4, s9
	v_add_co_u32_e32 v2, vcc, s8, v2
	v_addc_co_u32_e32 v3, vcc, v4, v3, vcc
	global_load_dwordx2 v[2:3], v[2:3], off
	s_waitcnt vmcnt(0)
	v_subrev_u32_e32 v2, s18, v2
	v_subrev_u32_e32 v9, s18, v3
	v_add_u32_e32 v2, v2, v0
	v_cmp_lt_i32_e64 s[0:1], v2, v9
	s_cbranch_scc0 .LBB64_12
; %bb.7:
	v_mov_b32_e32 v11, 0
	v_mov_b32_e32 v10, 0
	s_and_saveexec_b64 s[6:7], s[0:1]
	s_cbranch_execz .LBB64_11
; %bb.8:
	v_mad_u64_u32 v[3:4], s[8:9], v2, 28, 26
	v_mov_b32_e32 v5, 0
	s_mov_b64 s[8:9], 0
	v_mov_b32_e32 v8, s11
	v_mov_b32_e32 v12, s13
	;; [unrolled: 1-line block ×6, first 2 shown]
.LBB64_9:                               ; =>This Inner Loop Header: Depth=1
	v_ashrrev_i32_e32 v7, 31, v6
	v_lshlrev_b64 v[14:15], 2, v[6:7]
	v_subrev_u32_e32 v4, 26, v3
	v_add_co_u32_e32 v14, vcc, s10, v14
	v_addc_co_u32_e32 v15, vcc, v8, v15, vcc
	v_lshlrev_b64 v[16:17], 2, v[4:5]
	global_load_dword v4, v[14:15], off
	v_mov_b32_e32 v21, v5
	v_add_co_u32_e32 v18, vcc, s12, v16
	v_addc_co_u32_e32 v19, vcc, v12, v17, vcc
	v_add_u32_e32 v6, 64, v6
	s_waitcnt vmcnt(0)
	v_subrev_u32_e32 v4, s18, v4
	v_mul_lo_u32 v20, v4, 14
	v_subrev_u32_e32 v4, 22, v3
	v_lshlrev_b64 v[14:15], 2, v[20:21]
	v_add_co_u32_e32 v21, vcc, s14, v14
	v_addc_co_u32_e32 v22, vcc, v13, v15, vcc
	global_load_dwordx2 v[23:24], v[21:22], off
	global_load_dwordx4 v[14:17], v[18:19], off
	s_waitcnt vmcnt(0)
	v_fmac_f32_e32 v11, v14, v23
	v_fmac_f32_e32 v10, v15, v23
	v_lshlrev_b64 v[14:15], 2, v[4:5]
	v_add_u32_e32 v4, 2, v20
	v_fmac_f32_e32 v11, v16, v24
	v_fmac_f32_e32 v10, v17, v24
	v_add_co_u32_e32 v14, vcc, s12, v14
	v_lshlrev_b64 v[16:17], 2, v[4:5]
	v_addc_co_u32_e32 v15, vcc, v12, v15, vcc
	v_subrev_u32_e32 v4, 20, v3
	v_add_co_u32_e32 v16, vcc, s14, v16
	v_lshlrev_b64 v[18:19], 2, v[4:5]
	v_addc_co_u32_e32 v17, vcc, v13, v17, vcc
	v_add_co_u32_e32 v18, vcc, s12, v18
	v_addc_co_u32_e32 v19, vcc, v12, v19, vcc
	global_load_dwordx2 v[21:22], v[14:15], off
	global_load_dwordx2 v[23:24], v[16:17], off
	v_subrev_u32_e32 v4, 18, v3
	global_load_dwordx2 v[14:15], v[18:19], off
	s_waitcnt vmcnt(1)
	v_fmac_f32_e32 v11, v21, v23
	v_fmac_f32_e32 v10, v22, v23
	s_waitcnt vmcnt(0)
	v_fmac_f32_e32 v11, v14, v24
	v_fmac_f32_e32 v10, v15, v24
	v_lshlrev_b64 v[14:15], 2, v[4:5]
	v_add_u32_e32 v4, 4, v20
	v_add_co_u32_e32 v14, vcc, s12, v14
	v_lshlrev_b64 v[16:17], 2, v[4:5]
	v_addc_co_u32_e32 v15, vcc, v12, v15, vcc
	v_add_u32_e32 v4, -16, v3
	v_add_co_u32_e32 v16, vcc, s14, v16
	v_lshlrev_b64 v[18:19], 2, v[4:5]
	v_addc_co_u32_e32 v17, vcc, v13, v17, vcc
	v_add_co_u32_e32 v18, vcc, s12, v18
	v_addc_co_u32_e32 v19, vcc, v12, v19, vcc
	global_load_dwordx2 v[21:22], v[14:15], off
	global_load_dwordx2 v[23:24], v[16:17], off
	v_add_u32_e32 v4, -14, v3
	global_load_dwordx2 v[14:15], v[18:19], off
	s_waitcnt vmcnt(1)
	v_fmac_f32_e32 v11, v21, v23
	v_fmac_f32_e32 v10, v22, v23
	s_waitcnt vmcnt(0)
	v_fmac_f32_e32 v11, v14, v24
	v_fmac_f32_e32 v10, v15, v24
	v_lshlrev_b64 v[14:15], 2, v[4:5]
	v_add_u32_e32 v4, 6, v20
	v_add_co_u32_e32 v14, vcc, s12, v14
	v_lshlrev_b64 v[16:17], 2, v[4:5]
	v_addc_co_u32_e32 v15, vcc, v12, v15, vcc
	v_add_u32_e32 v4, -12, v3
	v_add_co_u32_e32 v16, vcc, s14, v16
	v_lshlrev_b64 v[18:19], 2, v[4:5]
	v_addc_co_u32_e32 v17, vcc, v13, v17, vcc
	v_add_co_u32_e32 v18, vcc, s12, v18
	v_addc_co_u32_e32 v19, vcc, v12, v19, vcc
	global_load_dwordx2 v[21:22], v[14:15], off
	global_load_dwordx2 v[23:24], v[16:17], off
	v_add_u32_e32 v4, -10, v3
	;; [unrolled: 21-line block ×3, first 2 shown]
	global_load_dwordx2 v[14:15], v[18:19], off
	s_waitcnt vmcnt(1)
	v_fmac_f32_e32 v11, v21, v23
	v_fmac_f32_e32 v10, v22, v23
	s_waitcnt vmcnt(0)
	v_fmac_f32_e32 v11, v14, v24
	v_fmac_f32_e32 v10, v15, v24
	v_lshlrev_b64 v[14:15], 2, v[4:5]
	v_add_u32_e32 v4, 10, v20
	v_add_co_u32_e32 v14, vcc, s12, v14
	v_lshlrev_b64 v[16:17], 2, v[4:5]
	v_addc_co_u32_e32 v15, vcc, v12, v15, vcc
	v_add_u32_e32 v4, -4, v3
	v_add_co_u32_e32 v16, vcc, s14, v16
	v_lshlrev_b64 v[18:19], 2, v[4:5]
	v_addc_co_u32_e32 v17, vcc, v13, v17, vcc
	v_add_co_u32_e32 v18, vcc, s12, v18
	v_addc_co_u32_e32 v19, vcc, v12, v19, vcc
	global_load_dwordx2 v[21:22], v[14:15], off
	global_load_dwordx2 v[23:24], v[16:17], off
	v_mov_b32_e32 v4, v5
	global_load_dwordx2 v[14:15], v[18:19], off
	s_waitcnt vmcnt(1)
	v_fmac_f32_e32 v11, v21, v23
	v_fmac_f32_e32 v10, v22, v23
	s_waitcnt vmcnt(0)
	v_fmac_f32_e32 v11, v14, v24
	v_fmac_f32_e32 v10, v15, v24
	v_lshlrev_b64 v[14:15], 2, v[3:4]
	v_add_u32_e32 v4, -2, v3
	v_add_co_u32_e32 v14, vcc, s12, v14
	v_lshlrev_b64 v[16:17], 2, v[4:5]
	v_addc_co_u32_e32 v15, vcc, v12, v15, vcc
	v_add_u32_e32 v4, 12, v20
	v_add_co_u32_e32 v16, vcc, s12, v16
	v_lshlrev_b64 v[18:19], 2, v[4:5]
	v_addc_co_u32_e32 v17, vcc, v12, v17, vcc
	v_add_co_u32_e32 v18, vcc, s14, v18
	v_addc_co_u32_e32 v19, vcc, v13, v19, vcc
	global_load_dwordx2 v[20:21], v[16:17], off
	global_load_dwordx2 v[22:23], v[18:19], off
	v_cmp_ge_i32_e32 vcc, v6, v9
	global_load_dwordx2 v[14:15], v[14:15], off
	s_or_b64 s[8:9], vcc, s[8:9]
	v_add_u32_e32 v3, 0x700, v3
	s_waitcnt vmcnt(1)
	v_fmac_f32_e32 v11, v20, v22
	v_fmac_f32_e32 v10, v21, v22
	s_waitcnt vmcnt(0)
	v_fmac_f32_e32 v11, v14, v23
	v_fmac_f32_e32 v10, v15, v23
	s_andn2_b64 exec, exec, s[8:9]
	s_cbranch_execnz .LBB64_9
; %bb.10:
	s_or_b64 exec, exec, s[8:9]
.LBB64_11:
	s_or_b64 exec, exec, s[6:7]
	s_cbranch_execz .LBB64_13
	s_branch .LBB64_18
.LBB64_12:
                                        ; implicit-def: $vgpr11
                                        ; implicit-def: $vgpr10
.LBB64_13:
	v_mov_b32_e32 v11, 0
	v_mov_b32_e32 v10, 0
	s_and_saveexec_b64 s[6:7], s[0:1]
	s_cbranch_execz .LBB64_17
; %bb.14:
	v_mad_u64_u32 v[4:5], s[0:1], v2, 28, 27
	v_mov_b32_e32 v6, 0
	s_mov_b64 s[0:1], 0
	v_mov_b32_e32 v12, s11
	v_mov_b32_e32 v13, s13
	v_mov_b32_e32 v14, s15
	v_mov_b32_e32 v11, 0
	v_mov_b32_e32 v10, 0
.LBB64_15:                              ; =>This Inner Loop Header: Depth=1
	v_ashrrev_i32_e32 v3, 31, v2
	v_lshlrev_b64 v[7:8], 2, v[2:3]
	v_subrev_u32_e32 v5, 27, v4
	v_add_co_u32_e32 v7, vcc, s10, v7
	v_addc_co_u32_e32 v8, vcc, v12, v8, vcc
	global_load_dword v3, v[7:8], off
	v_lshlrev_b64 v[15:16], 2, v[5:6]
	v_mov_b32_e32 v8, v6
	v_add_co_u32_e32 v19, vcc, s12, v15
	v_addc_co_u32_e32 v20, vcc, v13, v16, vcc
	v_add_u32_e32 v5, -12, v4
	v_lshlrev_b64 v[23:24], 2, v[5:6]
	v_add_u32_e32 v2, 64, v2
	s_waitcnt vmcnt(0)
	v_subrev_u32_e32 v3, s18, v3
	v_mul_lo_u32 v7, v3, 14
	v_lshlrev_b64 v[15:16], 2, v[7:8]
	v_add_u32_e32 v5, 2, v7
	v_add_co_u32_e32 v21, vcc, s14, v15
	v_addc_co_u32_e32 v22, vcc, v14, v16, vcc
	v_lshlrev_b64 v[15:16], 2, v[5:6]
	v_add_co_u32_e32 v25, vcc, s14, v15
	v_addc_co_u32_e32 v26, vcc, v14, v16, vcc
	global_load_dwordx2 v[27:28], v[21:22], off
	global_load_dwordx2 v[29:30], v[25:26], off
	global_load_dwordx4 v[15:18], v[19:20], off
	s_waitcnt vmcnt(0)
	v_fmac_f32_e32 v11, v15, v27
	v_fmac_f32_e32 v11, v16, v28
	v_add_u32_e32 v15, -13, v4
	v_mov_b32_e32 v16, v6
	v_lshlrev_b64 v[15:16], 2, v[15:16]
	v_fmac_f32_e32 v11, v17, v29
	v_add_co_u32_e32 v15, vcc, s12, v15
	v_addc_co_u32_e32 v16, vcc, v13, v16, vcc
	v_add_co_u32_e32 v17, vcc, s12, v23
	v_fmac_f32_e32 v11, v18, v30
	v_addc_co_u32_e32 v18, vcc, v13, v24, vcc
	global_load_dword v3, v[15:16], off
	global_load_dword v5, v[17:18], off
	s_waitcnt vmcnt(1)
	v_fmac_f32_e32 v10, v3, v27
	s_waitcnt vmcnt(0)
	v_fmac_f32_e32 v10, v5, v28
	v_add_u32_e32 v5, -11, v4
	v_lshlrev_b64 v[15:16], 2, v[5:6]
	v_add_u32_e32 v5, -10, v4
	v_add_co_u32_e32 v15, vcc, s12, v15
	v_lshlrev_b64 v[17:18], 2, v[5:6]
	v_addc_co_u32_e32 v16, vcc, v13, v16, vcc
	v_add_co_u32_e32 v17, vcc, s12, v17
	v_addc_co_u32_e32 v18, vcc, v13, v18, vcc
	global_load_dword v3, v[15:16], off
	global_load_dword v5, v[17:18], off
	s_waitcnt vmcnt(1)
	v_fmac_f32_e32 v10, v3, v29
	s_waitcnt vmcnt(0)
	v_fmac_f32_e32 v10, v5, v30
	v_subrev_u32_e32 v5, 23, v4
	v_lshlrev_b64 v[15:16], 2, v[5:6]
	v_add_u32_e32 v5, 4, v7
	v_add_co_u32_e32 v15, vcc, s12, v15
	v_lshlrev_b64 v[17:18], 2, v[5:6]
	v_addc_co_u32_e32 v16, vcc, v13, v16, vcc
	v_add_u32_e32 v5, -9, v4
	v_add_co_u32_e32 v17, vcc, s14, v17
	v_lshlrev_b64 v[19:20], 2, v[5:6]
	v_addc_co_u32_e32 v18, vcc, v14, v18, vcc
	v_subrev_u32_e32 v5, 22, v4
	v_add_co_u32_e32 v19, vcc, s12, v19
	v_lshlrev_b64 v[21:22], 2, v[5:6]
	v_addc_co_u32_e32 v20, vcc, v13, v20, vcc
	v_add_u32_e32 v5, -8, v4
	v_add_co_u32_e32 v21, vcc, s12, v21
	v_lshlrev_b64 v[23:24], 2, v[5:6]
	v_addc_co_u32_e32 v22, vcc, v13, v22, vcc
	v_add_co_u32_e32 v23, vcc, s12, v23
	v_addc_co_u32_e32 v24, vcc, v13, v24, vcc
	global_load_dword v3, v[15:16], off
	global_load_dword v5, v[19:20], off
	;; [unrolled: 1-line block ×4, first 2 shown]
	global_load_dwordx2 v[25:26], v[17:18], off
	s_waitcnt vmcnt(0)
	v_fmac_f32_e32 v10, v5, v25
	v_subrev_u32_e32 v5, 21, v4
	v_lshlrev_b64 v[15:16], 2, v[5:6]
	v_add_u32_e32 v5, 6, v7
	v_add_co_u32_e32 v15, vcc, s12, v15
	v_lshlrev_b64 v[17:18], 2, v[5:6]
	v_addc_co_u32_e32 v16, vcc, v13, v16, vcc
	v_add_u32_e32 v5, -7, v4
	v_add_co_u32_e32 v17, vcc, s14, v17
	v_lshlrev_b64 v[19:20], 2, v[5:6]
	v_addc_co_u32_e32 v18, vcc, v14, v18, vcc
	v_subrev_u32_e32 v5, 20, v4
	v_add_co_u32_e32 v19, vcc, s12, v19
	v_lshlrev_b64 v[21:22], 2, v[5:6]
	v_addc_co_u32_e32 v20, vcc, v13, v20, vcc
	v_add_u32_e32 v5, -6, v4
	v_add_co_u32_e32 v21, vcc, s12, v21
	v_lshlrev_b64 v[23:24], 2, v[5:6]
	v_addc_co_u32_e32 v22, vcc, v13, v22, vcc
	v_fmac_f32_e32 v11, v3, v25
	v_add_co_u32_e32 v23, vcc, s12, v23
	v_fmac_f32_e32 v11, v8, v26
	v_fmac_f32_e32 v10, v27, v26
	v_addc_co_u32_e32 v24, vcc, v13, v24, vcc
	global_load_dword v3, v[15:16], off
	global_load_dword v5, v[19:20], off
	;; [unrolled: 1-line block ×4, first 2 shown]
	global_load_dwordx2 v[25:26], v[17:18], off
	s_waitcnt vmcnt(0)
	v_fmac_f32_e32 v10, v5, v25
	v_subrev_u32_e32 v5, 19, v4
	v_lshlrev_b64 v[15:16], 2, v[5:6]
	v_add_u32_e32 v5, 8, v7
	v_add_co_u32_e32 v15, vcc, s12, v15
	v_lshlrev_b64 v[17:18], 2, v[5:6]
	v_addc_co_u32_e32 v16, vcc, v13, v16, vcc
	v_add_u32_e32 v5, -5, v4
	v_add_co_u32_e32 v17, vcc, s14, v17
	v_lshlrev_b64 v[19:20], 2, v[5:6]
	v_addc_co_u32_e32 v18, vcc, v14, v18, vcc
	v_subrev_u32_e32 v5, 18, v4
	v_add_co_u32_e32 v19, vcc, s12, v19
	v_lshlrev_b64 v[21:22], 2, v[5:6]
	v_addc_co_u32_e32 v20, vcc, v13, v20, vcc
	v_add_u32_e32 v5, -4, v4
	v_add_co_u32_e32 v21, vcc, s12, v21
	v_lshlrev_b64 v[23:24], 2, v[5:6]
	v_addc_co_u32_e32 v22, vcc, v13, v22, vcc
	v_fmac_f32_e32 v11, v3, v25
	v_add_co_u32_e32 v23, vcc, s12, v23
	v_fmac_f32_e32 v11, v8, v26
	v_fmac_f32_e32 v10, v27, v26
	v_addc_co_u32_e32 v24, vcc, v13, v24, vcc
	global_load_dword v3, v[15:16], off
	global_load_dword v5, v[19:20], off
	;; [unrolled: 1-line block ×4, first 2 shown]
	global_load_dwordx2 v[25:26], v[17:18], off
	s_waitcnt vmcnt(0)
	v_fmac_f32_e32 v10, v5, v25
	v_subrev_u32_e32 v5, 17, v4
	v_lshlrev_b64 v[15:16], 2, v[5:6]
	v_add_u32_e32 v5, 10, v7
	v_add_co_u32_e32 v15, vcc, s12, v15
	v_lshlrev_b64 v[17:18], 2, v[5:6]
	v_addc_co_u32_e32 v16, vcc, v13, v16, vcc
	v_add_u32_e32 v5, -3, v4
	v_add_co_u32_e32 v17, vcc, s14, v17
	v_lshlrev_b64 v[19:20], 2, v[5:6]
	v_addc_co_u32_e32 v18, vcc, v14, v18, vcc
	v_add_u32_e32 v5, -16, v4
	;; [unrolled: 4-line block ×3, first 2 shown]
	v_add_co_u32_e32 v21, vcc, s12, v21
	v_lshlrev_b64 v[23:24], 2, v[5:6]
	v_addc_co_u32_e32 v22, vcc, v13, v22, vcc
	v_fmac_f32_e32 v11, v3, v25
	v_add_co_u32_e32 v23, vcc, s12, v23
	v_fmac_f32_e32 v11, v8, v26
	v_fmac_f32_e32 v10, v27, v26
	v_addc_co_u32_e32 v24, vcc, v13, v24, vcc
	global_load_dword v3, v[15:16], off
	global_load_dword v5, v[19:20], off
	;; [unrolled: 1-line block ×4, first 2 shown]
	global_load_dwordx2 v[25:26], v[17:18], off
	s_waitcnt vmcnt(0)
	v_fmac_f32_e32 v10, v5, v25
	v_mov_b32_e32 v5, v6
	v_lshlrev_b64 v[15:16], 2, v[4:5]
	v_add_u32_e32 v5, -15, v4
	v_add_co_u32_e32 v15, vcc, s12, v15
	v_lshlrev_b64 v[17:18], 2, v[5:6]
	v_addc_co_u32_e32 v16, vcc, v13, v16, vcc
	v_fmac_f32_e32 v11, v3, v25
	v_add_u32_e32 v5, 12, v7
	v_add_co_u32_e32 v7, vcc, s12, v17
	v_fmac_f32_e32 v11, v8, v26
	v_addc_co_u32_e32 v8, vcc, v13, v18, vcc
	v_lshlrev_b64 v[17:18], 2, v[5:6]
	v_add_u32_e32 v5, -1, v4
	v_add_co_u32_e32 v17, vcc, s14, v17
	v_lshlrev_b64 v[19:20], 2, v[5:6]
	v_addc_co_u32_e32 v18, vcc, v14, v18, vcc
	v_add_u32_e32 v5, -14, v4
	v_add_co_u32_e32 v19, vcc, s12, v19
	v_lshlrev_b64 v[21:22], 2, v[5:6]
	v_addc_co_u32_e32 v20, vcc, v13, v20, vcc
	v_add_co_u32_e32 v21, vcc, s12, v21
	v_fmac_f32_e32 v10, v27, v26
	v_addc_co_u32_e32 v22, vcc, v13, v22, vcc
	global_load_dword v3, v[15:16], off
	global_load_dword v5, v[7:8], off
	;; [unrolled: 1-line block ×4, first 2 shown]
	global_load_dwordx2 v[23:24], v[17:18], off
	v_cmp_ge_i32_e32 vcc, v2, v9
	s_or_b64 s[0:1], vcc, s[0:1]
	v_add_u32_e32 v4, 0x700, v4
	s_waitcnt vmcnt(0)
	v_fmac_f32_e32 v11, v5, v23
	v_fmac_f32_e32 v10, v25, v23
	;; [unrolled: 1-line block ×4, first 2 shown]
	s_andn2_b64 exec, exec, s[0:1]
	s_cbranch_execnz .LBB64_15
; %bb.16:
	s_or_b64 exec, exec, s[0:1]
.LBB64_17:
	s_or_b64 exec, exec, s[6:7]
.LBB64_18:
	v_mov_b32_dpp v2, v11 row_shr:1 row_mask:0xf bank_mask:0xf
	v_mov_b32_dpp v4, v10 row_shr:1 row_mask:0xf bank_mask:0xf
	v_add_f32_e32 v2, v11, v2
	v_add_f32_e32 v4, v10, v4
	v_cmp_eq_u32_e32 vcc, 63, v0
	v_mov_b32_dpp v3, v2 row_shr:2 row_mask:0xf bank_mask:0xf
	v_mov_b32_dpp v5, v4 row_shr:2 row_mask:0xf bank_mask:0xf
	v_add_f32_e32 v2, v2, v3
	v_add_f32_e32 v4, v4, v5
	s_nop 0
	v_mov_b32_dpp v3, v2 row_shr:4 row_mask:0xf bank_mask:0xe
	v_mov_b32_dpp v5, v4 row_shr:4 row_mask:0xf bank_mask:0xe
	v_add_f32_e32 v2, v2, v3
	v_add_f32_e32 v4, v4, v5
	s_nop 0
	;; [unrolled: 5-line block ×3, first 2 shown]
	v_mov_b32_dpp v3, v2 row_bcast:15 row_mask:0xa bank_mask:0xf
	v_mov_b32_dpp v5, v4 row_bcast:15 row_mask:0xa bank_mask:0xf
	v_add_f32_e32 v2, v2, v3
	v_add_f32_e32 v4, v4, v5
	s_nop 0
	v_mov_b32_dpp v3, v2 row_bcast:31 row_mask:0xc bank_mask:0xf
	v_mov_b32_dpp v5, v4 row_bcast:31 row_mask:0xc bank_mask:0xf
	s_and_b64 exec, exec, vcc
	s_cbranch_execz .LBB64_22
; %bb.19:
	s_load_dwordx2 s[0:1], s[4:5], 0x38
	v_add_f32_e32 v0, v2, v3
	v_add_f32_e32 v3, v4, v5
	v_cmp_eq_f32_e64 s[4:5], s2, 0
	s_and_b64 vcc, exec, s[4:5]
	v_mul_f32_e32 v2, s16, v0
	v_mul_f32_e32 v3, s16, v3
	v_lshlrev_b32_e32 v0, 1, v1
	s_cbranch_vccz .LBB64_23
; %bb.20:
	v_ashrrev_i32_e32 v1, 31, v0
	v_lshlrev_b64 v[4:5], 2, v[0:1]
	s_waitcnt lgkmcnt(0)
	v_mov_b32_e32 v1, s1
	v_add_co_u32_e32 v4, vcc, s0, v4
	v_addc_co_u32_e32 v5, vcc, v1, v5, vcc
	global_store_dwordx2 v[4:5], v[2:3], off
	s_cbranch_execnz .LBB64_22
.LBB64_21:
	v_ashrrev_i32_e32 v1, 31, v0
	v_lshlrev_b64 v[0:1], 2, v[0:1]
	s_waitcnt lgkmcnt(0)
	v_mov_b32_e32 v4, s1
	v_add_co_u32_e32 v0, vcc, s0, v0
	v_addc_co_u32_e32 v1, vcc, v4, v1, vcc
	global_load_dwordx2 v[4:5], v[0:1], off
	s_waitcnt vmcnt(0)
	v_fmac_f32_e32 v2, s2, v4
	v_fmac_f32_e32 v3, s2, v5
	global_store_dwordx2 v[0:1], v[2:3], off
.LBB64_22:
	s_endpgm
.LBB64_23:
	s_branch .LBB64_21
	.section	.rodata,"a",@progbits
	.p2align	6, 0x0
	.amdhsa_kernel _ZN9rocsparseL19gebsrmvn_2xn_kernelILj128ELj14ELj64EfEEvi20rocsparse_direction_NS_24const_host_device_scalarIT2_EEPKiS6_PKS3_S8_S4_PS3_21rocsparse_index_base_b
		.amdhsa_group_segment_fixed_size 0
		.amdhsa_private_segment_fixed_size 0
		.amdhsa_kernarg_size 72
		.amdhsa_user_sgpr_count 6
		.amdhsa_user_sgpr_private_segment_buffer 1
		.amdhsa_user_sgpr_dispatch_ptr 0
		.amdhsa_user_sgpr_queue_ptr 0
		.amdhsa_user_sgpr_kernarg_segment_ptr 1
		.amdhsa_user_sgpr_dispatch_id 0
		.amdhsa_user_sgpr_flat_scratch_init 0
		.amdhsa_user_sgpr_private_segment_size 0
		.amdhsa_uses_dynamic_stack 0
		.amdhsa_system_sgpr_private_segment_wavefront_offset 0
		.amdhsa_system_sgpr_workgroup_id_x 1
		.amdhsa_system_sgpr_workgroup_id_y 0
		.amdhsa_system_sgpr_workgroup_id_z 0
		.amdhsa_system_sgpr_workgroup_info 0
		.amdhsa_system_vgpr_workitem_id 0
		.amdhsa_next_free_vgpr 31
		.amdhsa_next_free_sgpr 20
		.amdhsa_reserve_vcc 1
		.amdhsa_reserve_flat_scratch 0
		.amdhsa_float_round_mode_32 0
		.amdhsa_float_round_mode_16_64 0
		.amdhsa_float_denorm_mode_32 3
		.amdhsa_float_denorm_mode_16_64 3
		.amdhsa_dx10_clamp 1
		.amdhsa_ieee_mode 1
		.amdhsa_fp16_overflow 0
		.amdhsa_exception_fp_ieee_invalid_op 0
		.amdhsa_exception_fp_denorm_src 0
		.amdhsa_exception_fp_ieee_div_zero 0
		.amdhsa_exception_fp_ieee_overflow 0
		.amdhsa_exception_fp_ieee_underflow 0
		.amdhsa_exception_fp_ieee_inexact 0
		.amdhsa_exception_int_div_zero 0
	.end_amdhsa_kernel
	.section	.text._ZN9rocsparseL19gebsrmvn_2xn_kernelILj128ELj14ELj64EfEEvi20rocsparse_direction_NS_24const_host_device_scalarIT2_EEPKiS6_PKS3_S8_S4_PS3_21rocsparse_index_base_b,"axG",@progbits,_ZN9rocsparseL19gebsrmvn_2xn_kernelILj128ELj14ELj64EfEEvi20rocsparse_direction_NS_24const_host_device_scalarIT2_EEPKiS6_PKS3_S8_S4_PS3_21rocsparse_index_base_b,comdat
.Lfunc_end64:
	.size	_ZN9rocsparseL19gebsrmvn_2xn_kernelILj128ELj14ELj64EfEEvi20rocsparse_direction_NS_24const_host_device_scalarIT2_EEPKiS6_PKS3_S8_S4_PS3_21rocsparse_index_base_b, .Lfunc_end64-_ZN9rocsparseL19gebsrmvn_2xn_kernelILj128ELj14ELj64EfEEvi20rocsparse_direction_NS_24const_host_device_scalarIT2_EEPKiS6_PKS3_S8_S4_PS3_21rocsparse_index_base_b
                                        ; -- End function
	.set _ZN9rocsparseL19gebsrmvn_2xn_kernelILj128ELj14ELj64EfEEvi20rocsparse_direction_NS_24const_host_device_scalarIT2_EEPKiS6_PKS3_S8_S4_PS3_21rocsparse_index_base_b.num_vgpr, 31
	.set _ZN9rocsparseL19gebsrmvn_2xn_kernelILj128ELj14ELj64EfEEvi20rocsparse_direction_NS_24const_host_device_scalarIT2_EEPKiS6_PKS3_S8_S4_PS3_21rocsparse_index_base_b.num_agpr, 0
	.set _ZN9rocsparseL19gebsrmvn_2xn_kernelILj128ELj14ELj64EfEEvi20rocsparse_direction_NS_24const_host_device_scalarIT2_EEPKiS6_PKS3_S8_S4_PS3_21rocsparse_index_base_b.numbered_sgpr, 20
	.set _ZN9rocsparseL19gebsrmvn_2xn_kernelILj128ELj14ELj64EfEEvi20rocsparse_direction_NS_24const_host_device_scalarIT2_EEPKiS6_PKS3_S8_S4_PS3_21rocsparse_index_base_b.num_named_barrier, 0
	.set _ZN9rocsparseL19gebsrmvn_2xn_kernelILj128ELj14ELj64EfEEvi20rocsparse_direction_NS_24const_host_device_scalarIT2_EEPKiS6_PKS3_S8_S4_PS3_21rocsparse_index_base_b.private_seg_size, 0
	.set _ZN9rocsparseL19gebsrmvn_2xn_kernelILj128ELj14ELj64EfEEvi20rocsparse_direction_NS_24const_host_device_scalarIT2_EEPKiS6_PKS3_S8_S4_PS3_21rocsparse_index_base_b.uses_vcc, 1
	.set _ZN9rocsparseL19gebsrmvn_2xn_kernelILj128ELj14ELj64EfEEvi20rocsparse_direction_NS_24const_host_device_scalarIT2_EEPKiS6_PKS3_S8_S4_PS3_21rocsparse_index_base_b.uses_flat_scratch, 0
	.set _ZN9rocsparseL19gebsrmvn_2xn_kernelILj128ELj14ELj64EfEEvi20rocsparse_direction_NS_24const_host_device_scalarIT2_EEPKiS6_PKS3_S8_S4_PS3_21rocsparse_index_base_b.has_dyn_sized_stack, 0
	.set _ZN9rocsparseL19gebsrmvn_2xn_kernelILj128ELj14ELj64EfEEvi20rocsparse_direction_NS_24const_host_device_scalarIT2_EEPKiS6_PKS3_S8_S4_PS3_21rocsparse_index_base_b.has_recursion, 0
	.set _ZN9rocsparseL19gebsrmvn_2xn_kernelILj128ELj14ELj64EfEEvi20rocsparse_direction_NS_24const_host_device_scalarIT2_EEPKiS6_PKS3_S8_S4_PS3_21rocsparse_index_base_b.has_indirect_call, 0
	.section	.AMDGPU.csdata,"",@progbits
; Kernel info:
; codeLenInByte = 2584
; TotalNumSgprs: 24
; NumVgprs: 31
; ScratchSize: 0
; MemoryBound: 0
; FloatMode: 240
; IeeeMode: 1
; LDSByteSize: 0 bytes/workgroup (compile time only)
; SGPRBlocks: 2
; VGPRBlocks: 7
; NumSGPRsForWavesPerEU: 24
; NumVGPRsForWavesPerEU: 31
; Occupancy: 8
; WaveLimiterHint : 1
; COMPUTE_PGM_RSRC2:SCRATCH_EN: 0
; COMPUTE_PGM_RSRC2:USER_SGPR: 6
; COMPUTE_PGM_RSRC2:TRAP_HANDLER: 0
; COMPUTE_PGM_RSRC2:TGID_X_EN: 1
; COMPUTE_PGM_RSRC2:TGID_Y_EN: 0
; COMPUTE_PGM_RSRC2:TGID_Z_EN: 0
; COMPUTE_PGM_RSRC2:TIDIG_COMP_CNT: 0
	.section	.text._ZN9rocsparseL19gebsrmvn_2xn_kernelILj128ELj15ELj4EfEEvi20rocsparse_direction_NS_24const_host_device_scalarIT2_EEPKiS6_PKS3_S8_S4_PS3_21rocsparse_index_base_b,"axG",@progbits,_ZN9rocsparseL19gebsrmvn_2xn_kernelILj128ELj15ELj4EfEEvi20rocsparse_direction_NS_24const_host_device_scalarIT2_EEPKiS6_PKS3_S8_S4_PS3_21rocsparse_index_base_b,comdat
	.globl	_ZN9rocsparseL19gebsrmvn_2xn_kernelILj128ELj15ELj4EfEEvi20rocsparse_direction_NS_24const_host_device_scalarIT2_EEPKiS6_PKS3_S8_S4_PS3_21rocsparse_index_base_b ; -- Begin function _ZN9rocsparseL19gebsrmvn_2xn_kernelILj128ELj15ELj4EfEEvi20rocsparse_direction_NS_24const_host_device_scalarIT2_EEPKiS6_PKS3_S8_S4_PS3_21rocsparse_index_base_b
	.p2align	8
	.type	_ZN9rocsparseL19gebsrmvn_2xn_kernelILj128ELj15ELj4EfEEvi20rocsparse_direction_NS_24const_host_device_scalarIT2_EEPKiS6_PKS3_S8_S4_PS3_21rocsparse_index_base_b,@function
_ZN9rocsparseL19gebsrmvn_2xn_kernelILj128ELj15ELj4EfEEvi20rocsparse_direction_NS_24const_host_device_scalarIT2_EEPKiS6_PKS3_S8_S4_PS3_21rocsparse_index_base_b: ; @_ZN9rocsparseL19gebsrmvn_2xn_kernelILj128ELj15ELj4EfEEvi20rocsparse_direction_NS_24const_host_device_scalarIT2_EEPKiS6_PKS3_S8_S4_PS3_21rocsparse_index_base_b
; %bb.0:
	s_load_dwordx2 s[18:19], s[4:5], 0x40
	s_load_dwordx2 s[16:17], s[4:5], 0x8
	;; [unrolled: 1-line block ×3, first 2 shown]
	s_waitcnt lgkmcnt(0)
	s_bitcmp1_b32 s19, 0
	s_cselect_b64 s[8:9], -1, 0
	s_xor_b64 s[0:1], s[8:9], -1
	s_and_b64 vcc, exec, s[8:9]
	s_cbranch_vccnz .LBB65_2
; %bb.1:
	s_load_dword s16, s[16:17], 0x0
.LBB65_2:
	s_andn2_b64 vcc, exec, s[0:1]
	s_cbranch_vccnz .LBB65_4
; %bb.3:
	s_load_dword s2, s[2:3], 0x0
.LBB65_4:
	s_waitcnt lgkmcnt(0)
	v_cmp_eq_f32_e64 s[0:1], s16, 0
	v_cmp_eq_f32_e64 s[8:9], s2, 1.0
	s_and_b64 s[0:1], s[0:1], s[8:9]
	s_and_b64 vcc, exec, s[0:1]
	s_cbranch_vccnz .LBB65_22
; %bb.5:
	s_load_dwordx2 s[0:1], s[4:5], 0x0
	v_lshrrev_b32_e32 v1, 2, v0
	v_lshl_or_b32 v1, s6, 5, v1
	s_waitcnt lgkmcnt(0)
	v_cmp_gt_i32_e32 vcc, s0, v1
	s_and_saveexec_b64 s[6:7], vcc
	s_cbranch_execz .LBB65_22
; %bb.6:
	s_load_dwordx8 s[8:15], s[4:5], 0x10
	v_ashrrev_i32_e32 v2, 31, v1
	v_lshlrev_b64 v[2:3], 2, v[1:2]
	v_and_b32_e32 v0, 3, v0
	s_cmp_lg_u32 s1, 0
	s_waitcnt lgkmcnt(0)
	v_mov_b32_e32 v4, s9
	v_add_co_u32_e32 v2, vcc, s8, v2
	v_addc_co_u32_e32 v3, vcc, v4, v3, vcc
	global_load_dwordx2 v[2:3], v[2:3], off
	s_waitcnt vmcnt(0)
	v_subrev_u32_e32 v2, s18, v2
	v_subrev_u32_e32 v9, s18, v3
	v_add_u32_e32 v2, v2, v0
	v_cmp_lt_i32_e64 s[0:1], v2, v9
	s_cbranch_scc0 .LBB65_12
; %bb.7:
	v_mov_b32_e32 v10, 0
	v_mov_b32_e32 v11, 0
	s_and_saveexec_b64 s[6:7], s[0:1]
	s_cbranch_execz .LBB65_11
; %bb.8:
	v_mad_u64_u32 v[3:4], s[8:9], v2, 30, 28
	v_mov_b32_e32 v6, 0
	s_mov_b64 s[8:9], 0
	v_mov_b32_e32 v12, s11
	v_mov_b32_e32 v13, s13
	;; [unrolled: 1-line block ×6, first 2 shown]
.LBB65_9:                               ; =>This Inner Loop Header: Depth=1
	v_ashrrev_i32_e32 v8, 31, v7
	v_lshlrev_b64 v[17:18], 2, v[7:8]
	v_subrev_u32_e32 v5, 28, v3
	v_add_co_u32_e32 v17, vcc, s10, v17
	v_addc_co_u32_e32 v18, vcc, v12, v18, vcc
	global_load_dword v8, v[17:18], off
	v_lshlrev_b64 v[19:20], 2, v[5:6]
	v_mov_b32_e32 v16, v6
	v_add_co_u32_e32 v19, vcc, s12, v19
	v_addc_co_u32_e32 v20, vcc, v13, v20, vcc
	v_mov_b32_e32 v4, v6
	v_lshlrev_b64 v[21:22], 2, v[3:4]
	v_subrev_u32_e32 v5, 26, v3
	v_add_u32_e32 v7, 4, v7
	s_waitcnt vmcnt(0)
	v_subrev_u32_e32 v8, s18, v8
	v_mul_lo_u32 v15, v8, 15
	v_lshlrev_b64 v[16:17], 2, v[15:16]
	v_add_co_u32_e32 v16, vcc, s14, v16
	v_addc_co_u32_e32 v17, vcc, v14, v17, vcc
	global_load_dwordx2 v[23:24], v[19:20], off
	global_load_dword v4, v[16:17], off
	v_add_co_u32_e32 v16, vcc, s12, v21
	v_addc_co_u32_e32 v17, vcc, v13, v22, vcc
	s_waitcnt vmcnt(0)
	v_fmac_f32_e32 v10, v23, v4
	v_fmac_f32_e32 v11, v24, v4
	v_lshlrev_b64 v[4:5], 2, v[5:6]
	v_add_co_u32_e32 v18, vcc, s12, v4
	v_addc_co_u32_e32 v19, vcc, v13, v5, vcc
	v_add_u32_e32 v5, 1, v15
	v_lshlrev_b64 v[4:5], 2, v[5:6]
	global_load_dwordx2 v[18:19], v[18:19], off
	v_add_co_u32_e32 v20, vcc, s14, v4
	v_addc_co_u32_e32 v21, vcc, v14, v5, vcc
	global_load_dword v4, v[20:21], off
	v_subrev_u32_e32 v5, 24, v3
	s_waitcnt vmcnt(0)
	v_fmac_f32_e32 v10, v18, v4
	v_fmac_f32_e32 v11, v19, v4
	v_lshlrev_b64 v[18:19], 2, v[5:6]
	v_add_u32_e32 v5, 2, v15
	v_add_co_u32_e32 v18, vcc, s12, v18
	v_lshlrev_b64 v[4:5], 2, v[5:6]
	v_addc_co_u32_e32 v19, vcc, v13, v19, vcc
	v_add_co_u32_e32 v20, vcc, s14, v4
	v_addc_co_u32_e32 v21, vcc, v14, v5, vcc
	global_load_dwordx2 v[22:23], v[18:19], off
	global_load_dword v4, v[20:21], off
	v_subrev_u32_e32 v5, 22, v3
	v_lshlrev_b64 v[18:19], 2, v[5:6]
	v_add_u32_e32 v5, 3, v15
	v_add_co_u32_e32 v18, vcc, s12, v18
	v_addc_co_u32_e32 v19, vcc, v13, v19, vcc
	s_waitcnt vmcnt(0)
	v_fmac_f32_e32 v10, v22, v4
	v_fmac_f32_e32 v11, v23, v4
	v_lshlrev_b64 v[4:5], 2, v[5:6]
	v_add_co_u32_e32 v20, vcc, s14, v4
	v_addc_co_u32_e32 v21, vcc, v14, v5, vcc
	global_load_dwordx2 v[22:23], v[18:19], off
	global_load_dword v4, v[20:21], off
	v_subrev_u32_e32 v5, 20, v3
	v_lshlrev_b64 v[18:19], 2, v[5:6]
	v_add_u32_e32 v5, 4, v15
	v_add_co_u32_e32 v18, vcc, s12, v18
	v_addc_co_u32_e32 v19, vcc, v13, v19, vcc
	s_waitcnt vmcnt(0)
	v_fmac_f32_e32 v10, v22, v4
	v_fmac_f32_e32 v11, v23, v4
	v_lshlrev_b64 v[4:5], 2, v[5:6]
	;; [unrolled: 13-line block ×3, first 2 shown]
	v_add_co_u32_e32 v20, vcc, s14, v4
	v_addc_co_u32_e32 v21, vcc, v14, v5, vcc
	global_load_dwordx2 v[22:23], v[18:19], off
	global_load_dword v4, v[20:21], off
	v_add_u32_e32 v5, -16, v3
	v_lshlrev_b64 v[18:19], 2, v[5:6]
	v_add_u32_e32 v5, 6, v15
	v_add_co_u32_e32 v18, vcc, s12, v18
	v_addc_co_u32_e32 v19, vcc, v13, v19, vcc
	s_waitcnt vmcnt(0)
	v_fmac_f32_e32 v10, v22, v4
	v_fmac_f32_e32 v11, v23, v4
	v_lshlrev_b64 v[4:5], 2, v[5:6]
	v_add_co_u32_e32 v20, vcc, s14, v4
	v_addc_co_u32_e32 v21, vcc, v14, v5, vcc
	global_load_dwordx2 v[22:23], v[18:19], off
	global_load_dword v4, v[20:21], off
	v_add_u32_e32 v5, -14, v3
	v_lshlrev_b64 v[18:19], 2, v[5:6]
	v_add_u32_e32 v5, 7, v15
	v_add_co_u32_e32 v18, vcc, s12, v18
	v_addc_co_u32_e32 v19, vcc, v13, v19, vcc
	s_waitcnt vmcnt(0)
	v_fmac_f32_e32 v10, v22, v4
	v_fmac_f32_e32 v11, v23, v4
	v_lshlrev_b64 v[4:5], 2, v[5:6]
	;; [unrolled: 13-line block ×7, first 2 shown]
	v_add_co_u32_e32 v20, vcc, s14, v4
	v_addc_co_u32_e32 v21, vcc, v14, v5, vcc
	global_load_dwordx2 v[22:23], v[18:19], off
	global_load_dword v4, v[20:21], off
	v_add_u32_e32 v5, -2, v3
	v_lshlrev_b64 v[18:19], 2, v[5:6]
	v_add_u32_e32 v5, 13, v15
	v_lshlrev_b64 v[20:21], 2, v[5:6]
	v_add_co_u32_e32 v18, vcc, s12, v18
	v_add_u32_e32 v5, 14, v15
	v_addc_co_u32_e32 v19, vcc, v13, v19, vcc
	v_add_co_u32_e32 v20, vcc, s14, v20
	v_addc_co_u32_e32 v21, vcc, v14, v21, vcc
	v_add_u32_e32 v3, 0x78, v3
	s_waitcnt vmcnt(0)
	v_fmac_f32_e32 v10, v22, v4
	v_fmac_f32_e32 v11, v23, v4
	v_lshlrev_b64 v[4:5], 2, v[5:6]
	v_add_co_u32_e32 v4, vcc, s14, v4
	v_addc_co_u32_e32 v5, vcc, v14, v5, vcc
	global_load_dwordx2 v[22:23], v[16:17], off
	global_load_dwordx2 v[24:25], v[18:19], off
	global_load_dword v8, v[20:21], off
	global_load_dword v15, v[4:5], off
	v_cmp_ge_i32_e32 vcc, v7, v9
	s_or_b64 s[8:9], vcc, s[8:9]
	s_waitcnt vmcnt(1)
	v_fmac_f32_e32 v10, v24, v8
	v_fmac_f32_e32 v11, v25, v8
	s_waitcnt vmcnt(0)
	v_fmac_f32_e32 v10, v22, v15
	v_fmac_f32_e32 v11, v23, v15
	s_andn2_b64 exec, exec, s[8:9]
	s_cbranch_execnz .LBB65_9
; %bb.10:
	s_or_b64 exec, exec, s[8:9]
.LBB65_11:
	s_or_b64 exec, exec, s[6:7]
	s_cbranch_execz .LBB65_13
	s_branch .LBB65_18
.LBB65_12:
                                        ; implicit-def: $vgpr10
                                        ; implicit-def: $vgpr11
.LBB65_13:
	v_mov_b32_e32 v10, 0
	v_mov_b32_e32 v11, 0
	s_and_saveexec_b64 s[6:7], s[0:1]
	s_cbranch_execz .LBB65_17
; %bb.14:
	v_mad_u64_u32 v[4:5], s[0:1], v2, 30, 29
	v_mov_b32_e32 v6, 0
	s_mov_b64 s[0:1], 0
	v_mov_b32_e32 v7, s11
	v_mov_b32_e32 v8, s13
	;; [unrolled: 1-line block ×5, first 2 shown]
.LBB65_15:                              ; =>This Inner Loop Header: Depth=1
	v_ashrrev_i32_e32 v3, 31, v2
	v_lshlrev_b64 v[13:14], 2, v[2:3]
	v_subrev_u32_e32 v5, 29, v4
	v_add_co_u32_e32 v13, vcc, s10, v13
	v_addc_co_u32_e32 v14, vcc, v7, v14, vcc
	global_load_dword v3, v[13:14], off
	v_lshlrev_b64 v[16:17], 2, v[5:6]
	v_mov_b32_e32 v14, v6
	v_add_co_u32_e32 v16, vcc, s12, v16
	v_addc_co_u32_e32 v17, vcc, v8, v17, vcc
	global_load_dwordx2 v[16:17], v[16:17], off
	v_add_u32_e32 v15, -14, v4
	v_add_u32_e32 v2, 4, v2
	s_waitcnt vmcnt(1)
	v_subrev_u32_e32 v3, s18, v3
	v_mul_lo_u32 v13, v3, 15
	v_lshlrev_b64 v[18:19], 2, v[13:14]
	v_add_co_u32_e32 v18, vcc, s14, v18
	v_addc_co_u32_e32 v19, vcc, v12, v19, vcc
	global_load_dword v3, v[18:19], off
	s_waitcnt vmcnt(0)
	v_fmac_f32_e32 v10, v16, v3
	v_mov_b32_e32 v16, v6
	v_lshlrev_b64 v[14:15], 2, v[15:16]
	v_add_co_u32_e32 v14, vcc, s12, v14
	v_addc_co_u32_e32 v15, vcc, v8, v15, vcc
	global_load_dword v5, v[14:15], off
	s_waitcnt vmcnt(0)
	v_fmac_f32_e32 v11, v5, v3
	v_add_u32_e32 v5, 1, v13
	v_lshlrev_b64 v[14:15], 2, v[5:6]
	v_add_u32_e32 v5, -13, v4
	v_add_co_u32_e32 v14, vcc, s14, v14
	v_addc_co_u32_e32 v15, vcc, v12, v15, vcc
	global_load_dword v3, v[14:15], off
	v_lshlrev_b64 v[14:15], 2, v[5:6]
	v_add_co_u32_e32 v14, vcc, s12, v14
	v_addc_co_u32_e32 v15, vcc, v8, v15, vcc
	global_load_dword v5, v[14:15], off
	s_waitcnt vmcnt(1)
	v_fmac_f32_e32 v10, v17, v3
	s_waitcnt vmcnt(0)
	v_fmac_f32_e32 v11, v5, v3
	v_subrev_u32_e32 v5, 27, v4
	v_lshlrev_b64 v[14:15], 2, v[5:6]
	v_add_u32_e32 v5, 2, v13
	v_add_co_u32_e32 v14, vcc, s12, v14
	v_addc_co_u32_e32 v15, vcc, v8, v15, vcc
	global_load_dword v3, v[14:15], off
	v_lshlrev_b64 v[14:15], 2, v[5:6]
	v_add_u32_e32 v5, -12, v4
	v_add_co_u32_e32 v14, vcc, s14, v14
	v_addc_co_u32_e32 v15, vcc, v12, v15, vcc
	global_load_dword v16, v[14:15], off
	v_lshlrev_b64 v[14:15], 2, v[5:6]
	v_subrev_u32_e32 v5, 26, v4
	v_add_co_u32_e32 v14, vcc, s12, v14
	v_addc_co_u32_e32 v15, vcc, v8, v15, vcc
	s_waitcnt vmcnt(0)
	v_fmac_f32_e32 v10, v3, v16
	global_load_dword v3, v[14:15], off
	v_lshlrev_b64 v[14:15], 2, v[5:6]
	v_add_u32_e32 v5, 3, v13
	v_add_co_u32_e32 v14, vcc, s12, v14
	v_addc_co_u32_e32 v15, vcc, v8, v15, vcc
	s_waitcnt vmcnt(0)
	v_fmac_f32_e32 v11, v3, v16
	global_load_dword v3, v[14:15], off
	v_lshlrev_b64 v[14:15], 2, v[5:6]
	v_add_u32_e32 v5, -11, v4
	v_add_co_u32_e32 v14, vcc, s14, v14
	v_addc_co_u32_e32 v15, vcc, v12, v15, vcc
	global_load_dword v16, v[14:15], off
	v_lshlrev_b64 v[14:15], 2, v[5:6]
	v_subrev_u32_e32 v5, 25, v4
	v_add_co_u32_e32 v14, vcc, s12, v14
	v_addc_co_u32_e32 v15, vcc, v8, v15, vcc
	s_waitcnt vmcnt(0)
	v_fmac_f32_e32 v10, v3, v16
	global_load_dword v3, v[14:15], off
	v_lshlrev_b64 v[14:15], 2, v[5:6]
	v_add_u32_e32 v5, 4, v13
	v_add_co_u32_e32 v14, vcc, s12, v14
	v_addc_co_u32_e32 v15, vcc, v8, v15, vcc
	s_waitcnt vmcnt(0)
	v_fmac_f32_e32 v11, v3, v16
	;; [unrolled: 19-line block ×10, first 2 shown]
	global_load_dword v3, v[14:15], off
	v_lshlrev_b64 v[14:15], 2, v[5:6]
	v_add_u32_e32 v5, -2, v4
	v_add_co_u32_e32 v14, vcc, s14, v14
	v_addc_co_u32_e32 v15, vcc, v12, v15, vcc
	global_load_dword v16, v[14:15], off
	v_lshlrev_b64 v[14:15], 2, v[5:6]
	v_add_u32_e32 v5, -16, v4
	v_add_co_u32_e32 v14, vcc, s12, v14
	v_addc_co_u32_e32 v15, vcc, v8, v15, vcc
	s_waitcnt vmcnt(0)
	v_fmac_f32_e32 v10, v3, v16
	global_load_dword v3, v[14:15], off
	v_lshlrev_b64 v[14:15], 2, v[5:6]
	v_add_u32_e32 v5, 13, v13
	v_add_co_u32_e32 v14, vcc, s12, v14
	v_addc_co_u32_e32 v15, vcc, v8, v15, vcc
	s_waitcnt vmcnt(0)
	v_fmac_f32_e32 v11, v3, v16
	global_load_dword v3, v[14:15], off
	v_lshlrev_b64 v[14:15], 2, v[5:6]
	v_add_u32_e32 v5, -1, v4
	v_add_co_u32_e32 v14, vcc, s14, v14
	v_addc_co_u32_e32 v15, vcc, v12, v15, vcc
	global_load_dword v16, v[14:15], off
	v_lshlrev_b64 v[14:15], 2, v[5:6]
	v_add_u32_e32 v5, -15, v4
	v_add_co_u32_e32 v14, vcc, s12, v14
	v_addc_co_u32_e32 v15, vcc, v8, v15, vcc
	s_waitcnt vmcnt(0)
	v_fmac_f32_e32 v10, v3, v16
	global_load_dword v3, v[14:15], off
	v_lshlrev_b64 v[14:15], 2, v[5:6]
	v_add_u32_e32 v5, 14, v13
	v_add_co_u32_e32 v14, vcc, s12, v14
	v_addc_co_u32_e32 v15, vcc, v8, v15, vcc
	global_load_dword v15, v[14:15], off
	v_lshlrev_b64 v[13:14], 2, v[5:6]
	v_mov_b32_e32 v5, v6
	v_add_co_u32_e32 v13, vcc, s14, v13
	v_addc_co_u32_e32 v14, vcc, v12, v14, vcc
	s_waitcnt vmcnt(1)
	v_fmac_f32_e32 v11, v3, v16
	global_load_dword v3, v[13:14], off
	v_lshlrev_b64 v[13:14], 2, v[4:5]
	v_add_u32_e32 v4, 0x78, v4
	v_add_co_u32_e32 v13, vcc, s12, v13
	v_addc_co_u32_e32 v14, vcc, v8, v14, vcc
	global_load_dword v5, v[13:14], off
	v_cmp_ge_i32_e32 vcc, v2, v9
	s_or_b64 s[0:1], vcc, s[0:1]
	s_waitcnt vmcnt(1)
	v_fmac_f32_e32 v10, v15, v3
	s_waitcnt vmcnt(0)
	v_fmac_f32_e32 v11, v5, v3
	s_andn2_b64 exec, exec, s[0:1]
	s_cbranch_execnz .LBB65_15
; %bb.16:
	s_or_b64 exec, exec, s[0:1]
.LBB65_17:
	s_or_b64 exec, exec, s[6:7]
.LBB65_18:
	v_mov_b32_dpp v2, v10 row_shr:1 row_mask:0xf bank_mask:0xf
	v_mov_b32_dpp v4, v11 row_shr:1 row_mask:0xf bank_mask:0xf
	v_add_f32_e32 v2, v10, v2
	v_add_f32_e32 v4, v11, v4
	v_cmp_eq_u32_e32 vcc, 3, v0
	v_mov_b32_dpp v3, v2 row_shr:2 row_mask:0xf bank_mask:0xf
	v_mov_b32_dpp v5, v4 row_shr:2 row_mask:0xf bank_mask:0xf
	s_and_b64 exec, exec, vcc
	s_cbranch_execz .LBB65_22
; %bb.19:
	s_load_dwordx2 s[0:1], s[4:5], 0x38
	v_add_f32_e32 v0, v2, v3
	v_add_f32_e32 v3, v4, v5
	v_cmp_eq_f32_e64 s[4:5], s2, 0
	s_and_b64 vcc, exec, s[4:5]
	v_mul_f32_e32 v2, s16, v0
	v_mul_f32_e32 v3, s16, v3
	v_lshlrev_b32_e32 v0, 1, v1
	s_cbranch_vccz .LBB65_23
; %bb.20:
	v_ashrrev_i32_e32 v1, 31, v0
	v_lshlrev_b64 v[4:5], 2, v[0:1]
	s_waitcnt lgkmcnt(0)
	v_mov_b32_e32 v1, s1
	v_add_co_u32_e32 v4, vcc, s0, v4
	v_addc_co_u32_e32 v5, vcc, v1, v5, vcc
	global_store_dwordx2 v[4:5], v[2:3], off
	s_cbranch_execnz .LBB65_22
.LBB65_21:
	v_ashrrev_i32_e32 v1, 31, v0
	v_lshlrev_b64 v[0:1], 2, v[0:1]
	s_waitcnt lgkmcnt(0)
	v_mov_b32_e32 v4, s1
	v_add_co_u32_e32 v0, vcc, s0, v0
	v_addc_co_u32_e32 v1, vcc, v4, v1, vcc
	global_load_dwordx2 v[4:5], v[0:1], off
	s_waitcnt vmcnt(0)
	v_fmac_f32_e32 v2, s2, v4
	v_fmac_f32_e32 v3, s2, v5
	global_store_dwordx2 v[0:1], v[2:3], off
.LBB65_22:
	s_endpgm
.LBB65_23:
	s_branch .LBB65_21
	.section	.rodata,"a",@progbits
	.p2align	6, 0x0
	.amdhsa_kernel _ZN9rocsparseL19gebsrmvn_2xn_kernelILj128ELj15ELj4EfEEvi20rocsparse_direction_NS_24const_host_device_scalarIT2_EEPKiS6_PKS3_S8_S4_PS3_21rocsparse_index_base_b
		.amdhsa_group_segment_fixed_size 0
		.amdhsa_private_segment_fixed_size 0
		.amdhsa_kernarg_size 72
		.amdhsa_user_sgpr_count 6
		.amdhsa_user_sgpr_private_segment_buffer 1
		.amdhsa_user_sgpr_dispatch_ptr 0
		.amdhsa_user_sgpr_queue_ptr 0
		.amdhsa_user_sgpr_kernarg_segment_ptr 1
		.amdhsa_user_sgpr_dispatch_id 0
		.amdhsa_user_sgpr_flat_scratch_init 0
		.amdhsa_user_sgpr_private_segment_size 0
		.amdhsa_uses_dynamic_stack 0
		.amdhsa_system_sgpr_private_segment_wavefront_offset 0
		.amdhsa_system_sgpr_workgroup_id_x 1
		.amdhsa_system_sgpr_workgroup_id_y 0
		.amdhsa_system_sgpr_workgroup_id_z 0
		.amdhsa_system_sgpr_workgroup_info 0
		.amdhsa_system_vgpr_workitem_id 0
		.amdhsa_next_free_vgpr 26
		.amdhsa_next_free_sgpr 20
		.amdhsa_reserve_vcc 1
		.amdhsa_reserve_flat_scratch 0
		.amdhsa_float_round_mode_32 0
		.amdhsa_float_round_mode_16_64 0
		.amdhsa_float_denorm_mode_32 3
		.amdhsa_float_denorm_mode_16_64 3
		.amdhsa_dx10_clamp 1
		.amdhsa_ieee_mode 1
		.amdhsa_fp16_overflow 0
		.amdhsa_exception_fp_ieee_invalid_op 0
		.amdhsa_exception_fp_denorm_src 0
		.amdhsa_exception_fp_ieee_div_zero 0
		.amdhsa_exception_fp_ieee_overflow 0
		.amdhsa_exception_fp_ieee_underflow 0
		.amdhsa_exception_fp_ieee_inexact 0
		.amdhsa_exception_int_div_zero 0
	.end_amdhsa_kernel
	.section	.text._ZN9rocsparseL19gebsrmvn_2xn_kernelILj128ELj15ELj4EfEEvi20rocsparse_direction_NS_24const_host_device_scalarIT2_EEPKiS6_PKS3_S8_S4_PS3_21rocsparse_index_base_b,"axG",@progbits,_ZN9rocsparseL19gebsrmvn_2xn_kernelILj128ELj15ELj4EfEEvi20rocsparse_direction_NS_24const_host_device_scalarIT2_EEPKiS6_PKS3_S8_S4_PS3_21rocsparse_index_base_b,comdat
.Lfunc_end65:
	.size	_ZN9rocsparseL19gebsrmvn_2xn_kernelILj128ELj15ELj4EfEEvi20rocsparse_direction_NS_24const_host_device_scalarIT2_EEPKiS6_PKS3_S8_S4_PS3_21rocsparse_index_base_b, .Lfunc_end65-_ZN9rocsparseL19gebsrmvn_2xn_kernelILj128ELj15ELj4EfEEvi20rocsparse_direction_NS_24const_host_device_scalarIT2_EEPKiS6_PKS3_S8_S4_PS3_21rocsparse_index_base_b
                                        ; -- End function
	.set _ZN9rocsparseL19gebsrmvn_2xn_kernelILj128ELj15ELj4EfEEvi20rocsparse_direction_NS_24const_host_device_scalarIT2_EEPKiS6_PKS3_S8_S4_PS3_21rocsparse_index_base_b.num_vgpr, 26
	.set _ZN9rocsparseL19gebsrmvn_2xn_kernelILj128ELj15ELj4EfEEvi20rocsparse_direction_NS_24const_host_device_scalarIT2_EEPKiS6_PKS3_S8_S4_PS3_21rocsparse_index_base_b.num_agpr, 0
	.set _ZN9rocsparseL19gebsrmvn_2xn_kernelILj128ELj15ELj4EfEEvi20rocsparse_direction_NS_24const_host_device_scalarIT2_EEPKiS6_PKS3_S8_S4_PS3_21rocsparse_index_base_b.numbered_sgpr, 20
	.set _ZN9rocsparseL19gebsrmvn_2xn_kernelILj128ELj15ELj4EfEEvi20rocsparse_direction_NS_24const_host_device_scalarIT2_EEPKiS6_PKS3_S8_S4_PS3_21rocsparse_index_base_b.num_named_barrier, 0
	.set _ZN9rocsparseL19gebsrmvn_2xn_kernelILj128ELj15ELj4EfEEvi20rocsparse_direction_NS_24const_host_device_scalarIT2_EEPKiS6_PKS3_S8_S4_PS3_21rocsparse_index_base_b.private_seg_size, 0
	.set _ZN9rocsparseL19gebsrmvn_2xn_kernelILj128ELj15ELj4EfEEvi20rocsparse_direction_NS_24const_host_device_scalarIT2_EEPKiS6_PKS3_S8_S4_PS3_21rocsparse_index_base_b.uses_vcc, 1
	.set _ZN9rocsparseL19gebsrmvn_2xn_kernelILj128ELj15ELj4EfEEvi20rocsparse_direction_NS_24const_host_device_scalarIT2_EEPKiS6_PKS3_S8_S4_PS3_21rocsparse_index_base_b.uses_flat_scratch, 0
	.set _ZN9rocsparseL19gebsrmvn_2xn_kernelILj128ELj15ELj4EfEEvi20rocsparse_direction_NS_24const_host_device_scalarIT2_EEPKiS6_PKS3_S8_S4_PS3_21rocsparse_index_base_b.has_dyn_sized_stack, 0
	.set _ZN9rocsparseL19gebsrmvn_2xn_kernelILj128ELj15ELj4EfEEvi20rocsparse_direction_NS_24const_host_device_scalarIT2_EEPKiS6_PKS3_S8_S4_PS3_21rocsparse_index_base_b.has_recursion, 0
	.set _ZN9rocsparseL19gebsrmvn_2xn_kernelILj128ELj15ELj4EfEEvi20rocsparse_direction_NS_24const_host_device_scalarIT2_EEPKiS6_PKS3_S8_S4_PS3_21rocsparse_index_base_b.has_indirect_call, 0
	.section	.AMDGPU.csdata,"",@progbits
; Kernel info:
; codeLenInByte = 3192
; TotalNumSgprs: 24
; NumVgprs: 26
; ScratchSize: 0
; MemoryBound: 0
; FloatMode: 240
; IeeeMode: 1
; LDSByteSize: 0 bytes/workgroup (compile time only)
; SGPRBlocks: 2
; VGPRBlocks: 6
; NumSGPRsForWavesPerEU: 24
; NumVGPRsForWavesPerEU: 26
; Occupancy: 9
; WaveLimiterHint : 1
; COMPUTE_PGM_RSRC2:SCRATCH_EN: 0
; COMPUTE_PGM_RSRC2:USER_SGPR: 6
; COMPUTE_PGM_RSRC2:TRAP_HANDLER: 0
; COMPUTE_PGM_RSRC2:TGID_X_EN: 1
; COMPUTE_PGM_RSRC2:TGID_Y_EN: 0
; COMPUTE_PGM_RSRC2:TGID_Z_EN: 0
; COMPUTE_PGM_RSRC2:TIDIG_COMP_CNT: 0
	.section	.text._ZN9rocsparseL19gebsrmvn_2xn_kernelILj128ELj15ELj8EfEEvi20rocsparse_direction_NS_24const_host_device_scalarIT2_EEPKiS6_PKS3_S8_S4_PS3_21rocsparse_index_base_b,"axG",@progbits,_ZN9rocsparseL19gebsrmvn_2xn_kernelILj128ELj15ELj8EfEEvi20rocsparse_direction_NS_24const_host_device_scalarIT2_EEPKiS6_PKS3_S8_S4_PS3_21rocsparse_index_base_b,comdat
	.globl	_ZN9rocsparseL19gebsrmvn_2xn_kernelILj128ELj15ELj8EfEEvi20rocsparse_direction_NS_24const_host_device_scalarIT2_EEPKiS6_PKS3_S8_S4_PS3_21rocsparse_index_base_b ; -- Begin function _ZN9rocsparseL19gebsrmvn_2xn_kernelILj128ELj15ELj8EfEEvi20rocsparse_direction_NS_24const_host_device_scalarIT2_EEPKiS6_PKS3_S8_S4_PS3_21rocsparse_index_base_b
	.p2align	8
	.type	_ZN9rocsparseL19gebsrmvn_2xn_kernelILj128ELj15ELj8EfEEvi20rocsparse_direction_NS_24const_host_device_scalarIT2_EEPKiS6_PKS3_S8_S4_PS3_21rocsparse_index_base_b,@function
_ZN9rocsparseL19gebsrmvn_2xn_kernelILj128ELj15ELj8EfEEvi20rocsparse_direction_NS_24const_host_device_scalarIT2_EEPKiS6_PKS3_S8_S4_PS3_21rocsparse_index_base_b: ; @_ZN9rocsparseL19gebsrmvn_2xn_kernelILj128ELj15ELj8EfEEvi20rocsparse_direction_NS_24const_host_device_scalarIT2_EEPKiS6_PKS3_S8_S4_PS3_21rocsparse_index_base_b
; %bb.0:
	s_load_dwordx2 s[18:19], s[4:5], 0x40
	s_load_dwordx2 s[16:17], s[4:5], 0x8
	;; [unrolled: 1-line block ×3, first 2 shown]
	s_waitcnt lgkmcnt(0)
	s_bitcmp1_b32 s19, 0
	s_cselect_b64 s[8:9], -1, 0
	s_xor_b64 s[0:1], s[8:9], -1
	s_and_b64 vcc, exec, s[8:9]
	s_cbranch_vccnz .LBB66_2
; %bb.1:
	s_load_dword s16, s[16:17], 0x0
.LBB66_2:
	s_andn2_b64 vcc, exec, s[0:1]
	s_cbranch_vccnz .LBB66_4
; %bb.3:
	s_load_dword s2, s[2:3], 0x0
.LBB66_4:
	s_waitcnt lgkmcnt(0)
	v_cmp_eq_f32_e64 s[0:1], s16, 0
	v_cmp_eq_f32_e64 s[8:9], s2, 1.0
	s_and_b64 s[0:1], s[0:1], s[8:9]
	s_and_b64 vcc, exec, s[0:1]
	s_cbranch_vccnz .LBB66_22
; %bb.5:
	s_load_dwordx2 s[0:1], s[4:5], 0x0
	v_lshrrev_b32_e32 v1, 3, v0
	v_lshl_or_b32 v1, s6, 4, v1
	s_waitcnt lgkmcnt(0)
	v_cmp_gt_i32_e32 vcc, s0, v1
	s_and_saveexec_b64 s[6:7], vcc
	s_cbranch_execz .LBB66_22
; %bb.6:
	s_load_dwordx8 s[8:15], s[4:5], 0x10
	v_ashrrev_i32_e32 v2, 31, v1
	v_lshlrev_b64 v[2:3], 2, v[1:2]
	v_and_b32_e32 v0, 7, v0
	s_cmp_lg_u32 s1, 0
	s_waitcnt lgkmcnt(0)
	v_mov_b32_e32 v4, s9
	v_add_co_u32_e32 v2, vcc, s8, v2
	v_addc_co_u32_e32 v3, vcc, v4, v3, vcc
	global_load_dwordx2 v[2:3], v[2:3], off
	s_waitcnt vmcnt(0)
	v_subrev_u32_e32 v2, s18, v2
	v_subrev_u32_e32 v9, s18, v3
	v_add_u32_e32 v2, v2, v0
	v_cmp_lt_i32_e64 s[0:1], v2, v9
	s_cbranch_scc0 .LBB66_12
; %bb.7:
	v_mov_b32_e32 v10, 0
	v_mov_b32_e32 v11, 0
	s_and_saveexec_b64 s[6:7], s[0:1]
	s_cbranch_execz .LBB66_11
; %bb.8:
	v_mad_u64_u32 v[3:4], s[8:9], v2, 30, 28
	v_mov_b32_e32 v6, 0
	s_mov_b64 s[8:9], 0
	v_mov_b32_e32 v12, s11
	v_mov_b32_e32 v13, s13
	;; [unrolled: 1-line block ×6, first 2 shown]
.LBB66_9:                               ; =>This Inner Loop Header: Depth=1
	v_ashrrev_i32_e32 v8, 31, v7
	v_lshlrev_b64 v[17:18], 2, v[7:8]
	v_subrev_u32_e32 v5, 28, v3
	v_add_co_u32_e32 v17, vcc, s10, v17
	v_addc_co_u32_e32 v18, vcc, v12, v18, vcc
	global_load_dword v8, v[17:18], off
	v_lshlrev_b64 v[19:20], 2, v[5:6]
	v_mov_b32_e32 v16, v6
	v_add_co_u32_e32 v19, vcc, s12, v19
	v_addc_co_u32_e32 v20, vcc, v13, v20, vcc
	v_mov_b32_e32 v4, v6
	v_lshlrev_b64 v[21:22], 2, v[3:4]
	v_subrev_u32_e32 v5, 26, v3
	v_add_u32_e32 v7, 8, v7
	s_waitcnt vmcnt(0)
	v_subrev_u32_e32 v8, s18, v8
	v_mul_lo_u32 v15, v8, 15
	v_lshlrev_b64 v[16:17], 2, v[15:16]
	v_add_co_u32_e32 v16, vcc, s14, v16
	v_addc_co_u32_e32 v17, vcc, v14, v17, vcc
	global_load_dwordx2 v[23:24], v[19:20], off
	global_load_dword v4, v[16:17], off
	v_add_co_u32_e32 v16, vcc, s12, v21
	v_addc_co_u32_e32 v17, vcc, v13, v22, vcc
	s_waitcnt vmcnt(0)
	v_fmac_f32_e32 v10, v23, v4
	v_fmac_f32_e32 v11, v24, v4
	v_lshlrev_b64 v[4:5], 2, v[5:6]
	v_add_co_u32_e32 v18, vcc, s12, v4
	v_addc_co_u32_e32 v19, vcc, v13, v5, vcc
	v_add_u32_e32 v5, 1, v15
	v_lshlrev_b64 v[4:5], 2, v[5:6]
	global_load_dwordx2 v[18:19], v[18:19], off
	v_add_co_u32_e32 v20, vcc, s14, v4
	v_addc_co_u32_e32 v21, vcc, v14, v5, vcc
	global_load_dword v4, v[20:21], off
	v_subrev_u32_e32 v5, 24, v3
	s_waitcnt vmcnt(0)
	v_fmac_f32_e32 v10, v18, v4
	v_fmac_f32_e32 v11, v19, v4
	v_lshlrev_b64 v[18:19], 2, v[5:6]
	v_add_u32_e32 v5, 2, v15
	v_add_co_u32_e32 v18, vcc, s12, v18
	v_lshlrev_b64 v[4:5], 2, v[5:6]
	v_addc_co_u32_e32 v19, vcc, v13, v19, vcc
	v_add_co_u32_e32 v20, vcc, s14, v4
	v_addc_co_u32_e32 v21, vcc, v14, v5, vcc
	global_load_dwordx2 v[22:23], v[18:19], off
	global_load_dword v4, v[20:21], off
	v_subrev_u32_e32 v5, 22, v3
	v_lshlrev_b64 v[18:19], 2, v[5:6]
	v_add_u32_e32 v5, 3, v15
	v_add_co_u32_e32 v18, vcc, s12, v18
	v_addc_co_u32_e32 v19, vcc, v13, v19, vcc
	s_waitcnt vmcnt(0)
	v_fmac_f32_e32 v10, v22, v4
	v_fmac_f32_e32 v11, v23, v4
	v_lshlrev_b64 v[4:5], 2, v[5:6]
	v_add_co_u32_e32 v20, vcc, s14, v4
	v_addc_co_u32_e32 v21, vcc, v14, v5, vcc
	global_load_dwordx2 v[22:23], v[18:19], off
	global_load_dword v4, v[20:21], off
	v_subrev_u32_e32 v5, 20, v3
	v_lshlrev_b64 v[18:19], 2, v[5:6]
	v_add_u32_e32 v5, 4, v15
	v_add_co_u32_e32 v18, vcc, s12, v18
	v_addc_co_u32_e32 v19, vcc, v13, v19, vcc
	s_waitcnt vmcnt(0)
	v_fmac_f32_e32 v10, v22, v4
	v_fmac_f32_e32 v11, v23, v4
	v_lshlrev_b64 v[4:5], 2, v[5:6]
	;; [unrolled: 13-line block ×3, first 2 shown]
	v_add_co_u32_e32 v20, vcc, s14, v4
	v_addc_co_u32_e32 v21, vcc, v14, v5, vcc
	global_load_dwordx2 v[22:23], v[18:19], off
	global_load_dword v4, v[20:21], off
	v_add_u32_e32 v5, -16, v3
	v_lshlrev_b64 v[18:19], 2, v[5:6]
	v_add_u32_e32 v5, 6, v15
	v_add_co_u32_e32 v18, vcc, s12, v18
	v_addc_co_u32_e32 v19, vcc, v13, v19, vcc
	s_waitcnt vmcnt(0)
	v_fmac_f32_e32 v10, v22, v4
	v_fmac_f32_e32 v11, v23, v4
	v_lshlrev_b64 v[4:5], 2, v[5:6]
	v_add_co_u32_e32 v20, vcc, s14, v4
	v_addc_co_u32_e32 v21, vcc, v14, v5, vcc
	global_load_dwordx2 v[22:23], v[18:19], off
	global_load_dword v4, v[20:21], off
	v_add_u32_e32 v5, -14, v3
	v_lshlrev_b64 v[18:19], 2, v[5:6]
	v_add_u32_e32 v5, 7, v15
	v_add_co_u32_e32 v18, vcc, s12, v18
	v_addc_co_u32_e32 v19, vcc, v13, v19, vcc
	s_waitcnt vmcnt(0)
	v_fmac_f32_e32 v10, v22, v4
	v_fmac_f32_e32 v11, v23, v4
	v_lshlrev_b64 v[4:5], 2, v[5:6]
	;; [unrolled: 13-line block ×7, first 2 shown]
	v_add_co_u32_e32 v20, vcc, s14, v4
	v_addc_co_u32_e32 v21, vcc, v14, v5, vcc
	global_load_dwordx2 v[22:23], v[18:19], off
	global_load_dword v4, v[20:21], off
	v_add_u32_e32 v5, -2, v3
	v_lshlrev_b64 v[18:19], 2, v[5:6]
	v_add_u32_e32 v5, 13, v15
	v_lshlrev_b64 v[20:21], 2, v[5:6]
	v_add_co_u32_e32 v18, vcc, s12, v18
	v_add_u32_e32 v5, 14, v15
	v_addc_co_u32_e32 v19, vcc, v13, v19, vcc
	v_add_co_u32_e32 v20, vcc, s14, v20
	v_addc_co_u32_e32 v21, vcc, v14, v21, vcc
	v_add_u32_e32 v3, 0xf0, v3
	s_waitcnt vmcnt(0)
	v_fmac_f32_e32 v10, v22, v4
	v_fmac_f32_e32 v11, v23, v4
	v_lshlrev_b64 v[4:5], 2, v[5:6]
	v_add_co_u32_e32 v4, vcc, s14, v4
	v_addc_co_u32_e32 v5, vcc, v14, v5, vcc
	global_load_dwordx2 v[22:23], v[16:17], off
	global_load_dwordx2 v[24:25], v[18:19], off
	global_load_dword v8, v[20:21], off
	global_load_dword v15, v[4:5], off
	v_cmp_ge_i32_e32 vcc, v7, v9
	s_or_b64 s[8:9], vcc, s[8:9]
	s_waitcnt vmcnt(1)
	v_fmac_f32_e32 v10, v24, v8
	v_fmac_f32_e32 v11, v25, v8
	s_waitcnt vmcnt(0)
	v_fmac_f32_e32 v10, v22, v15
	v_fmac_f32_e32 v11, v23, v15
	s_andn2_b64 exec, exec, s[8:9]
	s_cbranch_execnz .LBB66_9
; %bb.10:
	s_or_b64 exec, exec, s[8:9]
.LBB66_11:
	s_or_b64 exec, exec, s[6:7]
	s_cbranch_execz .LBB66_13
	s_branch .LBB66_18
.LBB66_12:
                                        ; implicit-def: $vgpr10
                                        ; implicit-def: $vgpr11
.LBB66_13:
	v_mov_b32_e32 v10, 0
	v_mov_b32_e32 v11, 0
	s_and_saveexec_b64 s[6:7], s[0:1]
	s_cbranch_execz .LBB66_17
; %bb.14:
	v_mad_u64_u32 v[4:5], s[0:1], v2, 30, 29
	v_mov_b32_e32 v6, 0
	s_mov_b64 s[0:1], 0
	v_mov_b32_e32 v7, s11
	v_mov_b32_e32 v8, s13
	;; [unrolled: 1-line block ×5, first 2 shown]
.LBB66_15:                              ; =>This Inner Loop Header: Depth=1
	v_ashrrev_i32_e32 v3, 31, v2
	v_lshlrev_b64 v[13:14], 2, v[2:3]
	v_subrev_u32_e32 v5, 29, v4
	v_add_co_u32_e32 v13, vcc, s10, v13
	v_addc_co_u32_e32 v14, vcc, v7, v14, vcc
	global_load_dword v3, v[13:14], off
	v_lshlrev_b64 v[16:17], 2, v[5:6]
	v_mov_b32_e32 v14, v6
	v_add_co_u32_e32 v16, vcc, s12, v16
	v_addc_co_u32_e32 v17, vcc, v8, v17, vcc
	global_load_dwordx2 v[16:17], v[16:17], off
	v_add_u32_e32 v15, -14, v4
	v_add_u32_e32 v2, 8, v2
	s_waitcnt vmcnt(1)
	v_subrev_u32_e32 v3, s18, v3
	v_mul_lo_u32 v13, v3, 15
	v_lshlrev_b64 v[18:19], 2, v[13:14]
	v_add_co_u32_e32 v18, vcc, s14, v18
	v_addc_co_u32_e32 v19, vcc, v12, v19, vcc
	global_load_dword v3, v[18:19], off
	s_waitcnt vmcnt(0)
	v_fmac_f32_e32 v10, v16, v3
	v_mov_b32_e32 v16, v6
	v_lshlrev_b64 v[14:15], 2, v[15:16]
	v_add_co_u32_e32 v14, vcc, s12, v14
	v_addc_co_u32_e32 v15, vcc, v8, v15, vcc
	global_load_dword v5, v[14:15], off
	s_waitcnt vmcnt(0)
	v_fmac_f32_e32 v11, v5, v3
	v_add_u32_e32 v5, 1, v13
	v_lshlrev_b64 v[14:15], 2, v[5:6]
	v_add_u32_e32 v5, -13, v4
	v_add_co_u32_e32 v14, vcc, s14, v14
	v_addc_co_u32_e32 v15, vcc, v12, v15, vcc
	global_load_dword v3, v[14:15], off
	v_lshlrev_b64 v[14:15], 2, v[5:6]
	v_add_co_u32_e32 v14, vcc, s12, v14
	v_addc_co_u32_e32 v15, vcc, v8, v15, vcc
	global_load_dword v5, v[14:15], off
	s_waitcnt vmcnt(1)
	v_fmac_f32_e32 v10, v17, v3
	s_waitcnt vmcnt(0)
	v_fmac_f32_e32 v11, v5, v3
	v_subrev_u32_e32 v5, 27, v4
	v_lshlrev_b64 v[14:15], 2, v[5:6]
	v_add_u32_e32 v5, 2, v13
	v_add_co_u32_e32 v14, vcc, s12, v14
	v_addc_co_u32_e32 v15, vcc, v8, v15, vcc
	global_load_dword v3, v[14:15], off
	v_lshlrev_b64 v[14:15], 2, v[5:6]
	v_add_u32_e32 v5, -12, v4
	v_add_co_u32_e32 v14, vcc, s14, v14
	v_addc_co_u32_e32 v15, vcc, v12, v15, vcc
	global_load_dword v16, v[14:15], off
	v_lshlrev_b64 v[14:15], 2, v[5:6]
	v_subrev_u32_e32 v5, 26, v4
	v_add_co_u32_e32 v14, vcc, s12, v14
	v_addc_co_u32_e32 v15, vcc, v8, v15, vcc
	s_waitcnt vmcnt(0)
	v_fmac_f32_e32 v10, v3, v16
	global_load_dword v3, v[14:15], off
	v_lshlrev_b64 v[14:15], 2, v[5:6]
	v_add_u32_e32 v5, 3, v13
	v_add_co_u32_e32 v14, vcc, s12, v14
	v_addc_co_u32_e32 v15, vcc, v8, v15, vcc
	s_waitcnt vmcnt(0)
	v_fmac_f32_e32 v11, v3, v16
	global_load_dword v3, v[14:15], off
	v_lshlrev_b64 v[14:15], 2, v[5:6]
	v_add_u32_e32 v5, -11, v4
	v_add_co_u32_e32 v14, vcc, s14, v14
	v_addc_co_u32_e32 v15, vcc, v12, v15, vcc
	global_load_dword v16, v[14:15], off
	v_lshlrev_b64 v[14:15], 2, v[5:6]
	v_subrev_u32_e32 v5, 25, v4
	v_add_co_u32_e32 v14, vcc, s12, v14
	v_addc_co_u32_e32 v15, vcc, v8, v15, vcc
	s_waitcnt vmcnt(0)
	v_fmac_f32_e32 v10, v3, v16
	global_load_dword v3, v[14:15], off
	v_lshlrev_b64 v[14:15], 2, v[5:6]
	v_add_u32_e32 v5, 4, v13
	v_add_co_u32_e32 v14, vcc, s12, v14
	v_addc_co_u32_e32 v15, vcc, v8, v15, vcc
	s_waitcnt vmcnt(0)
	v_fmac_f32_e32 v11, v3, v16
	;; [unrolled: 19-line block ×10, first 2 shown]
	global_load_dword v3, v[14:15], off
	v_lshlrev_b64 v[14:15], 2, v[5:6]
	v_add_u32_e32 v5, -2, v4
	v_add_co_u32_e32 v14, vcc, s14, v14
	v_addc_co_u32_e32 v15, vcc, v12, v15, vcc
	global_load_dword v16, v[14:15], off
	v_lshlrev_b64 v[14:15], 2, v[5:6]
	v_add_u32_e32 v5, -16, v4
	v_add_co_u32_e32 v14, vcc, s12, v14
	v_addc_co_u32_e32 v15, vcc, v8, v15, vcc
	s_waitcnt vmcnt(0)
	v_fmac_f32_e32 v10, v3, v16
	global_load_dword v3, v[14:15], off
	v_lshlrev_b64 v[14:15], 2, v[5:6]
	v_add_u32_e32 v5, 13, v13
	v_add_co_u32_e32 v14, vcc, s12, v14
	v_addc_co_u32_e32 v15, vcc, v8, v15, vcc
	s_waitcnt vmcnt(0)
	v_fmac_f32_e32 v11, v3, v16
	global_load_dword v3, v[14:15], off
	v_lshlrev_b64 v[14:15], 2, v[5:6]
	v_add_u32_e32 v5, -1, v4
	v_add_co_u32_e32 v14, vcc, s14, v14
	v_addc_co_u32_e32 v15, vcc, v12, v15, vcc
	global_load_dword v16, v[14:15], off
	v_lshlrev_b64 v[14:15], 2, v[5:6]
	v_add_u32_e32 v5, -15, v4
	v_add_co_u32_e32 v14, vcc, s12, v14
	v_addc_co_u32_e32 v15, vcc, v8, v15, vcc
	s_waitcnt vmcnt(0)
	v_fmac_f32_e32 v10, v3, v16
	global_load_dword v3, v[14:15], off
	v_lshlrev_b64 v[14:15], 2, v[5:6]
	v_add_u32_e32 v5, 14, v13
	v_add_co_u32_e32 v14, vcc, s12, v14
	v_addc_co_u32_e32 v15, vcc, v8, v15, vcc
	global_load_dword v15, v[14:15], off
	v_lshlrev_b64 v[13:14], 2, v[5:6]
	v_mov_b32_e32 v5, v6
	v_add_co_u32_e32 v13, vcc, s14, v13
	v_addc_co_u32_e32 v14, vcc, v12, v14, vcc
	s_waitcnt vmcnt(1)
	v_fmac_f32_e32 v11, v3, v16
	global_load_dword v3, v[13:14], off
	v_lshlrev_b64 v[13:14], 2, v[4:5]
	v_add_u32_e32 v4, 0xf0, v4
	v_add_co_u32_e32 v13, vcc, s12, v13
	v_addc_co_u32_e32 v14, vcc, v8, v14, vcc
	global_load_dword v5, v[13:14], off
	v_cmp_ge_i32_e32 vcc, v2, v9
	s_or_b64 s[0:1], vcc, s[0:1]
	s_waitcnt vmcnt(1)
	v_fmac_f32_e32 v10, v15, v3
	s_waitcnt vmcnt(0)
	v_fmac_f32_e32 v11, v5, v3
	s_andn2_b64 exec, exec, s[0:1]
	s_cbranch_execnz .LBB66_15
; %bb.16:
	s_or_b64 exec, exec, s[0:1]
.LBB66_17:
	s_or_b64 exec, exec, s[6:7]
.LBB66_18:
	v_mov_b32_dpp v2, v10 row_shr:1 row_mask:0xf bank_mask:0xf
	v_mov_b32_dpp v4, v11 row_shr:1 row_mask:0xf bank_mask:0xf
	v_add_f32_e32 v2, v10, v2
	v_add_f32_e32 v4, v11, v4
	v_cmp_eq_u32_e32 vcc, 7, v0
	v_mov_b32_dpp v3, v2 row_shr:2 row_mask:0xf bank_mask:0xf
	v_mov_b32_dpp v5, v4 row_shr:2 row_mask:0xf bank_mask:0xf
	v_add_f32_e32 v2, v2, v3
	v_add_f32_e32 v4, v4, v5
	s_nop 0
	v_mov_b32_dpp v3, v2 row_shr:4 row_mask:0xf bank_mask:0xe
	v_mov_b32_dpp v5, v4 row_shr:4 row_mask:0xf bank_mask:0xe
	s_and_b64 exec, exec, vcc
	s_cbranch_execz .LBB66_22
; %bb.19:
	s_load_dwordx2 s[0:1], s[4:5], 0x38
	v_add_f32_e32 v0, v2, v3
	v_add_f32_e32 v3, v4, v5
	v_cmp_eq_f32_e64 s[4:5], s2, 0
	s_and_b64 vcc, exec, s[4:5]
	v_mul_f32_e32 v2, s16, v0
	v_mul_f32_e32 v3, s16, v3
	v_lshlrev_b32_e32 v0, 1, v1
	s_cbranch_vccz .LBB66_23
; %bb.20:
	v_ashrrev_i32_e32 v1, 31, v0
	v_lshlrev_b64 v[4:5], 2, v[0:1]
	s_waitcnt lgkmcnt(0)
	v_mov_b32_e32 v1, s1
	v_add_co_u32_e32 v4, vcc, s0, v4
	v_addc_co_u32_e32 v5, vcc, v1, v5, vcc
	global_store_dwordx2 v[4:5], v[2:3], off
	s_cbranch_execnz .LBB66_22
.LBB66_21:
	v_ashrrev_i32_e32 v1, 31, v0
	v_lshlrev_b64 v[0:1], 2, v[0:1]
	s_waitcnt lgkmcnt(0)
	v_mov_b32_e32 v4, s1
	v_add_co_u32_e32 v0, vcc, s0, v0
	v_addc_co_u32_e32 v1, vcc, v4, v1, vcc
	global_load_dwordx2 v[4:5], v[0:1], off
	s_waitcnt vmcnt(0)
	v_fmac_f32_e32 v2, s2, v4
	v_fmac_f32_e32 v3, s2, v5
	global_store_dwordx2 v[0:1], v[2:3], off
.LBB66_22:
	s_endpgm
.LBB66_23:
	s_branch .LBB66_21
	.section	.rodata,"a",@progbits
	.p2align	6, 0x0
	.amdhsa_kernel _ZN9rocsparseL19gebsrmvn_2xn_kernelILj128ELj15ELj8EfEEvi20rocsparse_direction_NS_24const_host_device_scalarIT2_EEPKiS6_PKS3_S8_S4_PS3_21rocsparse_index_base_b
		.amdhsa_group_segment_fixed_size 0
		.amdhsa_private_segment_fixed_size 0
		.amdhsa_kernarg_size 72
		.amdhsa_user_sgpr_count 6
		.amdhsa_user_sgpr_private_segment_buffer 1
		.amdhsa_user_sgpr_dispatch_ptr 0
		.amdhsa_user_sgpr_queue_ptr 0
		.amdhsa_user_sgpr_kernarg_segment_ptr 1
		.amdhsa_user_sgpr_dispatch_id 0
		.amdhsa_user_sgpr_flat_scratch_init 0
		.amdhsa_user_sgpr_private_segment_size 0
		.amdhsa_uses_dynamic_stack 0
		.amdhsa_system_sgpr_private_segment_wavefront_offset 0
		.amdhsa_system_sgpr_workgroup_id_x 1
		.amdhsa_system_sgpr_workgroup_id_y 0
		.amdhsa_system_sgpr_workgroup_id_z 0
		.amdhsa_system_sgpr_workgroup_info 0
		.amdhsa_system_vgpr_workitem_id 0
		.amdhsa_next_free_vgpr 26
		.amdhsa_next_free_sgpr 20
		.amdhsa_reserve_vcc 1
		.amdhsa_reserve_flat_scratch 0
		.amdhsa_float_round_mode_32 0
		.amdhsa_float_round_mode_16_64 0
		.amdhsa_float_denorm_mode_32 3
		.amdhsa_float_denorm_mode_16_64 3
		.amdhsa_dx10_clamp 1
		.amdhsa_ieee_mode 1
		.amdhsa_fp16_overflow 0
		.amdhsa_exception_fp_ieee_invalid_op 0
		.amdhsa_exception_fp_denorm_src 0
		.amdhsa_exception_fp_ieee_div_zero 0
		.amdhsa_exception_fp_ieee_overflow 0
		.amdhsa_exception_fp_ieee_underflow 0
		.amdhsa_exception_fp_ieee_inexact 0
		.amdhsa_exception_int_div_zero 0
	.end_amdhsa_kernel
	.section	.text._ZN9rocsparseL19gebsrmvn_2xn_kernelILj128ELj15ELj8EfEEvi20rocsparse_direction_NS_24const_host_device_scalarIT2_EEPKiS6_PKS3_S8_S4_PS3_21rocsparse_index_base_b,"axG",@progbits,_ZN9rocsparseL19gebsrmvn_2xn_kernelILj128ELj15ELj8EfEEvi20rocsparse_direction_NS_24const_host_device_scalarIT2_EEPKiS6_PKS3_S8_S4_PS3_21rocsparse_index_base_b,comdat
.Lfunc_end66:
	.size	_ZN9rocsparseL19gebsrmvn_2xn_kernelILj128ELj15ELj8EfEEvi20rocsparse_direction_NS_24const_host_device_scalarIT2_EEPKiS6_PKS3_S8_S4_PS3_21rocsparse_index_base_b, .Lfunc_end66-_ZN9rocsparseL19gebsrmvn_2xn_kernelILj128ELj15ELj8EfEEvi20rocsparse_direction_NS_24const_host_device_scalarIT2_EEPKiS6_PKS3_S8_S4_PS3_21rocsparse_index_base_b
                                        ; -- End function
	.set _ZN9rocsparseL19gebsrmvn_2xn_kernelILj128ELj15ELj8EfEEvi20rocsparse_direction_NS_24const_host_device_scalarIT2_EEPKiS6_PKS3_S8_S4_PS3_21rocsparse_index_base_b.num_vgpr, 26
	.set _ZN9rocsparseL19gebsrmvn_2xn_kernelILj128ELj15ELj8EfEEvi20rocsparse_direction_NS_24const_host_device_scalarIT2_EEPKiS6_PKS3_S8_S4_PS3_21rocsparse_index_base_b.num_agpr, 0
	.set _ZN9rocsparseL19gebsrmvn_2xn_kernelILj128ELj15ELj8EfEEvi20rocsparse_direction_NS_24const_host_device_scalarIT2_EEPKiS6_PKS3_S8_S4_PS3_21rocsparse_index_base_b.numbered_sgpr, 20
	.set _ZN9rocsparseL19gebsrmvn_2xn_kernelILj128ELj15ELj8EfEEvi20rocsparse_direction_NS_24const_host_device_scalarIT2_EEPKiS6_PKS3_S8_S4_PS3_21rocsparse_index_base_b.num_named_barrier, 0
	.set _ZN9rocsparseL19gebsrmvn_2xn_kernelILj128ELj15ELj8EfEEvi20rocsparse_direction_NS_24const_host_device_scalarIT2_EEPKiS6_PKS3_S8_S4_PS3_21rocsparse_index_base_b.private_seg_size, 0
	.set _ZN9rocsparseL19gebsrmvn_2xn_kernelILj128ELj15ELj8EfEEvi20rocsparse_direction_NS_24const_host_device_scalarIT2_EEPKiS6_PKS3_S8_S4_PS3_21rocsparse_index_base_b.uses_vcc, 1
	.set _ZN9rocsparseL19gebsrmvn_2xn_kernelILj128ELj15ELj8EfEEvi20rocsparse_direction_NS_24const_host_device_scalarIT2_EEPKiS6_PKS3_S8_S4_PS3_21rocsparse_index_base_b.uses_flat_scratch, 0
	.set _ZN9rocsparseL19gebsrmvn_2xn_kernelILj128ELj15ELj8EfEEvi20rocsparse_direction_NS_24const_host_device_scalarIT2_EEPKiS6_PKS3_S8_S4_PS3_21rocsparse_index_base_b.has_dyn_sized_stack, 0
	.set _ZN9rocsparseL19gebsrmvn_2xn_kernelILj128ELj15ELj8EfEEvi20rocsparse_direction_NS_24const_host_device_scalarIT2_EEPKiS6_PKS3_S8_S4_PS3_21rocsparse_index_base_b.has_recursion, 0
	.set _ZN9rocsparseL19gebsrmvn_2xn_kernelILj128ELj15ELj8EfEEvi20rocsparse_direction_NS_24const_host_device_scalarIT2_EEPKiS6_PKS3_S8_S4_PS3_21rocsparse_index_base_b.has_indirect_call, 0
	.section	.AMDGPU.csdata,"",@progbits
; Kernel info:
; codeLenInByte = 3220
; TotalNumSgprs: 24
; NumVgprs: 26
; ScratchSize: 0
; MemoryBound: 0
; FloatMode: 240
; IeeeMode: 1
; LDSByteSize: 0 bytes/workgroup (compile time only)
; SGPRBlocks: 2
; VGPRBlocks: 6
; NumSGPRsForWavesPerEU: 24
; NumVGPRsForWavesPerEU: 26
; Occupancy: 9
; WaveLimiterHint : 1
; COMPUTE_PGM_RSRC2:SCRATCH_EN: 0
; COMPUTE_PGM_RSRC2:USER_SGPR: 6
; COMPUTE_PGM_RSRC2:TRAP_HANDLER: 0
; COMPUTE_PGM_RSRC2:TGID_X_EN: 1
; COMPUTE_PGM_RSRC2:TGID_Y_EN: 0
; COMPUTE_PGM_RSRC2:TGID_Z_EN: 0
; COMPUTE_PGM_RSRC2:TIDIG_COMP_CNT: 0
	.section	.text._ZN9rocsparseL19gebsrmvn_2xn_kernelILj128ELj15ELj16EfEEvi20rocsparse_direction_NS_24const_host_device_scalarIT2_EEPKiS6_PKS3_S8_S4_PS3_21rocsparse_index_base_b,"axG",@progbits,_ZN9rocsparseL19gebsrmvn_2xn_kernelILj128ELj15ELj16EfEEvi20rocsparse_direction_NS_24const_host_device_scalarIT2_EEPKiS6_PKS3_S8_S4_PS3_21rocsparse_index_base_b,comdat
	.globl	_ZN9rocsparseL19gebsrmvn_2xn_kernelILj128ELj15ELj16EfEEvi20rocsparse_direction_NS_24const_host_device_scalarIT2_EEPKiS6_PKS3_S8_S4_PS3_21rocsparse_index_base_b ; -- Begin function _ZN9rocsparseL19gebsrmvn_2xn_kernelILj128ELj15ELj16EfEEvi20rocsparse_direction_NS_24const_host_device_scalarIT2_EEPKiS6_PKS3_S8_S4_PS3_21rocsparse_index_base_b
	.p2align	8
	.type	_ZN9rocsparseL19gebsrmvn_2xn_kernelILj128ELj15ELj16EfEEvi20rocsparse_direction_NS_24const_host_device_scalarIT2_EEPKiS6_PKS3_S8_S4_PS3_21rocsparse_index_base_b,@function
_ZN9rocsparseL19gebsrmvn_2xn_kernelILj128ELj15ELj16EfEEvi20rocsparse_direction_NS_24const_host_device_scalarIT2_EEPKiS6_PKS3_S8_S4_PS3_21rocsparse_index_base_b: ; @_ZN9rocsparseL19gebsrmvn_2xn_kernelILj128ELj15ELj16EfEEvi20rocsparse_direction_NS_24const_host_device_scalarIT2_EEPKiS6_PKS3_S8_S4_PS3_21rocsparse_index_base_b
; %bb.0:
	s_load_dwordx2 s[18:19], s[4:5], 0x40
	s_load_dwordx2 s[16:17], s[4:5], 0x8
	;; [unrolled: 1-line block ×3, first 2 shown]
	s_waitcnt lgkmcnt(0)
	s_bitcmp1_b32 s19, 0
	s_cselect_b64 s[8:9], -1, 0
	s_xor_b64 s[0:1], s[8:9], -1
	s_and_b64 vcc, exec, s[8:9]
	s_cbranch_vccnz .LBB67_2
; %bb.1:
	s_load_dword s16, s[16:17], 0x0
.LBB67_2:
	s_andn2_b64 vcc, exec, s[0:1]
	s_cbranch_vccnz .LBB67_4
; %bb.3:
	s_load_dword s2, s[2:3], 0x0
.LBB67_4:
	s_waitcnt lgkmcnt(0)
	v_cmp_eq_f32_e64 s[0:1], s16, 0
	v_cmp_eq_f32_e64 s[8:9], s2, 1.0
	s_and_b64 s[0:1], s[0:1], s[8:9]
	s_and_b64 vcc, exec, s[0:1]
	s_cbranch_vccnz .LBB67_22
; %bb.5:
	s_load_dwordx2 s[0:1], s[4:5], 0x0
	v_lshrrev_b32_e32 v1, 4, v0
	v_lshl_or_b32 v1, s6, 3, v1
	s_waitcnt lgkmcnt(0)
	v_cmp_gt_i32_e32 vcc, s0, v1
	s_and_saveexec_b64 s[6:7], vcc
	s_cbranch_execz .LBB67_22
; %bb.6:
	s_load_dwordx8 s[8:15], s[4:5], 0x10
	v_ashrrev_i32_e32 v2, 31, v1
	v_lshlrev_b64 v[2:3], 2, v[1:2]
	v_and_b32_e32 v0, 15, v0
	s_cmp_lg_u32 s1, 0
	s_waitcnt lgkmcnt(0)
	v_mov_b32_e32 v4, s9
	v_add_co_u32_e32 v2, vcc, s8, v2
	v_addc_co_u32_e32 v3, vcc, v4, v3, vcc
	global_load_dwordx2 v[2:3], v[2:3], off
	s_waitcnt vmcnt(0)
	v_subrev_u32_e32 v2, s18, v2
	v_subrev_u32_e32 v9, s18, v3
	v_add_u32_e32 v2, v2, v0
	v_cmp_lt_i32_e64 s[0:1], v2, v9
	s_cbranch_scc0 .LBB67_12
; %bb.7:
	v_mov_b32_e32 v10, 0
	v_mov_b32_e32 v11, 0
	s_and_saveexec_b64 s[6:7], s[0:1]
	s_cbranch_execz .LBB67_11
; %bb.8:
	v_mad_u64_u32 v[3:4], s[8:9], v2, 30, 28
	v_mov_b32_e32 v6, 0
	s_mov_b64 s[8:9], 0
	v_mov_b32_e32 v12, s11
	v_mov_b32_e32 v13, s13
	;; [unrolled: 1-line block ×6, first 2 shown]
.LBB67_9:                               ; =>This Inner Loop Header: Depth=1
	v_ashrrev_i32_e32 v8, 31, v7
	v_lshlrev_b64 v[17:18], 2, v[7:8]
	v_subrev_u32_e32 v5, 28, v3
	v_add_co_u32_e32 v17, vcc, s10, v17
	v_addc_co_u32_e32 v18, vcc, v12, v18, vcc
	global_load_dword v8, v[17:18], off
	v_lshlrev_b64 v[19:20], 2, v[5:6]
	v_mov_b32_e32 v16, v6
	v_add_co_u32_e32 v19, vcc, s12, v19
	v_addc_co_u32_e32 v20, vcc, v13, v20, vcc
	v_mov_b32_e32 v4, v6
	v_lshlrev_b64 v[21:22], 2, v[3:4]
	v_subrev_u32_e32 v5, 26, v3
	v_add_u32_e32 v7, 16, v7
	s_waitcnt vmcnt(0)
	v_subrev_u32_e32 v8, s18, v8
	v_mul_lo_u32 v15, v8, 15
	v_lshlrev_b64 v[16:17], 2, v[15:16]
	v_add_co_u32_e32 v16, vcc, s14, v16
	v_addc_co_u32_e32 v17, vcc, v14, v17, vcc
	global_load_dwordx2 v[23:24], v[19:20], off
	global_load_dword v4, v[16:17], off
	v_add_co_u32_e32 v16, vcc, s12, v21
	v_addc_co_u32_e32 v17, vcc, v13, v22, vcc
	s_waitcnt vmcnt(0)
	v_fmac_f32_e32 v10, v23, v4
	v_fmac_f32_e32 v11, v24, v4
	v_lshlrev_b64 v[4:5], 2, v[5:6]
	v_add_co_u32_e32 v18, vcc, s12, v4
	v_addc_co_u32_e32 v19, vcc, v13, v5, vcc
	v_add_u32_e32 v5, 1, v15
	v_lshlrev_b64 v[4:5], 2, v[5:6]
	global_load_dwordx2 v[18:19], v[18:19], off
	v_add_co_u32_e32 v20, vcc, s14, v4
	v_addc_co_u32_e32 v21, vcc, v14, v5, vcc
	global_load_dword v4, v[20:21], off
	v_subrev_u32_e32 v5, 24, v3
	s_waitcnt vmcnt(0)
	v_fmac_f32_e32 v10, v18, v4
	v_fmac_f32_e32 v11, v19, v4
	v_lshlrev_b64 v[18:19], 2, v[5:6]
	v_add_u32_e32 v5, 2, v15
	v_add_co_u32_e32 v18, vcc, s12, v18
	v_lshlrev_b64 v[4:5], 2, v[5:6]
	v_addc_co_u32_e32 v19, vcc, v13, v19, vcc
	v_add_co_u32_e32 v20, vcc, s14, v4
	v_addc_co_u32_e32 v21, vcc, v14, v5, vcc
	global_load_dwordx2 v[22:23], v[18:19], off
	global_load_dword v4, v[20:21], off
	v_subrev_u32_e32 v5, 22, v3
	v_lshlrev_b64 v[18:19], 2, v[5:6]
	v_add_u32_e32 v5, 3, v15
	v_add_co_u32_e32 v18, vcc, s12, v18
	v_addc_co_u32_e32 v19, vcc, v13, v19, vcc
	s_waitcnt vmcnt(0)
	v_fmac_f32_e32 v10, v22, v4
	v_fmac_f32_e32 v11, v23, v4
	v_lshlrev_b64 v[4:5], 2, v[5:6]
	v_add_co_u32_e32 v20, vcc, s14, v4
	v_addc_co_u32_e32 v21, vcc, v14, v5, vcc
	global_load_dwordx2 v[22:23], v[18:19], off
	global_load_dword v4, v[20:21], off
	v_subrev_u32_e32 v5, 20, v3
	v_lshlrev_b64 v[18:19], 2, v[5:6]
	v_add_u32_e32 v5, 4, v15
	v_add_co_u32_e32 v18, vcc, s12, v18
	v_addc_co_u32_e32 v19, vcc, v13, v19, vcc
	s_waitcnt vmcnt(0)
	v_fmac_f32_e32 v10, v22, v4
	v_fmac_f32_e32 v11, v23, v4
	v_lshlrev_b64 v[4:5], 2, v[5:6]
	;; [unrolled: 13-line block ×3, first 2 shown]
	v_add_co_u32_e32 v20, vcc, s14, v4
	v_addc_co_u32_e32 v21, vcc, v14, v5, vcc
	global_load_dwordx2 v[22:23], v[18:19], off
	global_load_dword v4, v[20:21], off
	v_add_u32_e32 v5, -16, v3
	v_lshlrev_b64 v[18:19], 2, v[5:6]
	v_add_u32_e32 v5, 6, v15
	v_add_co_u32_e32 v18, vcc, s12, v18
	v_addc_co_u32_e32 v19, vcc, v13, v19, vcc
	s_waitcnt vmcnt(0)
	v_fmac_f32_e32 v10, v22, v4
	v_fmac_f32_e32 v11, v23, v4
	v_lshlrev_b64 v[4:5], 2, v[5:6]
	v_add_co_u32_e32 v20, vcc, s14, v4
	v_addc_co_u32_e32 v21, vcc, v14, v5, vcc
	global_load_dwordx2 v[22:23], v[18:19], off
	global_load_dword v4, v[20:21], off
	v_add_u32_e32 v5, -14, v3
	v_lshlrev_b64 v[18:19], 2, v[5:6]
	v_add_u32_e32 v5, 7, v15
	v_add_co_u32_e32 v18, vcc, s12, v18
	v_addc_co_u32_e32 v19, vcc, v13, v19, vcc
	s_waitcnt vmcnt(0)
	v_fmac_f32_e32 v10, v22, v4
	v_fmac_f32_e32 v11, v23, v4
	v_lshlrev_b64 v[4:5], 2, v[5:6]
	;; [unrolled: 13-line block ×7, first 2 shown]
	v_add_co_u32_e32 v20, vcc, s14, v4
	v_addc_co_u32_e32 v21, vcc, v14, v5, vcc
	global_load_dwordx2 v[22:23], v[18:19], off
	global_load_dword v4, v[20:21], off
	v_add_u32_e32 v5, -2, v3
	v_lshlrev_b64 v[18:19], 2, v[5:6]
	v_add_u32_e32 v5, 13, v15
	v_lshlrev_b64 v[20:21], 2, v[5:6]
	v_add_co_u32_e32 v18, vcc, s12, v18
	v_add_u32_e32 v5, 14, v15
	v_addc_co_u32_e32 v19, vcc, v13, v19, vcc
	v_add_co_u32_e32 v20, vcc, s14, v20
	v_addc_co_u32_e32 v21, vcc, v14, v21, vcc
	v_add_u32_e32 v3, 0x1e0, v3
	s_waitcnt vmcnt(0)
	v_fmac_f32_e32 v10, v22, v4
	v_fmac_f32_e32 v11, v23, v4
	v_lshlrev_b64 v[4:5], 2, v[5:6]
	v_add_co_u32_e32 v4, vcc, s14, v4
	v_addc_co_u32_e32 v5, vcc, v14, v5, vcc
	global_load_dwordx2 v[22:23], v[16:17], off
	global_load_dwordx2 v[24:25], v[18:19], off
	global_load_dword v8, v[20:21], off
	global_load_dword v15, v[4:5], off
	v_cmp_ge_i32_e32 vcc, v7, v9
	s_or_b64 s[8:9], vcc, s[8:9]
	s_waitcnt vmcnt(1)
	v_fmac_f32_e32 v10, v24, v8
	v_fmac_f32_e32 v11, v25, v8
	s_waitcnt vmcnt(0)
	v_fmac_f32_e32 v10, v22, v15
	v_fmac_f32_e32 v11, v23, v15
	s_andn2_b64 exec, exec, s[8:9]
	s_cbranch_execnz .LBB67_9
; %bb.10:
	s_or_b64 exec, exec, s[8:9]
.LBB67_11:
	s_or_b64 exec, exec, s[6:7]
	s_cbranch_execz .LBB67_13
	s_branch .LBB67_18
.LBB67_12:
                                        ; implicit-def: $vgpr10
                                        ; implicit-def: $vgpr11
.LBB67_13:
	v_mov_b32_e32 v10, 0
	v_mov_b32_e32 v11, 0
	s_and_saveexec_b64 s[6:7], s[0:1]
	s_cbranch_execz .LBB67_17
; %bb.14:
	v_mad_u64_u32 v[4:5], s[0:1], v2, 30, 29
	v_mov_b32_e32 v6, 0
	s_mov_b64 s[0:1], 0
	v_mov_b32_e32 v7, s11
	v_mov_b32_e32 v8, s13
	;; [unrolled: 1-line block ×5, first 2 shown]
.LBB67_15:                              ; =>This Inner Loop Header: Depth=1
	v_ashrrev_i32_e32 v3, 31, v2
	v_lshlrev_b64 v[13:14], 2, v[2:3]
	v_subrev_u32_e32 v5, 29, v4
	v_add_co_u32_e32 v13, vcc, s10, v13
	v_addc_co_u32_e32 v14, vcc, v7, v14, vcc
	global_load_dword v3, v[13:14], off
	v_lshlrev_b64 v[16:17], 2, v[5:6]
	v_mov_b32_e32 v14, v6
	v_add_co_u32_e32 v16, vcc, s12, v16
	v_addc_co_u32_e32 v17, vcc, v8, v17, vcc
	global_load_dwordx2 v[16:17], v[16:17], off
	v_add_u32_e32 v15, -14, v4
	v_add_u32_e32 v2, 16, v2
	s_waitcnt vmcnt(1)
	v_subrev_u32_e32 v3, s18, v3
	v_mul_lo_u32 v13, v3, 15
	v_lshlrev_b64 v[18:19], 2, v[13:14]
	v_add_co_u32_e32 v18, vcc, s14, v18
	v_addc_co_u32_e32 v19, vcc, v12, v19, vcc
	global_load_dword v3, v[18:19], off
	s_waitcnt vmcnt(0)
	v_fmac_f32_e32 v10, v16, v3
	v_mov_b32_e32 v16, v6
	v_lshlrev_b64 v[14:15], 2, v[15:16]
	v_add_co_u32_e32 v14, vcc, s12, v14
	v_addc_co_u32_e32 v15, vcc, v8, v15, vcc
	global_load_dword v5, v[14:15], off
	s_waitcnt vmcnt(0)
	v_fmac_f32_e32 v11, v5, v3
	v_add_u32_e32 v5, 1, v13
	v_lshlrev_b64 v[14:15], 2, v[5:6]
	v_add_u32_e32 v5, -13, v4
	v_add_co_u32_e32 v14, vcc, s14, v14
	v_addc_co_u32_e32 v15, vcc, v12, v15, vcc
	global_load_dword v3, v[14:15], off
	v_lshlrev_b64 v[14:15], 2, v[5:6]
	v_add_co_u32_e32 v14, vcc, s12, v14
	v_addc_co_u32_e32 v15, vcc, v8, v15, vcc
	global_load_dword v5, v[14:15], off
	s_waitcnt vmcnt(1)
	v_fmac_f32_e32 v10, v17, v3
	s_waitcnt vmcnt(0)
	v_fmac_f32_e32 v11, v5, v3
	v_subrev_u32_e32 v5, 27, v4
	v_lshlrev_b64 v[14:15], 2, v[5:6]
	v_add_u32_e32 v5, 2, v13
	v_add_co_u32_e32 v14, vcc, s12, v14
	v_addc_co_u32_e32 v15, vcc, v8, v15, vcc
	global_load_dword v3, v[14:15], off
	v_lshlrev_b64 v[14:15], 2, v[5:6]
	v_add_u32_e32 v5, -12, v4
	v_add_co_u32_e32 v14, vcc, s14, v14
	v_addc_co_u32_e32 v15, vcc, v12, v15, vcc
	global_load_dword v16, v[14:15], off
	v_lshlrev_b64 v[14:15], 2, v[5:6]
	v_subrev_u32_e32 v5, 26, v4
	v_add_co_u32_e32 v14, vcc, s12, v14
	v_addc_co_u32_e32 v15, vcc, v8, v15, vcc
	s_waitcnt vmcnt(0)
	v_fmac_f32_e32 v10, v3, v16
	global_load_dword v3, v[14:15], off
	v_lshlrev_b64 v[14:15], 2, v[5:6]
	v_add_u32_e32 v5, 3, v13
	v_add_co_u32_e32 v14, vcc, s12, v14
	v_addc_co_u32_e32 v15, vcc, v8, v15, vcc
	s_waitcnt vmcnt(0)
	v_fmac_f32_e32 v11, v3, v16
	global_load_dword v3, v[14:15], off
	v_lshlrev_b64 v[14:15], 2, v[5:6]
	v_add_u32_e32 v5, -11, v4
	v_add_co_u32_e32 v14, vcc, s14, v14
	v_addc_co_u32_e32 v15, vcc, v12, v15, vcc
	global_load_dword v16, v[14:15], off
	v_lshlrev_b64 v[14:15], 2, v[5:6]
	v_subrev_u32_e32 v5, 25, v4
	v_add_co_u32_e32 v14, vcc, s12, v14
	v_addc_co_u32_e32 v15, vcc, v8, v15, vcc
	s_waitcnt vmcnt(0)
	v_fmac_f32_e32 v10, v3, v16
	global_load_dword v3, v[14:15], off
	v_lshlrev_b64 v[14:15], 2, v[5:6]
	v_add_u32_e32 v5, 4, v13
	v_add_co_u32_e32 v14, vcc, s12, v14
	v_addc_co_u32_e32 v15, vcc, v8, v15, vcc
	s_waitcnt vmcnt(0)
	v_fmac_f32_e32 v11, v3, v16
	;; [unrolled: 19-line block ×10, first 2 shown]
	global_load_dword v3, v[14:15], off
	v_lshlrev_b64 v[14:15], 2, v[5:6]
	v_add_u32_e32 v5, -2, v4
	v_add_co_u32_e32 v14, vcc, s14, v14
	v_addc_co_u32_e32 v15, vcc, v12, v15, vcc
	global_load_dword v16, v[14:15], off
	v_lshlrev_b64 v[14:15], 2, v[5:6]
	v_add_u32_e32 v5, -16, v4
	v_add_co_u32_e32 v14, vcc, s12, v14
	v_addc_co_u32_e32 v15, vcc, v8, v15, vcc
	s_waitcnt vmcnt(0)
	v_fmac_f32_e32 v10, v3, v16
	global_load_dword v3, v[14:15], off
	v_lshlrev_b64 v[14:15], 2, v[5:6]
	v_add_u32_e32 v5, 13, v13
	v_add_co_u32_e32 v14, vcc, s12, v14
	v_addc_co_u32_e32 v15, vcc, v8, v15, vcc
	s_waitcnt vmcnt(0)
	v_fmac_f32_e32 v11, v3, v16
	global_load_dword v3, v[14:15], off
	v_lshlrev_b64 v[14:15], 2, v[5:6]
	v_add_u32_e32 v5, -1, v4
	v_add_co_u32_e32 v14, vcc, s14, v14
	v_addc_co_u32_e32 v15, vcc, v12, v15, vcc
	global_load_dword v16, v[14:15], off
	v_lshlrev_b64 v[14:15], 2, v[5:6]
	v_add_u32_e32 v5, -15, v4
	v_add_co_u32_e32 v14, vcc, s12, v14
	v_addc_co_u32_e32 v15, vcc, v8, v15, vcc
	s_waitcnt vmcnt(0)
	v_fmac_f32_e32 v10, v3, v16
	global_load_dword v3, v[14:15], off
	v_lshlrev_b64 v[14:15], 2, v[5:6]
	v_add_u32_e32 v5, 14, v13
	v_add_co_u32_e32 v14, vcc, s12, v14
	v_addc_co_u32_e32 v15, vcc, v8, v15, vcc
	global_load_dword v15, v[14:15], off
	v_lshlrev_b64 v[13:14], 2, v[5:6]
	v_mov_b32_e32 v5, v6
	v_add_co_u32_e32 v13, vcc, s14, v13
	v_addc_co_u32_e32 v14, vcc, v12, v14, vcc
	s_waitcnt vmcnt(1)
	v_fmac_f32_e32 v11, v3, v16
	global_load_dword v3, v[13:14], off
	v_lshlrev_b64 v[13:14], 2, v[4:5]
	v_add_u32_e32 v4, 0x1e0, v4
	v_add_co_u32_e32 v13, vcc, s12, v13
	v_addc_co_u32_e32 v14, vcc, v8, v14, vcc
	global_load_dword v5, v[13:14], off
	v_cmp_ge_i32_e32 vcc, v2, v9
	s_or_b64 s[0:1], vcc, s[0:1]
	s_waitcnt vmcnt(1)
	v_fmac_f32_e32 v10, v15, v3
	s_waitcnt vmcnt(0)
	v_fmac_f32_e32 v11, v5, v3
	s_andn2_b64 exec, exec, s[0:1]
	s_cbranch_execnz .LBB67_15
; %bb.16:
	s_or_b64 exec, exec, s[0:1]
.LBB67_17:
	s_or_b64 exec, exec, s[6:7]
.LBB67_18:
	v_mov_b32_dpp v2, v10 row_shr:1 row_mask:0xf bank_mask:0xf
	v_mov_b32_dpp v4, v11 row_shr:1 row_mask:0xf bank_mask:0xf
	v_add_f32_e32 v2, v10, v2
	v_add_f32_e32 v4, v11, v4
	v_cmp_eq_u32_e32 vcc, 15, v0
	v_mov_b32_dpp v3, v2 row_shr:2 row_mask:0xf bank_mask:0xf
	v_mov_b32_dpp v5, v4 row_shr:2 row_mask:0xf bank_mask:0xf
	v_add_f32_e32 v2, v2, v3
	v_add_f32_e32 v4, v4, v5
	s_nop 0
	v_mov_b32_dpp v3, v2 row_shr:4 row_mask:0xf bank_mask:0xe
	v_mov_b32_dpp v5, v4 row_shr:4 row_mask:0xf bank_mask:0xe
	v_add_f32_e32 v2, v2, v3
	v_add_f32_e32 v4, v4, v5
	s_nop 0
	v_mov_b32_dpp v3, v2 row_shr:8 row_mask:0xf bank_mask:0xc
	v_mov_b32_dpp v5, v4 row_shr:8 row_mask:0xf bank_mask:0xc
	s_and_b64 exec, exec, vcc
	s_cbranch_execz .LBB67_22
; %bb.19:
	s_load_dwordx2 s[0:1], s[4:5], 0x38
	v_add_f32_e32 v0, v2, v3
	v_add_f32_e32 v3, v4, v5
	v_cmp_eq_f32_e64 s[4:5], s2, 0
	s_and_b64 vcc, exec, s[4:5]
	v_mul_f32_e32 v2, s16, v0
	v_mul_f32_e32 v3, s16, v3
	v_lshlrev_b32_e32 v0, 1, v1
	s_cbranch_vccz .LBB67_23
; %bb.20:
	v_ashrrev_i32_e32 v1, 31, v0
	v_lshlrev_b64 v[4:5], 2, v[0:1]
	s_waitcnt lgkmcnt(0)
	v_mov_b32_e32 v1, s1
	v_add_co_u32_e32 v4, vcc, s0, v4
	v_addc_co_u32_e32 v5, vcc, v1, v5, vcc
	global_store_dwordx2 v[4:5], v[2:3], off
	s_cbranch_execnz .LBB67_22
.LBB67_21:
	v_ashrrev_i32_e32 v1, 31, v0
	v_lshlrev_b64 v[0:1], 2, v[0:1]
	s_waitcnt lgkmcnt(0)
	v_mov_b32_e32 v4, s1
	v_add_co_u32_e32 v0, vcc, s0, v0
	v_addc_co_u32_e32 v1, vcc, v4, v1, vcc
	global_load_dwordx2 v[4:5], v[0:1], off
	s_waitcnt vmcnt(0)
	v_fmac_f32_e32 v2, s2, v4
	v_fmac_f32_e32 v3, s2, v5
	global_store_dwordx2 v[0:1], v[2:3], off
.LBB67_22:
	s_endpgm
.LBB67_23:
	s_branch .LBB67_21
	.section	.rodata,"a",@progbits
	.p2align	6, 0x0
	.amdhsa_kernel _ZN9rocsparseL19gebsrmvn_2xn_kernelILj128ELj15ELj16EfEEvi20rocsparse_direction_NS_24const_host_device_scalarIT2_EEPKiS6_PKS3_S8_S4_PS3_21rocsparse_index_base_b
		.amdhsa_group_segment_fixed_size 0
		.amdhsa_private_segment_fixed_size 0
		.amdhsa_kernarg_size 72
		.amdhsa_user_sgpr_count 6
		.amdhsa_user_sgpr_private_segment_buffer 1
		.amdhsa_user_sgpr_dispatch_ptr 0
		.amdhsa_user_sgpr_queue_ptr 0
		.amdhsa_user_sgpr_kernarg_segment_ptr 1
		.amdhsa_user_sgpr_dispatch_id 0
		.amdhsa_user_sgpr_flat_scratch_init 0
		.amdhsa_user_sgpr_private_segment_size 0
		.amdhsa_uses_dynamic_stack 0
		.amdhsa_system_sgpr_private_segment_wavefront_offset 0
		.amdhsa_system_sgpr_workgroup_id_x 1
		.amdhsa_system_sgpr_workgroup_id_y 0
		.amdhsa_system_sgpr_workgroup_id_z 0
		.amdhsa_system_sgpr_workgroup_info 0
		.amdhsa_system_vgpr_workitem_id 0
		.amdhsa_next_free_vgpr 26
		.amdhsa_next_free_sgpr 20
		.amdhsa_reserve_vcc 1
		.amdhsa_reserve_flat_scratch 0
		.amdhsa_float_round_mode_32 0
		.amdhsa_float_round_mode_16_64 0
		.amdhsa_float_denorm_mode_32 3
		.amdhsa_float_denorm_mode_16_64 3
		.amdhsa_dx10_clamp 1
		.amdhsa_ieee_mode 1
		.amdhsa_fp16_overflow 0
		.amdhsa_exception_fp_ieee_invalid_op 0
		.amdhsa_exception_fp_denorm_src 0
		.amdhsa_exception_fp_ieee_div_zero 0
		.amdhsa_exception_fp_ieee_overflow 0
		.amdhsa_exception_fp_ieee_underflow 0
		.amdhsa_exception_fp_ieee_inexact 0
		.amdhsa_exception_int_div_zero 0
	.end_amdhsa_kernel
	.section	.text._ZN9rocsparseL19gebsrmvn_2xn_kernelILj128ELj15ELj16EfEEvi20rocsparse_direction_NS_24const_host_device_scalarIT2_EEPKiS6_PKS3_S8_S4_PS3_21rocsparse_index_base_b,"axG",@progbits,_ZN9rocsparseL19gebsrmvn_2xn_kernelILj128ELj15ELj16EfEEvi20rocsparse_direction_NS_24const_host_device_scalarIT2_EEPKiS6_PKS3_S8_S4_PS3_21rocsparse_index_base_b,comdat
.Lfunc_end67:
	.size	_ZN9rocsparseL19gebsrmvn_2xn_kernelILj128ELj15ELj16EfEEvi20rocsparse_direction_NS_24const_host_device_scalarIT2_EEPKiS6_PKS3_S8_S4_PS3_21rocsparse_index_base_b, .Lfunc_end67-_ZN9rocsparseL19gebsrmvn_2xn_kernelILj128ELj15ELj16EfEEvi20rocsparse_direction_NS_24const_host_device_scalarIT2_EEPKiS6_PKS3_S8_S4_PS3_21rocsparse_index_base_b
                                        ; -- End function
	.set _ZN9rocsparseL19gebsrmvn_2xn_kernelILj128ELj15ELj16EfEEvi20rocsparse_direction_NS_24const_host_device_scalarIT2_EEPKiS6_PKS3_S8_S4_PS3_21rocsparse_index_base_b.num_vgpr, 26
	.set _ZN9rocsparseL19gebsrmvn_2xn_kernelILj128ELj15ELj16EfEEvi20rocsparse_direction_NS_24const_host_device_scalarIT2_EEPKiS6_PKS3_S8_S4_PS3_21rocsparse_index_base_b.num_agpr, 0
	.set _ZN9rocsparseL19gebsrmvn_2xn_kernelILj128ELj15ELj16EfEEvi20rocsparse_direction_NS_24const_host_device_scalarIT2_EEPKiS6_PKS3_S8_S4_PS3_21rocsparse_index_base_b.numbered_sgpr, 20
	.set _ZN9rocsparseL19gebsrmvn_2xn_kernelILj128ELj15ELj16EfEEvi20rocsparse_direction_NS_24const_host_device_scalarIT2_EEPKiS6_PKS3_S8_S4_PS3_21rocsparse_index_base_b.num_named_barrier, 0
	.set _ZN9rocsparseL19gebsrmvn_2xn_kernelILj128ELj15ELj16EfEEvi20rocsparse_direction_NS_24const_host_device_scalarIT2_EEPKiS6_PKS3_S8_S4_PS3_21rocsparse_index_base_b.private_seg_size, 0
	.set _ZN9rocsparseL19gebsrmvn_2xn_kernelILj128ELj15ELj16EfEEvi20rocsparse_direction_NS_24const_host_device_scalarIT2_EEPKiS6_PKS3_S8_S4_PS3_21rocsparse_index_base_b.uses_vcc, 1
	.set _ZN9rocsparseL19gebsrmvn_2xn_kernelILj128ELj15ELj16EfEEvi20rocsparse_direction_NS_24const_host_device_scalarIT2_EEPKiS6_PKS3_S8_S4_PS3_21rocsparse_index_base_b.uses_flat_scratch, 0
	.set _ZN9rocsparseL19gebsrmvn_2xn_kernelILj128ELj15ELj16EfEEvi20rocsparse_direction_NS_24const_host_device_scalarIT2_EEPKiS6_PKS3_S8_S4_PS3_21rocsparse_index_base_b.has_dyn_sized_stack, 0
	.set _ZN9rocsparseL19gebsrmvn_2xn_kernelILj128ELj15ELj16EfEEvi20rocsparse_direction_NS_24const_host_device_scalarIT2_EEPKiS6_PKS3_S8_S4_PS3_21rocsparse_index_base_b.has_recursion, 0
	.set _ZN9rocsparseL19gebsrmvn_2xn_kernelILj128ELj15ELj16EfEEvi20rocsparse_direction_NS_24const_host_device_scalarIT2_EEPKiS6_PKS3_S8_S4_PS3_21rocsparse_index_base_b.has_indirect_call, 0
	.section	.AMDGPU.csdata,"",@progbits
; Kernel info:
; codeLenInByte = 3248
; TotalNumSgprs: 24
; NumVgprs: 26
; ScratchSize: 0
; MemoryBound: 0
; FloatMode: 240
; IeeeMode: 1
; LDSByteSize: 0 bytes/workgroup (compile time only)
; SGPRBlocks: 2
; VGPRBlocks: 6
; NumSGPRsForWavesPerEU: 24
; NumVGPRsForWavesPerEU: 26
; Occupancy: 9
; WaveLimiterHint : 1
; COMPUTE_PGM_RSRC2:SCRATCH_EN: 0
; COMPUTE_PGM_RSRC2:USER_SGPR: 6
; COMPUTE_PGM_RSRC2:TRAP_HANDLER: 0
; COMPUTE_PGM_RSRC2:TGID_X_EN: 1
; COMPUTE_PGM_RSRC2:TGID_Y_EN: 0
; COMPUTE_PGM_RSRC2:TGID_Z_EN: 0
; COMPUTE_PGM_RSRC2:TIDIG_COMP_CNT: 0
	.section	.text._ZN9rocsparseL19gebsrmvn_2xn_kernelILj128ELj15ELj32EfEEvi20rocsparse_direction_NS_24const_host_device_scalarIT2_EEPKiS6_PKS3_S8_S4_PS3_21rocsparse_index_base_b,"axG",@progbits,_ZN9rocsparseL19gebsrmvn_2xn_kernelILj128ELj15ELj32EfEEvi20rocsparse_direction_NS_24const_host_device_scalarIT2_EEPKiS6_PKS3_S8_S4_PS3_21rocsparse_index_base_b,comdat
	.globl	_ZN9rocsparseL19gebsrmvn_2xn_kernelILj128ELj15ELj32EfEEvi20rocsparse_direction_NS_24const_host_device_scalarIT2_EEPKiS6_PKS3_S8_S4_PS3_21rocsparse_index_base_b ; -- Begin function _ZN9rocsparseL19gebsrmvn_2xn_kernelILj128ELj15ELj32EfEEvi20rocsparse_direction_NS_24const_host_device_scalarIT2_EEPKiS6_PKS3_S8_S4_PS3_21rocsparse_index_base_b
	.p2align	8
	.type	_ZN9rocsparseL19gebsrmvn_2xn_kernelILj128ELj15ELj32EfEEvi20rocsparse_direction_NS_24const_host_device_scalarIT2_EEPKiS6_PKS3_S8_S4_PS3_21rocsparse_index_base_b,@function
_ZN9rocsparseL19gebsrmvn_2xn_kernelILj128ELj15ELj32EfEEvi20rocsparse_direction_NS_24const_host_device_scalarIT2_EEPKiS6_PKS3_S8_S4_PS3_21rocsparse_index_base_b: ; @_ZN9rocsparseL19gebsrmvn_2xn_kernelILj128ELj15ELj32EfEEvi20rocsparse_direction_NS_24const_host_device_scalarIT2_EEPKiS6_PKS3_S8_S4_PS3_21rocsparse_index_base_b
; %bb.0:
	s_load_dwordx2 s[18:19], s[4:5], 0x40
	s_load_dwordx2 s[16:17], s[4:5], 0x8
	;; [unrolled: 1-line block ×3, first 2 shown]
	s_waitcnt lgkmcnt(0)
	s_bitcmp1_b32 s19, 0
	s_cselect_b64 s[8:9], -1, 0
	s_xor_b64 s[0:1], s[8:9], -1
	s_and_b64 vcc, exec, s[8:9]
	s_cbranch_vccnz .LBB68_2
; %bb.1:
	s_load_dword s16, s[16:17], 0x0
.LBB68_2:
	s_andn2_b64 vcc, exec, s[0:1]
	s_cbranch_vccnz .LBB68_4
; %bb.3:
	s_load_dword s2, s[2:3], 0x0
.LBB68_4:
	s_waitcnt lgkmcnt(0)
	v_cmp_eq_f32_e64 s[0:1], s16, 0
	v_cmp_eq_f32_e64 s[8:9], s2, 1.0
	s_and_b64 s[0:1], s[0:1], s[8:9]
	s_and_b64 vcc, exec, s[0:1]
	s_cbranch_vccnz .LBB68_22
; %bb.5:
	s_load_dwordx2 s[0:1], s[4:5], 0x0
	v_lshrrev_b32_e32 v1, 5, v0
	v_lshl_or_b32 v1, s6, 2, v1
	s_waitcnt lgkmcnt(0)
	v_cmp_gt_i32_e32 vcc, s0, v1
	s_and_saveexec_b64 s[6:7], vcc
	s_cbranch_execz .LBB68_22
; %bb.6:
	s_load_dwordx8 s[8:15], s[4:5], 0x10
	v_ashrrev_i32_e32 v2, 31, v1
	v_lshlrev_b64 v[2:3], 2, v[1:2]
	v_and_b32_e32 v0, 31, v0
	s_cmp_lg_u32 s1, 0
	s_waitcnt lgkmcnt(0)
	v_mov_b32_e32 v4, s9
	v_add_co_u32_e32 v2, vcc, s8, v2
	v_addc_co_u32_e32 v3, vcc, v4, v3, vcc
	global_load_dwordx2 v[2:3], v[2:3], off
	s_waitcnt vmcnt(0)
	v_subrev_u32_e32 v2, s18, v2
	v_subrev_u32_e32 v9, s18, v3
	v_add_u32_e32 v2, v2, v0
	v_cmp_lt_i32_e64 s[0:1], v2, v9
	s_cbranch_scc0 .LBB68_12
; %bb.7:
	v_mov_b32_e32 v11, 0
	v_mov_b32_e32 v10, 0
	s_and_saveexec_b64 s[6:7], s[0:1]
	s_cbranch_execz .LBB68_11
; %bb.8:
	v_mad_u64_u32 v[3:4], s[8:9], v2, 30, 28
	v_mov_b32_e32 v6, 0
	s_mov_b64 s[8:9], 0
	v_mov_b32_e32 v12, s11
	v_mov_b32_e32 v13, s13
	;; [unrolled: 1-line block ×6, first 2 shown]
.LBB68_9:                               ; =>This Inner Loop Header: Depth=1
	v_ashrrev_i32_e32 v8, 31, v7
	v_lshlrev_b64 v[17:18], 2, v[7:8]
	v_subrev_u32_e32 v5, 28, v3
	v_add_co_u32_e32 v17, vcc, s10, v17
	v_addc_co_u32_e32 v18, vcc, v12, v18, vcc
	global_load_dword v8, v[17:18], off
	v_lshlrev_b64 v[19:20], 2, v[5:6]
	v_mov_b32_e32 v16, v6
	v_add_co_u32_e32 v19, vcc, s12, v19
	v_addc_co_u32_e32 v20, vcc, v13, v20, vcc
	v_mov_b32_e32 v4, v6
	v_lshlrev_b64 v[21:22], 2, v[3:4]
	v_subrev_u32_e32 v5, 26, v3
	v_add_u32_e32 v7, 32, v7
	s_waitcnt vmcnt(0)
	v_subrev_u32_e32 v8, s18, v8
	v_mul_lo_u32 v15, v8, 15
	v_lshlrev_b64 v[16:17], 2, v[15:16]
	v_add_co_u32_e32 v16, vcc, s14, v16
	v_addc_co_u32_e32 v17, vcc, v14, v17, vcc
	global_load_dwordx2 v[23:24], v[19:20], off
	global_load_dword v4, v[16:17], off
	v_add_co_u32_e32 v16, vcc, s12, v21
	v_addc_co_u32_e32 v17, vcc, v13, v22, vcc
	s_waitcnt vmcnt(0)
	v_fmac_f32_e32 v11, v23, v4
	v_fmac_f32_e32 v10, v24, v4
	v_lshlrev_b64 v[4:5], 2, v[5:6]
	v_add_co_u32_e32 v18, vcc, s12, v4
	v_addc_co_u32_e32 v19, vcc, v13, v5, vcc
	v_add_u32_e32 v5, 1, v15
	v_lshlrev_b64 v[4:5], 2, v[5:6]
	global_load_dwordx2 v[18:19], v[18:19], off
	v_add_co_u32_e32 v20, vcc, s14, v4
	v_addc_co_u32_e32 v21, vcc, v14, v5, vcc
	global_load_dword v4, v[20:21], off
	v_subrev_u32_e32 v5, 24, v3
	s_waitcnt vmcnt(0)
	v_fmac_f32_e32 v11, v18, v4
	v_fmac_f32_e32 v10, v19, v4
	v_lshlrev_b64 v[18:19], 2, v[5:6]
	v_add_u32_e32 v5, 2, v15
	v_add_co_u32_e32 v18, vcc, s12, v18
	v_lshlrev_b64 v[4:5], 2, v[5:6]
	v_addc_co_u32_e32 v19, vcc, v13, v19, vcc
	v_add_co_u32_e32 v20, vcc, s14, v4
	v_addc_co_u32_e32 v21, vcc, v14, v5, vcc
	global_load_dwordx2 v[22:23], v[18:19], off
	global_load_dword v4, v[20:21], off
	v_subrev_u32_e32 v5, 22, v3
	v_lshlrev_b64 v[18:19], 2, v[5:6]
	v_add_u32_e32 v5, 3, v15
	v_add_co_u32_e32 v18, vcc, s12, v18
	v_addc_co_u32_e32 v19, vcc, v13, v19, vcc
	s_waitcnt vmcnt(0)
	v_fmac_f32_e32 v11, v22, v4
	v_fmac_f32_e32 v10, v23, v4
	v_lshlrev_b64 v[4:5], 2, v[5:6]
	v_add_co_u32_e32 v20, vcc, s14, v4
	v_addc_co_u32_e32 v21, vcc, v14, v5, vcc
	global_load_dwordx2 v[22:23], v[18:19], off
	global_load_dword v4, v[20:21], off
	v_subrev_u32_e32 v5, 20, v3
	v_lshlrev_b64 v[18:19], 2, v[5:6]
	v_add_u32_e32 v5, 4, v15
	v_add_co_u32_e32 v18, vcc, s12, v18
	v_addc_co_u32_e32 v19, vcc, v13, v19, vcc
	s_waitcnt vmcnt(0)
	v_fmac_f32_e32 v11, v22, v4
	v_fmac_f32_e32 v10, v23, v4
	v_lshlrev_b64 v[4:5], 2, v[5:6]
	;; [unrolled: 13-line block ×3, first 2 shown]
	v_add_co_u32_e32 v20, vcc, s14, v4
	v_addc_co_u32_e32 v21, vcc, v14, v5, vcc
	global_load_dwordx2 v[22:23], v[18:19], off
	global_load_dword v4, v[20:21], off
	v_add_u32_e32 v5, -16, v3
	v_lshlrev_b64 v[18:19], 2, v[5:6]
	v_add_u32_e32 v5, 6, v15
	v_add_co_u32_e32 v18, vcc, s12, v18
	v_addc_co_u32_e32 v19, vcc, v13, v19, vcc
	s_waitcnt vmcnt(0)
	v_fmac_f32_e32 v11, v22, v4
	v_fmac_f32_e32 v10, v23, v4
	v_lshlrev_b64 v[4:5], 2, v[5:6]
	v_add_co_u32_e32 v20, vcc, s14, v4
	v_addc_co_u32_e32 v21, vcc, v14, v5, vcc
	global_load_dwordx2 v[22:23], v[18:19], off
	global_load_dword v4, v[20:21], off
	v_add_u32_e32 v5, -14, v3
	v_lshlrev_b64 v[18:19], 2, v[5:6]
	v_add_u32_e32 v5, 7, v15
	v_add_co_u32_e32 v18, vcc, s12, v18
	v_addc_co_u32_e32 v19, vcc, v13, v19, vcc
	s_waitcnt vmcnt(0)
	v_fmac_f32_e32 v11, v22, v4
	v_fmac_f32_e32 v10, v23, v4
	v_lshlrev_b64 v[4:5], 2, v[5:6]
	;; [unrolled: 13-line block ×7, first 2 shown]
	v_add_co_u32_e32 v20, vcc, s14, v4
	v_addc_co_u32_e32 v21, vcc, v14, v5, vcc
	global_load_dwordx2 v[22:23], v[18:19], off
	global_load_dword v4, v[20:21], off
	v_add_u32_e32 v5, -2, v3
	v_lshlrev_b64 v[18:19], 2, v[5:6]
	v_add_u32_e32 v5, 13, v15
	v_lshlrev_b64 v[20:21], 2, v[5:6]
	v_add_co_u32_e32 v18, vcc, s12, v18
	v_add_u32_e32 v5, 14, v15
	v_addc_co_u32_e32 v19, vcc, v13, v19, vcc
	v_add_co_u32_e32 v20, vcc, s14, v20
	v_addc_co_u32_e32 v21, vcc, v14, v21, vcc
	v_add_u32_e32 v3, 0x3c0, v3
	s_waitcnt vmcnt(0)
	v_fmac_f32_e32 v11, v22, v4
	v_fmac_f32_e32 v10, v23, v4
	v_lshlrev_b64 v[4:5], 2, v[5:6]
	v_add_co_u32_e32 v4, vcc, s14, v4
	v_addc_co_u32_e32 v5, vcc, v14, v5, vcc
	global_load_dwordx2 v[22:23], v[16:17], off
	global_load_dwordx2 v[24:25], v[18:19], off
	global_load_dword v8, v[20:21], off
	global_load_dword v15, v[4:5], off
	v_cmp_ge_i32_e32 vcc, v7, v9
	s_or_b64 s[8:9], vcc, s[8:9]
	s_waitcnt vmcnt(1)
	v_fmac_f32_e32 v11, v24, v8
	v_fmac_f32_e32 v10, v25, v8
	s_waitcnt vmcnt(0)
	v_fmac_f32_e32 v11, v22, v15
	v_fmac_f32_e32 v10, v23, v15
	s_andn2_b64 exec, exec, s[8:9]
	s_cbranch_execnz .LBB68_9
; %bb.10:
	s_or_b64 exec, exec, s[8:9]
.LBB68_11:
	s_or_b64 exec, exec, s[6:7]
	s_cbranch_execz .LBB68_13
	s_branch .LBB68_18
.LBB68_12:
                                        ; implicit-def: $vgpr11
                                        ; implicit-def: $vgpr10
.LBB68_13:
	v_mov_b32_e32 v11, 0
	v_mov_b32_e32 v10, 0
	s_and_saveexec_b64 s[6:7], s[0:1]
	s_cbranch_execz .LBB68_17
; %bb.14:
	v_mad_u64_u32 v[4:5], s[0:1], v2, 30, 29
	v_mov_b32_e32 v6, 0
	s_mov_b64 s[0:1], 0
	v_mov_b32_e32 v7, s11
	v_mov_b32_e32 v8, s13
	;; [unrolled: 1-line block ×5, first 2 shown]
.LBB68_15:                              ; =>This Inner Loop Header: Depth=1
	v_ashrrev_i32_e32 v3, 31, v2
	v_lshlrev_b64 v[13:14], 2, v[2:3]
	v_subrev_u32_e32 v5, 29, v4
	v_add_co_u32_e32 v13, vcc, s10, v13
	v_addc_co_u32_e32 v14, vcc, v7, v14, vcc
	global_load_dword v3, v[13:14], off
	v_lshlrev_b64 v[16:17], 2, v[5:6]
	v_mov_b32_e32 v14, v6
	v_add_co_u32_e32 v16, vcc, s12, v16
	v_addc_co_u32_e32 v17, vcc, v8, v17, vcc
	global_load_dwordx2 v[16:17], v[16:17], off
	v_add_u32_e32 v15, -14, v4
	v_add_u32_e32 v2, 32, v2
	s_waitcnt vmcnt(1)
	v_subrev_u32_e32 v3, s18, v3
	v_mul_lo_u32 v13, v3, 15
	v_lshlrev_b64 v[18:19], 2, v[13:14]
	v_add_co_u32_e32 v18, vcc, s14, v18
	v_addc_co_u32_e32 v19, vcc, v12, v19, vcc
	global_load_dword v3, v[18:19], off
	s_waitcnt vmcnt(0)
	v_fmac_f32_e32 v11, v16, v3
	v_mov_b32_e32 v16, v6
	v_lshlrev_b64 v[14:15], 2, v[15:16]
	v_add_co_u32_e32 v14, vcc, s12, v14
	v_addc_co_u32_e32 v15, vcc, v8, v15, vcc
	global_load_dword v5, v[14:15], off
	s_waitcnt vmcnt(0)
	v_fmac_f32_e32 v10, v5, v3
	v_add_u32_e32 v5, 1, v13
	v_lshlrev_b64 v[14:15], 2, v[5:6]
	v_add_u32_e32 v5, -13, v4
	v_add_co_u32_e32 v14, vcc, s14, v14
	v_addc_co_u32_e32 v15, vcc, v12, v15, vcc
	global_load_dword v3, v[14:15], off
	v_lshlrev_b64 v[14:15], 2, v[5:6]
	v_add_co_u32_e32 v14, vcc, s12, v14
	v_addc_co_u32_e32 v15, vcc, v8, v15, vcc
	global_load_dword v5, v[14:15], off
	s_waitcnt vmcnt(1)
	v_fmac_f32_e32 v11, v17, v3
	s_waitcnt vmcnt(0)
	v_fmac_f32_e32 v10, v5, v3
	v_subrev_u32_e32 v5, 27, v4
	v_lshlrev_b64 v[14:15], 2, v[5:6]
	v_add_u32_e32 v5, 2, v13
	v_add_co_u32_e32 v14, vcc, s12, v14
	v_addc_co_u32_e32 v15, vcc, v8, v15, vcc
	global_load_dword v3, v[14:15], off
	v_lshlrev_b64 v[14:15], 2, v[5:6]
	v_add_u32_e32 v5, -12, v4
	v_add_co_u32_e32 v14, vcc, s14, v14
	v_addc_co_u32_e32 v15, vcc, v12, v15, vcc
	global_load_dword v16, v[14:15], off
	v_lshlrev_b64 v[14:15], 2, v[5:6]
	v_subrev_u32_e32 v5, 26, v4
	v_add_co_u32_e32 v14, vcc, s12, v14
	v_addc_co_u32_e32 v15, vcc, v8, v15, vcc
	s_waitcnt vmcnt(0)
	v_fmac_f32_e32 v11, v3, v16
	global_load_dword v3, v[14:15], off
	v_lshlrev_b64 v[14:15], 2, v[5:6]
	v_add_u32_e32 v5, 3, v13
	v_add_co_u32_e32 v14, vcc, s12, v14
	v_addc_co_u32_e32 v15, vcc, v8, v15, vcc
	s_waitcnt vmcnt(0)
	v_fmac_f32_e32 v10, v3, v16
	global_load_dword v3, v[14:15], off
	v_lshlrev_b64 v[14:15], 2, v[5:6]
	v_add_u32_e32 v5, -11, v4
	v_add_co_u32_e32 v14, vcc, s14, v14
	v_addc_co_u32_e32 v15, vcc, v12, v15, vcc
	global_load_dword v16, v[14:15], off
	v_lshlrev_b64 v[14:15], 2, v[5:6]
	v_subrev_u32_e32 v5, 25, v4
	v_add_co_u32_e32 v14, vcc, s12, v14
	v_addc_co_u32_e32 v15, vcc, v8, v15, vcc
	s_waitcnt vmcnt(0)
	v_fmac_f32_e32 v11, v3, v16
	global_load_dword v3, v[14:15], off
	v_lshlrev_b64 v[14:15], 2, v[5:6]
	v_add_u32_e32 v5, 4, v13
	v_add_co_u32_e32 v14, vcc, s12, v14
	v_addc_co_u32_e32 v15, vcc, v8, v15, vcc
	s_waitcnt vmcnt(0)
	v_fmac_f32_e32 v10, v3, v16
	;; [unrolled: 19-line block ×10, first 2 shown]
	global_load_dword v3, v[14:15], off
	v_lshlrev_b64 v[14:15], 2, v[5:6]
	v_add_u32_e32 v5, -2, v4
	v_add_co_u32_e32 v14, vcc, s14, v14
	v_addc_co_u32_e32 v15, vcc, v12, v15, vcc
	global_load_dword v16, v[14:15], off
	v_lshlrev_b64 v[14:15], 2, v[5:6]
	v_add_u32_e32 v5, -16, v4
	v_add_co_u32_e32 v14, vcc, s12, v14
	v_addc_co_u32_e32 v15, vcc, v8, v15, vcc
	s_waitcnt vmcnt(0)
	v_fmac_f32_e32 v11, v3, v16
	global_load_dword v3, v[14:15], off
	v_lshlrev_b64 v[14:15], 2, v[5:6]
	v_add_u32_e32 v5, 13, v13
	v_add_co_u32_e32 v14, vcc, s12, v14
	v_addc_co_u32_e32 v15, vcc, v8, v15, vcc
	s_waitcnt vmcnt(0)
	v_fmac_f32_e32 v10, v3, v16
	global_load_dword v3, v[14:15], off
	v_lshlrev_b64 v[14:15], 2, v[5:6]
	v_add_u32_e32 v5, -1, v4
	v_add_co_u32_e32 v14, vcc, s14, v14
	v_addc_co_u32_e32 v15, vcc, v12, v15, vcc
	global_load_dword v16, v[14:15], off
	v_lshlrev_b64 v[14:15], 2, v[5:6]
	v_add_u32_e32 v5, -15, v4
	v_add_co_u32_e32 v14, vcc, s12, v14
	v_addc_co_u32_e32 v15, vcc, v8, v15, vcc
	s_waitcnt vmcnt(0)
	v_fmac_f32_e32 v11, v3, v16
	global_load_dword v3, v[14:15], off
	v_lshlrev_b64 v[14:15], 2, v[5:6]
	v_add_u32_e32 v5, 14, v13
	v_add_co_u32_e32 v14, vcc, s12, v14
	v_addc_co_u32_e32 v15, vcc, v8, v15, vcc
	global_load_dword v15, v[14:15], off
	v_lshlrev_b64 v[13:14], 2, v[5:6]
	v_mov_b32_e32 v5, v6
	v_add_co_u32_e32 v13, vcc, s14, v13
	v_addc_co_u32_e32 v14, vcc, v12, v14, vcc
	s_waitcnt vmcnt(1)
	v_fmac_f32_e32 v10, v3, v16
	global_load_dword v3, v[13:14], off
	v_lshlrev_b64 v[13:14], 2, v[4:5]
	v_add_u32_e32 v4, 0x3c0, v4
	v_add_co_u32_e32 v13, vcc, s12, v13
	v_addc_co_u32_e32 v14, vcc, v8, v14, vcc
	global_load_dword v5, v[13:14], off
	v_cmp_ge_i32_e32 vcc, v2, v9
	s_or_b64 s[0:1], vcc, s[0:1]
	s_waitcnt vmcnt(1)
	v_fmac_f32_e32 v11, v15, v3
	s_waitcnt vmcnt(0)
	v_fmac_f32_e32 v10, v5, v3
	s_andn2_b64 exec, exec, s[0:1]
	s_cbranch_execnz .LBB68_15
; %bb.16:
	s_or_b64 exec, exec, s[0:1]
.LBB68_17:
	s_or_b64 exec, exec, s[6:7]
.LBB68_18:
	v_mov_b32_dpp v2, v11 row_shr:1 row_mask:0xf bank_mask:0xf
	v_mov_b32_dpp v4, v10 row_shr:1 row_mask:0xf bank_mask:0xf
	v_add_f32_e32 v2, v11, v2
	v_add_f32_e32 v4, v10, v4
	v_cmp_eq_u32_e32 vcc, 31, v0
	v_mov_b32_dpp v3, v2 row_shr:2 row_mask:0xf bank_mask:0xf
	v_mov_b32_dpp v5, v4 row_shr:2 row_mask:0xf bank_mask:0xf
	v_add_f32_e32 v2, v2, v3
	v_add_f32_e32 v4, v4, v5
	s_nop 0
	v_mov_b32_dpp v3, v2 row_shr:4 row_mask:0xf bank_mask:0xe
	v_mov_b32_dpp v5, v4 row_shr:4 row_mask:0xf bank_mask:0xe
	v_add_f32_e32 v2, v2, v3
	v_add_f32_e32 v4, v4, v5
	s_nop 0
	;; [unrolled: 5-line block ×3, first 2 shown]
	v_mov_b32_dpp v3, v2 row_bcast:15 row_mask:0xa bank_mask:0xf
	v_mov_b32_dpp v5, v4 row_bcast:15 row_mask:0xa bank_mask:0xf
	s_and_b64 exec, exec, vcc
	s_cbranch_execz .LBB68_22
; %bb.19:
	s_load_dwordx2 s[0:1], s[4:5], 0x38
	v_add_f32_e32 v0, v2, v3
	v_add_f32_e32 v3, v4, v5
	v_cmp_eq_f32_e64 s[4:5], s2, 0
	s_and_b64 vcc, exec, s[4:5]
	v_mul_f32_e32 v2, s16, v0
	v_mul_f32_e32 v3, s16, v3
	v_lshlrev_b32_e32 v0, 1, v1
	s_cbranch_vccz .LBB68_23
; %bb.20:
	v_ashrrev_i32_e32 v1, 31, v0
	v_lshlrev_b64 v[4:5], 2, v[0:1]
	s_waitcnt lgkmcnt(0)
	v_mov_b32_e32 v1, s1
	v_add_co_u32_e32 v4, vcc, s0, v4
	v_addc_co_u32_e32 v5, vcc, v1, v5, vcc
	global_store_dwordx2 v[4:5], v[2:3], off
	s_cbranch_execnz .LBB68_22
.LBB68_21:
	v_ashrrev_i32_e32 v1, 31, v0
	v_lshlrev_b64 v[0:1], 2, v[0:1]
	s_waitcnt lgkmcnt(0)
	v_mov_b32_e32 v4, s1
	v_add_co_u32_e32 v0, vcc, s0, v0
	v_addc_co_u32_e32 v1, vcc, v4, v1, vcc
	global_load_dwordx2 v[4:5], v[0:1], off
	s_waitcnt vmcnt(0)
	v_fmac_f32_e32 v2, s2, v4
	v_fmac_f32_e32 v3, s2, v5
	global_store_dwordx2 v[0:1], v[2:3], off
.LBB68_22:
	s_endpgm
.LBB68_23:
	s_branch .LBB68_21
	.section	.rodata,"a",@progbits
	.p2align	6, 0x0
	.amdhsa_kernel _ZN9rocsparseL19gebsrmvn_2xn_kernelILj128ELj15ELj32EfEEvi20rocsparse_direction_NS_24const_host_device_scalarIT2_EEPKiS6_PKS3_S8_S4_PS3_21rocsparse_index_base_b
		.amdhsa_group_segment_fixed_size 0
		.amdhsa_private_segment_fixed_size 0
		.amdhsa_kernarg_size 72
		.amdhsa_user_sgpr_count 6
		.amdhsa_user_sgpr_private_segment_buffer 1
		.amdhsa_user_sgpr_dispatch_ptr 0
		.amdhsa_user_sgpr_queue_ptr 0
		.amdhsa_user_sgpr_kernarg_segment_ptr 1
		.amdhsa_user_sgpr_dispatch_id 0
		.amdhsa_user_sgpr_flat_scratch_init 0
		.amdhsa_user_sgpr_private_segment_size 0
		.amdhsa_uses_dynamic_stack 0
		.amdhsa_system_sgpr_private_segment_wavefront_offset 0
		.amdhsa_system_sgpr_workgroup_id_x 1
		.amdhsa_system_sgpr_workgroup_id_y 0
		.amdhsa_system_sgpr_workgroup_id_z 0
		.amdhsa_system_sgpr_workgroup_info 0
		.amdhsa_system_vgpr_workitem_id 0
		.amdhsa_next_free_vgpr 26
		.amdhsa_next_free_sgpr 20
		.amdhsa_reserve_vcc 1
		.amdhsa_reserve_flat_scratch 0
		.amdhsa_float_round_mode_32 0
		.amdhsa_float_round_mode_16_64 0
		.amdhsa_float_denorm_mode_32 3
		.amdhsa_float_denorm_mode_16_64 3
		.amdhsa_dx10_clamp 1
		.amdhsa_ieee_mode 1
		.amdhsa_fp16_overflow 0
		.amdhsa_exception_fp_ieee_invalid_op 0
		.amdhsa_exception_fp_denorm_src 0
		.amdhsa_exception_fp_ieee_div_zero 0
		.amdhsa_exception_fp_ieee_overflow 0
		.amdhsa_exception_fp_ieee_underflow 0
		.amdhsa_exception_fp_ieee_inexact 0
		.amdhsa_exception_int_div_zero 0
	.end_amdhsa_kernel
	.section	.text._ZN9rocsparseL19gebsrmvn_2xn_kernelILj128ELj15ELj32EfEEvi20rocsparse_direction_NS_24const_host_device_scalarIT2_EEPKiS6_PKS3_S8_S4_PS3_21rocsparse_index_base_b,"axG",@progbits,_ZN9rocsparseL19gebsrmvn_2xn_kernelILj128ELj15ELj32EfEEvi20rocsparse_direction_NS_24const_host_device_scalarIT2_EEPKiS6_PKS3_S8_S4_PS3_21rocsparse_index_base_b,comdat
.Lfunc_end68:
	.size	_ZN9rocsparseL19gebsrmvn_2xn_kernelILj128ELj15ELj32EfEEvi20rocsparse_direction_NS_24const_host_device_scalarIT2_EEPKiS6_PKS3_S8_S4_PS3_21rocsparse_index_base_b, .Lfunc_end68-_ZN9rocsparseL19gebsrmvn_2xn_kernelILj128ELj15ELj32EfEEvi20rocsparse_direction_NS_24const_host_device_scalarIT2_EEPKiS6_PKS3_S8_S4_PS3_21rocsparse_index_base_b
                                        ; -- End function
	.set _ZN9rocsparseL19gebsrmvn_2xn_kernelILj128ELj15ELj32EfEEvi20rocsparse_direction_NS_24const_host_device_scalarIT2_EEPKiS6_PKS3_S8_S4_PS3_21rocsparse_index_base_b.num_vgpr, 26
	.set _ZN9rocsparseL19gebsrmvn_2xn_kernelILj128ELj15ELj32EfEEvi20rocsparse_direction_NS_24const_host_device_scalarIT2_EEPKiS6_PKS3_S8_S4_PS3_21rocsparse_index_base_b.num_agpr, 0
	.set _ZN9rocsparseL19gebsrmvn_2xn_kernelILj128ELj15ELj32EfEEvi20rocsparse_direction_NS_24const_host_device_scalarIT2_EEPKiS6_PKS3_S8_S4_PS3_21rocsparse_index_base_b.numbered_sgpr, 20
	.set _ZN9rocsparseL19gebsrmvn_2xn_kernelILj128ELj15ELj32EfEEvi20rocsparse_direction_NS_24const_host_device_scalarIT2_EEPKiS6_PKS3_S8_S4_PS3_21rocsparse_index_base_b.num_named_barrier, 0
	.set _ZN9rocsparseL19gebsrmvn_2xn_kernelILj128ELj15ELj32EfEEvi20rocsparse_direction_NS_24const_host_device_scalarIT2_EEPKiS6_PKS3_S8_S4_PS3_21rocsparse_index_base_b.private_seg_size, 0
	.set _ZN9rocsparseL19gebsrmvn_2xn_kernelILj128ELj15ELj32EfEEvi20rocsparse_direction_NS_24const_host_device_scalarIT2_EEPKiS6_PKS3_S8_S4_PS3_21rocsparse_index_base_b.uses_vcc, 1
	.set _ZN9rocsparseL19gebsrmvn_2xn_kernelILj128ELj15ELj32EfEEvi20rocsparse_direction_NS_24const_host_device_scalarIT2_EEPKiS6_PKS3_S8_S4_PS3_21rocsparse_index_base_b.uses_flat_scratch, 0
	.set _ZN9rocsparseL19gebsrmvn_2xn_kernelILj128ELj15ELj32EfEEvi20rocsparse_direction_NS_24const_host_device_scalarIT2_EEPKiS6_PKS3_S8_S4_PS3_21rocsparse_index_base_b.has_dyn_sized_stack, 0
	.set _ZN9rocsparseL19gebsrmvn_2xn_kernelILj128ELj15ELj32EfEEvi20rocsparse_direction_NS_24const_host_device_scalarIT2_EEPKiS6_PKS3_S8_S4_PS3_21rocsparse_index_base_b.has_recursion, 0
	.set _ZN9rocsparseL19gebsrmvn_2xn_kernelILj128ELj15ELj32EfEEvi20rocsparse_direction_NS_24const_host_device_scalarIT2_EEPKiS6_PKS3_S8_S4_PS3_21rocsparse_index_base_b.has_indirect_call, 0
	.section	.AMDGPU.csdata,"",@progbits
; Kernel info:
; codeLenInByte = 3276
; TotalNumSgprs: 24
; NumVgprs: 26
; ScratchSize: 0
; MemoryBound: 0
; FloatMode: 240
; IeeeMode: 1
; LDSByteSize: 0 bytes/workgroup (compile time only)
; SGPRBlocks: 2
; VGPRBlocks: 6
; NumSGPRsForWavesPerEU: 24
; NumVGPRsForWavesPerEU: 26
; Occupancy: 9
; WaveLimiterHint : 1
; COMPUTE_PGM_RSRC2:SCRATCH_EN: 0
; COMPUTE_PGM_RSRC2:USER_SGPR: 6
; COMPUTE_PGM_RSRC2:TRAP_HANDLER: 0
; COMPUTE_PGM_RSRC2:TGID_X_EN: 1
; COMPUTE_PGM_RSRC2:TGID_Y_EN: 0
; COMPUTE_PGM_RSRC2:TGID_Z_EN: 0
; COMPUTE_PGM_RSRC2:TIDIG_COMP_CNT: 0
	.section	.text._ZN9rocsparseL19gebsrmvn_2xn_kernelILj128ELj15ELj64EfEEvi20rocsparse_direction_NS_24const_host_device_scalarIT2_EEPKiS6_PKS3_S8_S4_PS3_21rocsparse_index_base_b,"axG",@progbits,_ZN9rocsparseL19gebsrmvn_2xn_kernelILj128ELj15ELj64EfEEvi20rocsparse_direction_NS_24const_host_device_scalarIT2_EEPKiS6_PKS3_S8_S4_PS3_21rocsparse_index_base_b,comdat
	.globl	_ZN9rocsparseL19gebsrmvn_2xn_kernelILj128ELj15ELj64EfEEvi20rocsparse_direction_NS_24const_host_device_scalarIT2_EEPKiS6_PKS3_S8_S4_PS3_21rocsparse_index_base_b ; -- Begin function _ZN9rocsparseL19gebsrmvn_2xn_kernelILj128ELj15ELj64EfEEvi20rocsparse_direction_NS_24const_host_device_scalarIT2_EEPKiS6_PKS3_S8_S4_PS3_21rocsparse_index_base_b
	.p2align	8
	.type	_ZN9rocsparseL19gebsrmvn_2xn_kernelILj128ELj15ELj64EfEEvi20rocsparse_direction_NS_24const_host_device_scalarIT2_EEPKiS6_PKS3_S8_S4_PS3_21rocsparse_index_base_b,@function
_ZN9rocsparseL19gebsrmvn_2xn_kernelILj128ELj15ELj64EfEEvi20rocsparse_direction_NS_24const_host_device_scalarIT2_EEPKiS6_PKS3_S8_S4_PS3_21rocsparse_index_base_b: ; @_ZN9rocsparseL19gebsrmvn_2xn_kernelILj128ELj15ELj64EfEEvi20rocsparse_direction_NS_24const_host_device_scalarIT2_EEPKiS6_PKS3_S8_S4_PS3_21rocsparse_index_base_b
; %bb.0:
	s_load_dwordx2 s[18:19], s[4:5], 0x40
	s_load_dwordx2 s[16:17], s[4:5], 0x8
	s_load_dwordx2 s[2:3], s[4:5], 0x30
	s_waitcnt lgkmcnt(0)
	s_bitcmp1_b32 s19, 0
	s_cselect_b64 s[8:9], -1, 0
	s_xor_b64 s[0:1], s[8:9], -1
	s_and_b64 vcc, exec, s[8:9]
	s_cbranch_vccnz .LBB69_2
; %bb.1:
	s_load_dword s16, s[16:17], 0x0
.LBB69_2:
	s_andn2_b64 vcc, exec, s[0:1]
	s_cbranch_vccnz .LBB69_4
; %bb.3:
	s_load_dword s2, s[2:3], 0x0
.LBB69_4:
	s_waitcnt lgkmcnt(0)
	v_cmp_eq_f32_e64 s[0:1], s16, 0
	v_cmp_eq_f32_e64 s[8:9], s2, 1.0
	s_and_b64 s[0:1], s[0:1], s[8:9]
	s_and_b64 vcc, exec, s[0:1]
	s_cbranch_vccnz .LBB69_22
; %bb.5:
	s_load_dwordx2 s[0:1], s[4:5], 0x0
	v_lshrrev_b32_e32 v1, 6, v0
	v_lshl_or_b32 v1, s6, 1, v1
	s_waitcnt lgkmcnt(0)
	v_cmp_gt_i32_e32 vcc, s0, v1
	s_and_saveexec_b64 s[6:7], vcc
	s_cbranch_execz .LBB69_22
; %bb.6:
	s_load_dwordx8 s[8:15], s[4:5], 0x10
	v_ashrrev_i32_e32 v2, 31, v1
	v_lshlrev_b64 v[2:3], 2, v[1:2]
	v_and_b32_e32 v0, 63, v0
	s_cmp_lg_u32 s1, 0
	s_waitcnt lgkmcnt(0)
	v_mov_b32_e32 v4, s9
	v_add_co_u32_e32 v2, vcc, s8, v2
	v_addc_co_u32_e32 v3, vcc, v4, v3, vcc
	global_load_dwordx2 v[2:3], v[2:3], off
	s_waitcnt vmcnt(0)
	v_subrev_u32_e32 v2, s18, v2
	v_subrev_u32_e32 v9, s18, v3
	v_add_u32_e32 v2, v2, v0
	v_cmp_lt_i32_e64 s[0:1], v2, v9
	s_cbranch_scc0 .LBB69_12
; %bb.7:
	v_mov_b32_e32 v11, 0
	v_mov_b32_e32 v10, 0
	s_and_saveexec_b64 s[6:7], s[0:1]
	s_cbranch_execz .LBB69_11
; %bb.8:
	v_mad_u64_u32 v[3:4], s[8:9], v2, 30, 28
	v_mov_b32_e32 v6, 0
	s_mov_b64 s[8:9], 0
	v_mov_b32_e32 v12, s11
	v_mov_b32_e32 v13, s13
	;; [unrolled: 1-line block ×6, first 2 shown]
.LBB69_9:                               ; =>This Inner Loop Header: Depth=1
	v_ashrrev_i32_e32 v8, 31, v7
	v_lshlrev_b64 v[17:18], 2, v[7:8]
	v_subrev_u32_e32 v5, 28, v3
	v_add_co_u32_e32 v17, vcc, s10, v17
	v_addc_co_u32_e32 v18, vcc, v12, v18, vcc
	global_load_dword v8, v[17:18], off
	v_lshlrev_b64 v[19:20], 2, v[5:6]
	v_mov_b32_e32 v16, v6
	v_add_co_u32_e32 v19, vcc, s12, v19
	v_addc_co_u32_e32 v20, vcc, v13, v20, vcc
	v_mov_b32_e32 v4, v6
	v_lshlrev_b64 v[21:22], 2, v[3:4]
	v_subrev_u32_e32 v5, 26, v3
	v_add_u32_e32 v7, 64, v7
	s_waitcnt vmcnt(0)
	v_subrev_u32_e32 v8, s18, v8
	v_mul_lo_u32 v15, v8, 15
	v_lshlrev_b64 v[16:17], 2, v[15:16]
	v_add_co_u32_e32 v16, vcc, s14, v16
	v_addc_co_u32_e32 v17, vcc, v14, v17, vcc
	global_load_dwordx2 v[23:24], v[19:20], off
	global_load_dword v4, v[16:17], off
	v_add_co_u32_e32 v16, vcc, s12, v21
	v_addc_co_u32_e32 v17, vcc, v13, v22, vcc
	s_waitcnt vmcnt(0)
	v_fmac_f32_e32 v11, v23, v4
	v_fmac_f32_e32 v10, v24, v4
	v_lshlrev_b64 v[4:5], 2, v[5:6]
	v_add_co_u32_e32 v18, vcc, s12, v4
	v_addc_co_u32_e32 v19, vcc, v13, v5, vcc
	v_add_u32_e32 v5, 1, v15
	v_lshlrev_b64 v[4:5], 2, v[5:6]
	global_load_dwordx2 v[18:19], v[18:19], off
	v_add_co_u32_e32 v20, vcc, s14, v4
	v_addc_co_u32_e32 v21, vcc, v14, v5, vcc
	global_load_dword v4, v[20:21], off
	v_subrev_u32_e32 v5, 24, v3
	s_waitcnt vmcnt(0)
	v_fmac_f32_e32 v11, v18, v4
	v_fmac_f32_e32 v10, v19, v4
	v_lshlrev_b64 v[18:19], 2, v[5:6]
	v_add_u32_e32 v5, 2, v15
	v_add_co_u32_e32 v18, vcc, s12, v18
	v_lshlrev_b64 v[4:5], 2, v[5:6]
	v_addc_co_u32_e32 v19, vcc, v13, v19, vcc
	v_add_co_u32_e32 v20, vcc, s14, v4
	v_addc_co_u32_e32 v21, vcc, v14, v5, vcc
	global_load_dwordx2 v[22:23], v[18:19], off
	global_load_dword v4, v[20:21], off
	v_subrev_u32_e32 v5, 22, v3
	v_lshlrev_b64 v[18:19], 2, v[5:6]
	v_add_u32_e32 v5, 3, v15
	v_add_co_u32_e32 v18, vcc, s12, v18
	v_addc_co_u32_e32 v19, vcc, v13, v19, vcc
	s_waitcnt vmcnt(0)
	v_fmac_f32_e32 v11, v22, v4
	v_fmac_f32_e32 v10, v23, v4
	v_lshlrev_b64 v[4:5], 2, v[5:6]
	v_add_co_u32_e32 v20, vcc, s14, v4
	v_addc_co_u32_e32 v21, vcc, v14, v5, vcc
	global_load_dwordx2 v[22:23], v[18:19], off
	global_load_dword v4, v[20:21], off
	v_subrev_u32_e32 v5, 20, v3
	v_lshlrev_b64 v[18:19], 2, v[5:6]
	v_add_u32_e32 v5, 4, v15
	v_add_co_u32_e32 v18, vcc, s12, v18
	v_addc_co_u32_e32 v19, vcc, v13, v19, vcc
	s_waitcnt vmcnt(0)
	v_fmac_f32_e32 v11, v22, v4
	v_fmac_f32_e32 v10, v23, v4
	v_lshlrev_b64 v[4:5], 2, v[5:6]
	;; [unrolled: 13-line block ×3, first 2 shown]
	v_add_co_u32_e32 v20, vcc, s14, v4
	v_addc_co_u32_e32 v21, vcc, v14, v5, vcc
	global_load_dwordx2 v[22:23], v[18:19], off
	global_load_dword v4, v[20:21], off
	v_add_u32_e32 v5, -16, v3
	v_lshlrev_b64 v[18:19], 2, v[5:6]
	v_add_u32_e32 v5, 6, v15
	v_add_co_u32_e32 v18, vcc, s12, v18
	v_addc_co_u32_e32 v19, vcc, v13, v19, vcc
	s_waitcnt vmcnt(0)
	v_fmac_f32_e32 v11, v22, v4
	v_fmac_f32_e32 v10, v23, v4
	v_lshlrev_b64 v[4:5], 2, v[5:6]
	v_add_co_u32_e32 v20, vcc, s14, v4
	v_addc_co_u32_e32 v21, vcc, v14, v5, vcc
	global_load_dwordx2 v[22:23], v[18:19], off
	global_load_dword v4, v[20:21], off
	v_add_u32_e32 v5, -14, v3
	v_lshlrev_b64 v[18:19], 2, v[5:6]
	v_add_u32_e32 v5, 7, v15
	v_add_co_u32_e32 v18, vcc, s12, v18
	v_addc_co_u32_e32 v19, vcc, v13, v19, vcc
	s_waitcnt vmcnt(0)
	v_fmac_f32_e32 v11, v22, v4
	v_fmac_f32_e32 v10, v23, v4
	v_lshlrev_b64 v[4:5], 2, v[5:6]
	;; [unrolled: 13-line block ×7, first 2 shown]
	v_add_co_u32_e32 v20, vcc, s14, v4
	v_addc_co_u32_e32 v21, vcc, v14, v5, vcc
	global_load_dwordx2 v[22:23], v[18:19], off
	global_load_dword v4, v[20:21], off
	v_add_u32_e32 v5, -2, v3
	v_lshlrev_b64 v[18:19], 2, v[5:6]
	v_add_u32_e32 v5, 13, v15
	v_lshlrev_b64 v[20:21], 2, v[5:6]
	v_add_co_u32_e32 v18, vcc, s12, v18
	v_add_u32_e32 v5, 14, v15
	v_addc_co_u32_e32 v19, vcc, v13, v19, vcc
	v_add_co_u32_e32 v20, vcc, s14, v20
	v_addc_co_u32_e32 v21, vcc, v14, v21, vcc
	v_add_u32_e32 v3, 0x780, v3
	s_waitcnt vmcnt(0)
	v_fmac_f32_e32 v11, v22, v4
	v_fmac_f32_e32 v10, v23, v4
	v_lshlrev_b64 v[4:5], 2, v[5:6]
	v_add_co_u32_e32 v4, vcc, s14, v4
	v_addc_co_u32_e32 v5, vcc, v14, v5, vcc
	global_load_dwordx2 v[22:23], v[16:17], off
	global_load_dwordx2 v[24:25], v[18:19], off
	global_load_dword v8, v[20:21], off
	global_load_dword v15, v[4:5], off
	v_cmp_ge_i32_e32 vcc, v7, v9
	s_or_b64 s[8:9], vcc, s[8:9]
	s_waitcnt vmcnt(1)
	v_fmac_f32_e32 v11, v24, v8
	v_fmac_f32_e32 v10, v25, v8
	s_waitcnt vmcnt(0)
	v_fmac_f32_e32 v11, v22, v15
	v_fmac_f32_e32 v10, v23, v15
	s_andn2_b64 exec, exec, s[8:9]
	s_cbranch_execnz .LBB69_9
; %bb.10:
	s_or_b64 exec, exec, s[8:9]
.LBB69_11:
	s_or_b64 exec, exec, s[6:7]
	s_cbranch_execz .LBB69_13
	s_branch .LBB69_18
.LBB69_12:
                                        ; implicit-def: $vgpr11
                                        ; implicit-def: $vgpr10
.LBB69_13:
	v_mov_b32_e32 v11, 0
	v_mov_b32_e32 v10, 0
	s_and_saveexec_b64 s[6:7], s[0:1]
	s_cbranch_execz .LBB69_17
; %bb.14:
	v_mad_u64_u32 v[4:5], s[0:1], v2, 30, 29
	v_mov_b32_e32 v6, 0
	s_mov_b64 s[0:1], 0
	v_mov_b32_e32 v7, s11
	v_mov_b32_e32 v8, s13
	;; [unrolled: 1-line block ×5, first 2 shown]
.LBB69_15:                              ; =>This Inner Loop Header: Depth=1
	v_ashrrev_i32_e32 v3, 31, v2
	v_lshlrev_b64 v[13:14], 2, v[2:3]
	v_subrev_u32_e32 v5, 29, v4
	v_add_co_u32_e32 v13, vcc, s10, v13
	v_addc_co_u32_e32 v14, vcc, v7, v14, vcc
	global_load_dword v3, v[13:14], off
	v_lshlrev_b64 v[16:17], 2, v[5:6]
	v_mov_b32_e32 v14, v6
	v_add_co_u32_e32 v16, vcc, s12, v16
	v_addc_co_u32_e32 v17, vcc, v8, v17, vcc
	global_load_dwordx2 v[16:17], v[16:17], off
	v_add_u32_e32 v15, -14, v4
	v_add_u32_e32 v2, 64, v2
	s_waitcnt vmcnt(1)
	v_subrev_u32_e32 v3, s18, v3
	v_mul_lo_u32 v13, v3, 15
	v_lshlrev_b64 v[18:19], 2, v[13:14]
	v_add_co_u32_e32 v18, vcc, s14, v18
	v_addc_co_u32_e32 v19, vcc, v12, v19, vcc
	global_load_dword v3, v[18:19], off
	s_waitcnt vmcnt(0)
	v_fmac_f32_e32 v11, v16, v3
	v_mov_b32_e32 v16, v6
	v_lshlrev_b64 v[14:15], 2, v[15:16]
	v_add_co_u32_e32 v14, vcc, s12, v14
	v_addc_co_u32_e32 v15, vcc, v8, v15, vcc
	global_load_dword v5, v[14:15], off
	s_waitcnt vmcnt(0)
	v_fmac_f32_e32 v10, v5, v3
	v_add_u32_e32 v5, 1, v13
	v_lshlrev_b64 v[14:15], 2, v[5:6]
	v_add_u32_e32 v5, -13, v4
	v_add_co_u32_e32 v14, vcc, s14, v14
	v_addc_co_u32_e32 v15, vcc, v12, v15, vcc
	global_load_dword v3, v[14:15], off
	v_lshlrev_b64 v[14:15], 2, v[5:6]
	v_add_co_u32_e32 v14, vcc, s12, v14
	v_addc_co_u32_e32 v15, vcc, v8, v15, vcc
	global_load_dword v5, v[14:15], off
	s_waitcnt vmcnt(1)
	v_fmac_f32_e32 v11, v17, v3
	s_waitcnt vmcnt(0)
	v_fmac_f32_e32 v10, v5, v3
	v_subrev_u32_e32 v5, 27, v4
	v_lshlrev_b64 v[14:15], 2, v[5:6]
	v_add_u32_e32 v5, 2, v13
	v_add_co_u32_e32 v14, vcc, s12, v14
	v_addc_co_u32_e32 v15, vcc, v8, v15, vcc
	global_load_dword v3, v[14:15], off
	v_lshlrev_b64 v[14:15], 2, v[5:6]
	v_add_u32_e32 v5, -12, v4
	v_add_co_u32_e32 v14, vcc, s14, v14
	v_addc_co_u32_e32 v15, vcc, v12, v15, vcc
	global_load_dword v16, v[14:15], off
	v_lshlrev_b64 v[14:15], 2, v[5:6]
	v_subrev_u32_e32 v5, 26, v4
	v_add_co_u32_e32 v14, vcc, s12, v14
	v_addc_co_u32_e32 v15, vcc, v8, v15, vcc
	s_waitcnt vmcnt(0)
	v_fmac_f32_e32 v11, v3, v16
	global_load_dword v3, v[14:15], off
	v_lshlrev_b64 v[14:15], 2, v[5:6]
	v_add_u32_e32 v5, 3, v13
	v_add_co_u32_e32 v14, vcc, s12, v14
	v_addc_co_u32_e32 v15, vcc, v8, v15, vcc
	s_waitcnt vmcnt(0)
	v_fmac_f32_e32 v10, v3, v16
	global_load_dword v3, v[14:15], off
	v_lshlrev_b64 v[14:15], 2, v[5:6]
	v_add_u32_e32 v5, -11, v4
	v_add_co_u32_e32 v14, vcc, s14, v14
	v_addc_co_u32_e32 v15, vcc, v12, v15, vcc
	global_load_dword v16, v[14:15], off
	v_lshlrev_b64 v[14:15], 2, v[5:6]
	v_subrev_u32_e32 v5, 25, v4
	v_add_co_u32_e32 v14, vcc, s12, v14
	v_addc_co_u32_e32 v15, vcc, v8, v15, vcc
	s_waitcnt vmcnt(0)
	v_fmac_f32_e32 v11, v3, v16
	global_load_dword v3, v[14:15], off
	v_lshlrev_b64 v[14:15], 2, v[5:6]
	v_add_u32_e32 v5, 4, v13
	v_add_co_u32_e32 v14, vcc, s12, v14
	v_addc_co_u32_e32 v15, vcc, v8, v15, vcc
	s_waitcnt vmcnt(0)
	v_fmac_f32_e32 v10, v3, v16
	;; [unrolled: 19-line block ×10, first 2 shown]
	global_load_dword v3, v[14:15], off
	v_lshlrev_b64 v[14:15], 2, v[5:6]
	v_add_u32_e32 v5, -2, v4
	v_add_co_u32_e32 v14, vcc, s14, v14
	v_addc_co_u32_e32 v15, vcc, v12, v15, vcc
	global_load_dword v16, v[14:15], off
	v_lshlrev_b64 v[14:15], 2, v[5:6]
	v_add_u32_e32 v5, -16, v4
	v_add_co_u32_e32 v14, vcc, s12, v14
	v_addc_co_u32_e32 v15, vcc, v8, v15, vcc
	s_waitcnt vmcnt(0)
	v_fmac_f32_e32 v11, v3, v16
	global_load_dword v3, v[14:15], off
	v_lshlrev_b64 v[14:15], 2, v[5:6]
	v_add_u32_e32 v5, 13, v13
	v_add_co_u32_e32 v14, vcc, s12, v14
	v_addc_co_u32_e32 v15, vcc, v8, v15, vcc
	s_waitcnt vmcnt(0)
	v_fmac_f32_e32 v10, v3, v16
	global_load_dword v3, v[14:15], off
	v_lshlrev_b64 v[14:15], 2, v[5:6]
	v_add_u32_e32 v5, -1, v4
	v_add_co_u32_e32 v14, vcc, s14, v14
	v_addc_co_u32_e32 v15, vcc, v12, v15, vcc
	global_load_dword v16, v[14:15], off
	v_lshlrev_b64 v[14:15], 2, v[5:6]
	v_add_u32_e32 v5, -15, v4
	v_add_co_u32_e32 v14, vcc, s12, v14
	v_addc_co_u32_e32 v15, vcc, v8, v15, vcc
	s_waitcnt vmcnt(0)
	v_fmac_f32_e32 v11, v3, v16
	global_load_dword v3, v[14:15], off
	v_lshlrev_b64 v[14:15], 2, v[5:6]
	v_add_u32_e32 v5, 14, v13
	v_add_co_u32_e32 v14, vcc, s12, v14
	v_addc_co_u32_e32 v15, vcc, v8, v15, vcc
	global_load_dword v15, v[14:15], off
	v_lshlrev_b64 v[13:14], 2, v[5:6]
	v_mov_b32_e32 v5, v6
	v_add_co_u32_e32 v13, vcc, s14, v13
	v_addc_co_u32_e32 v14, vcc, v12, v14, vcc
	s_waitcnt vmcnt(1)
	v_fmac_f32_e32 v10, v3, v16
	global_load_dword v3, v[13:14], off
	v_lshlrev_b64 v[13:14], 2, v[4:5]
	v_add_u32_e32 v4, 0x780, v4
	v_add_co_u32_e32 v13, vcc, s12, v13
	v_addc_co_u32_e32 v14, vcc, v8, v14, vcc
	global_load_dword v5, v[13:14], off
	v_cmp_ge_i32_e32 vcc, v2, v9
	s_or_b64 s[0:1], vcc, s[0:1]
	s_waitcnt vmcnt(1)
	v_fmac_f32_e32 v11, v15, v3
	s_waitcnt vmcnt(0)
	v_fmac_f32_e32 v10, v5, v3
	s_andn2_b64 exec, exec, s[0:1]
	s_cbranch_execnz .LBB69_15
; %bb.16:
	s_or_b64 exec, exec, s[0:1]
.LBB69_17:
	s_or_b64 exec, exec, s[6:7]
.LBB69_18:
	v_mov_b32_dpp v2, v11 row_shr:1 row_mask:0xf bank_mask:0xf
	v_mov_b32_dpp v4, v10 row_shr:1 row_mask:0xf bank_mask:0xf
	v_add_f32_e32 v2, v11, v2
	v_add_f32_e32 v4, v10, v4
	v_cmp_eq_u32_e32 vcc, 63, v0
	v_mov_b32_dpp v3, v2 row_shr:2 row_mask:0xf bank_mask:0xf
	v_mov_b32_dpp v5, v4 row_shr:2 row_mask:0xf bank_mask:0xf
	v_add_f32_e32 v2, v2, v3
	v_add_f32_e32 v4, v4, v5
	s_nop 0
	v_mov_b32_dpp v3, v2 row_shr:4 row_mask:0xf bank_mask:0xe
	v_mov_b32_dpp v5, v4 row_shr:4 row_mask:0xf bank_mask:0xe
	v_add_f32_e32 v2, v2, v3
	v_add_f32_e32 v4, v4, v5
	s_nop 0
	;; [unrolled: 5-line block ×3, first 2 shown]
	v_mov_b32_dpp v3, v2 row_bcast:15 row_mask:0xa bank_mask:0xf
	v_mov_b32_dpp v5, v4 row_bcast:15 row_mask:0xa bank_mask:0xf
	v_add_f32_e32 v2, v2, v3
	v_add_f32_e32 v4, v4, v5
	s_nop 0
	v_mov_b32_dpp v3, v2 row_bcast:31 row_mask:0xc bank_mask:0xf
	v_mov_b32_dpp v5, v4 row_bcast:31 row_mask:0xc bank_mask:0xf
	s_and_b64 exec, exec, vcc
	s_cbranch_execz .LBB69_22
; %bb.19:
	s_load_dwordx2 s[0:1], s[4:5], 0x38
	v_add_f32_e32 v0, v2, v3
	v_add_f32_e32 v3, v4, v5
	v_cmp_eq_f32_e64 s[4:5], s2, 0
	s_and_b64 vcc, exec, s[4:5]
	v_mul_f32_e32 v2, s16, v0
	v_mul_f32_e32 v3, s16, v3
	v_lshlrev_b32_e32 v0, 1, v1
	s_cbranch_vccz .LBB69_23
; %bb.20:
	v_ashrrev_i32_e32 v1, 31, v0
	v_lshlrev_b64 v[4:5], 2, v[0:1]
	s_waitcnt lgkmcnt(0)
	v_mov_b32_e32 v1, s1
	v_add_co_u32_e32 v4, vcc, s0, v4
	v_addc_co_u32_e32 v5, vcc, v1, v5, vcc
	global_store_dwordx2 v[4:5], v[2:3], off
	s_cbranch_execnz .LBB69_22
.LBB69_21:
	v_ashrrev_i32_e32 v1, 31, v0
	v_lshlrev_b64 v[0:1], 2, v[0:1]
	s_waitcnt lgkmcnt(0)
	v_mov_b32_e32 v4, s1
	v_add_co_u32_e32 v0, vcc, s0, v0
	v_addc_co_u32_e32 v1, vcc, v4, v1, vcc
	global_load_dwordx2 v[4:5], v[0:1], off
	s_waitcnt vmcnt(0)
	v_fmac_f32_e32 v2, s2, v4
	v_fmac_f32_e32 v3, s2, v5
	global_store_dwordx2 v[0:1], v[2:3], off
.LBB69_22:
	s_endpgm
.LBB69_23:
	s_branch .LBB69_21
	.section	.rodata,"a",@progbits
	.p2align	6, 0x0
	.amdhsa_kernel _ZN9rocsparseL19gebsrmvn_2xn_kernelILj128ELj15ELj64EfEEvi20rocsparse_direction_NS_24const_host_device_scalarIT2_EEPKiS6_PKS3_S8_S4_PS3_21rocsparse_index_base_b
		.amdhsa_group_segment_fixed_size 0
		.amdhsa_private_segment_fixed_size 0
		.amdhsa_kernarg_size 72
		.amdhsa_user_sgpr_count 6
		.amdhsa_user_sgpr_private_segment_buffer 1
		.amdhsa_user_sgpr_dispatch_ptr 0
		.amdhsa_user_sgpr_queue_ptr 0
		.amdhsa_user_sgpr_kernarg_segment_ptr 1
		.amdhsa_user_sgpr_dispatch_id 0
		.amdhsa_user_sgpr_flat_scratch_init 0
		.amdhsa_user_sgpr_private_segment_size 0
		.amdhsa_uses_dynamic_stack 0
		.amdhsa_system_sgpr_private_segment_wavefront_offset 0
		.amdhsa_system_sgpr_workgroup_id_x 1
		.amdhsa_system_sgpr_workgroup_id_y 0
		.amdhsa_system_sgpr_workgroup_id_z 0
		.amdhsa_system_sgpr_workgroup_info 0
		.amdhsa_system_vgpr_workitem_id 0
		.amdhsa_next_free_vgpr 26
		.amdhsa_next_free_sgpr 20
		.amdhsa_reserve_vcc 1
		.amdhsa_reserve_flat_scratch 0
		.amdhsa_float_round_mode_32 0
		.amdhsa_float_round_mode_16_64 0
		.amdhsa_float_denorm_mode_32 3
		.amdhsa_float_denorm_mode_16_64 3
		.amdhsa_dx10_clamp 1
		.amdhsa_ieee_mode 1
		.amdhsa_fp16_overflow 0
		.amdhsa_exception_fp_ieee_invalid_op 0
		.amdhsa_exception_fp_denorm_src 0
		.amdhsa_exception_fp_ieee_div_zero 0
		.amdhsa_exception_fp_ieee_overflow 0
		.amdhsa_exception_fp_ieee_underflow 0
		.amdhsa_exception_fp_ieee_inexact 0
		.amdhsa_exception_int_div_zero 0
	.end_amdhsa_kernel
	.section	.text._ZN9rocsparseL19gebsrmvn_2xn_kernelILj128ELj15ELj64EfEEvi20rocsparse_direction_NS_24const_host_device_scalarIT2_EEPKiS6_PKS3_S8_S4_PS3_21rocsparse_index_base_b,"axG",@progbits,_ZN9rocsparseL19gebsrmvn_2xn_kernelILj128ELj15ELj64EfEEvi20rocsparse_direction_NS_24const_host_device_scalarIT2_EEPKiS6_PKS3_S8_S4_PS3_21rocsparse_index_base_b,comdat
.Lfunc_end69:
	.size	_ZN9rocsparseL19gebsrmvn_2xn_kernelILj128ELj15ELj64EfEEvi20rocsparse_direction_NS_24const_host_device_scalarIT2_EEPKiS6_PKS3_S8_S4_PS3_21rocsparse_index_base_b, .Lfunc_end69-_ZN9rocsparseL19gebsrmvn_2xn_kernelILj128ELj15ELj64EfEEvi20rocsparse_direction_NS_24const_host_device_scalarIT2_EEPKiS6_PKS3_S8_S4_PS3_21rocsparse_index_base_b
                                        ; -- End function
	.set _ZN9rocsparseL19gebsrmvn_2xn_kernelILj128ELj15ELj64EfEEvi20rocsparse_direction_NS_24const_host_device_scalarIT2_EEPKiS6_PKS3_S8_S4_PS3_21rocsparse_index_base_b.num_vgpr, 26
	.set _ZN9rocsparseL19gebsrmvn_2xn_kernelILj128ELj15ELj64EfEEvi20rocsparse_direction_NS_24const_host_device_scalarIT2_EEPKiS6_PKS3_S8_S4_PS3_21rocsparse_index_base_b.num_agpr, 0
	.set _ZN9rocsparseL19gebsrmvn_2xn_kernelILj128ELj15ELj64EfEEvi20rocsparse_direction_NS_24const_host_device_scalarIT2_EEPKiS6_PKS3_S8_S4_PS3_21rocsparse_index_base_b.numbered_sgpr, 20
	.set _ZN9rocsparseL19gebsrmvn_2xn_kernelILj128ELj15ELj64EfEEvi20rocsparse_direction_NS_24const_host_device_scalarIT2_EEPKiS6_PKS3_S8_S4_PS3_21rocsparse_index_base_b.num_named_barrier, 0
	.set _ZN9rocsparseL19gebsrmvn_2xn_kernelILj128ELj15ELj64EfEEvi20rocsparse_direction_NS_24const_host_device_scalarIT2_EEPKiS6_PKS3_S8_S4_PS3_21rocsparse_index_base_b.private_seg_size, 0
	.set _ZN9rocsparseL19gebsrmvn_2xn_kernelILj128ELj15ELj64EfEEvi20rocsparse_direction_NS_24const_host_device_scalarIT2_EEPKiS6_PKS3_S8_S4_PS3_21rocsparse_index_base_b.uses_vcc, 1
	.set _ZN9rocsparseL19gebsrmvn_2xn_kernelILj128ELj15ELj64EfEEvi20rocsparse_direction_NS_24const_host_device_scalarIT2_EEPKiS6_PKS3_S8_S4_PS3_21rocsparse_index_base_b.uses_flat_scratch, 0
	.set _ZN9rocsparseL19gebsrmvn_2xn_kernelILj128ELj15ELj64EfEEvi20rocsparse_direction_NS_24const_host_device_scalarIT2_EEPKiS6_PKS3_S8_S4_PS3_21rocsparse_index_base_b.has_dyn_sized_stack, 0
	.set _ZN9rocsparseL19gebsrmvn_2xn_kernelILj128ELj15ELj64EfEEvi20rocsparse_direction_NS_24const_host_device_scalarIT2_EEPKiS6_PKS3_S8_S4_PS3_21rocsparse_index_base_b.has_recursion, 0
	.set _ZN9rocsparseL19gebsrmvn_2xn_kernelILj128ELj15ELj64EfEEvi20rocsparse_direction_NS_24const_host_device_scalarIT2_EEPKiS6_PKS3_S8_S4_PS3_21rocsparse_index_base_b.has_indirect_call, 0
	.section	.AMDGPU.csdata,"",@progbits
; Kernel info:
; codeLenInByte = 3304
; TotalNumSgprs: 24
; NumVgprs: 26
; ScratchSize: 0
; MemoryBound: 0
; FloatMode: 240
; IeeeMode: 1
; LDSByteSize: 0 bytes/workgroup (compile time only)
; SGPRBlocks: 2
; VGPRBlocks: 6
; NumSGPRsForWavesPerEU: 24
; NumVGPRsForWavesPerEU: 26
; Occupancy: 9
; WaveLimiterHint : 1
; COMPUTE_PGM_RSRC2:SCRATCH_EN: 0
; COMPUTE_PGM_RSRC2:USER_SGPR: 6
; COMPUTE_PGM_RSRC2:TRAP_HANDLER: 0
; COMPUTE_PGM_RSRC2:TGID_X_EN: 1
; COMPUTE_PGM_RSRC2:TGID_Y_EN: 0
; COMPUTE_PGM_RSRC2:TGID_Z_EN: 0
; COMPUTE_PGM_RSRC2:TIDIG_COMP_CNT: 0
	.section	.text._ZN9rocsparseL19gebsrmvn_2xn_kernelILj128ELj16ELj4EfEEvi20rocsparse_direction_NS_24const_host_device_scalarIT2_EEPKiS6_PKS3_S8_S4_PS3_21rocsparse_index_base_b,"axG",@progbits,_ZN9rocsparseL19gebsrmvn_2xn_kernelILj128ELj16ELj4EfEEvi20rocsparse_direction_NS_24const_host_device_scalarIT2_EEPKiS6_PKS3_S8_S4_PS3_21rocsparse_index_base_b,comdat
	.globl	_ZN9rocsparseL19gebsrmvn_2xn_kernelILj128ELj16ELj4EfEEvi20rocsparse_direction_NS_24const_host_device_scalarIT2_EEPKiS6_PKS3_S8_S4_PS3_21rocsparse_index_base_b ; -- Begin function _ZN9rocsparseL19gebsrmvn_2xn_kernelILj128ELj16ELj4EfEEvi20rocsparse_direction_NS_24const_host_device_scalarIT2_EEPKiS6_PKS3_S8_S4_PS3_21rocsparse_index_base_b
	.p2align	8
	.type	_ZN9rocsparseL19gebsrmvn_2xn_kernelILj128ELj16ELj4EfEEvi20rocsparse_direction_NS_24const_host_device_scalarIT2_EEPKiS6_PKS3_S8_S4_PS3_21rocsparse_index_base_b,@function
_ZN9rocsparseL19gebsrmvn_2xn_kernelILj128ELj16ELj4EfEEvi20rocsparse_direction_NS_24const_host_device_scalarIT2_EEPKiS6_PKS3_S8_S4_PS3_21rocsparse_index_base_b: ; @_ZN9rocsparseL19gebsrmvn_2xn_kernelILj128ELj16ELj4EfEEvi20rocsparse_direction_NS_24const_host_device_scalarIT2_EEPKiS6_PKS3_S8_S4_PS3_21rocsparse_index_base_b
; %bb.0:
	s_load_dwordx2 s[18:19], s[4:5], 0x40
	s_load_dwordx2 s[16:17], s[4:5], 0x8
	;; [unrolled: 1-line block ×3, first 2 shown]
	s_waitcnt lgkmcnt(0)
	s_bitcmp1_b32 s19, 0
	s_cselect_b64 s[8:9], -1, 0
	s_xor_b64 s[0:1], s[8:9], -1
	s_and_b64 vcc, exec, s[8:9]
	s_cbranch_vccnz .LBB70_2
; %bb.1:
	s_load_dword s16, s[16:17], 0x0
.LBB70_2:
	s_andn2_b64 vcc, exec, s[0:1]
	s_cbranch_vccnz .LBB70_4
; %bb.3:
	s_load_dword s2, s[2:3], 0x0
.LBB70_4:
	s_waitcnt lgkmcnt(0)
	v_cmp_eq_f32_e64 s[0:1], s16, 0
	v_cmp_eq_f32_e64 s[8:9], s2, 1.0
	s_and_b64 s[0:1], s[0:1], s[8:9]
	s_and_b64 vcc, exec, s[0:1]
	s_cbranch_vccnz .LBB70_22
; %bb.5:
	s_load_dwordx2 s[0:1], s[4:5], 0x0
	v_lshrrev_b32_e32 v1, 2, v0
	v_lshl_or_b32 v1, s6, 5, v1
	s_waitcnt lgkmcnt(0)
	v_cmp_gt_i32_e32 vcc, s0, v1
	s_and_saveexec_b64 s[6:7], vcc
	s_cbranch_execz .LBB70_22
; %bb.6:
	s_load_dwordx8 s[8:15], s[4:5], 0x10
	v_ashrrev_i32_e32 v2, 31, v1
	v_lshlrev_b64 v[2:3], 2, v[1:2]
	v_and_b32_e32 v0, 3, v0
	s_cmp_lg_u32 s1, 0
	s_waitcnt lgkmcnt(0)
	v_mov_b32_e32 v4, s9
	v_add_co_u32_e32 v2, vcc, s8, v2
	v_addc_co_u32_e32 v3, vcc, v4, v3, vcc
	global_load_dwordx2 v[2:3], v[2:3], off
	s_waitcnt vmcnt(0)
	v_subrev_u32_e32 v2, s18, v2
	v_subrev_u32_e32 v7, s18, v3
	v_add_u32_e32 v2, v2, v0
	v_cmp_lt_i32_e64 s[0:1], v2, v7
	s_cbranch_scc0 .LBB70_12
; %bb.7:
	v_mov_b32_e32 v8, 0
	v_mov_b32_e32 v9, 0
	s_and_saveexec_b64 s[6:7], s[0:1]
	s_cbranch_execz .LBB70_11
; %bb.8:
	v_mov_b32_e32 v4, 0
	v_lshlrev_b32_e32 v3, 5, v2
	s_mov_b64 s[8:9], 0
	v_mov_b32_e32 v10, s11
	v_mov_b32_e32 v11, s13
	v_mov_b32_e32 v12, s15
	v_mov_b32_e32 v5, v2
	v_mov_b32_e32 v8, v4
	v_mov_b32_e32 v9, v4
.LBB70_9:                               ; =>This Inner Loop Header: Depth=1
	v_lshlrev_b64 v[13:14], 2, v[3:4]
	v_ashrrev_i32_e32 v6, 31, v5
	v_lshlrev_b64 v[15:16], 2, v[5:6]
	v_add_co_u32_e32 v21, vcc, s12, v13
	v_addc_co_u32_e32 v22, vcc, v11, v14, vcc
	v_add_co_u32_e32 v19, vcc, s10, v15
	v_addc_co_u32_e32 v20, vcc, v10, v16, vcc
	global_load_dwordx4 v[13:16], v[21:22], off
	global_load_dword v6, v[19:20], off
	v_mov_b32_e32 v18, v4
	v_add_u32_e32 v5, 4, v5
	v_add_u32_e32 v3, 0x80, v3
	s_waitcnt vmcnt(0)
	v_subrev_u32_e32 v6, s18, v6
	v_lshlrev_b32_e32 v17, 4, v6
	v_lshlrev_b64 v[17:18], 2, v[17:18]
	v_add_co_u32_e32 v23, vcc, s14, v17
	v_addc_co_u32_e32 v24, vcc, v12, v18, vcc
	global_load_dwordx4 v[17:20], v[23:24], off
	v_cmp_ge_i32_e32 vcc, v5, v7
	s_or_b64 s[8:9], vcc, s[8:9]
	s_waitcnt vmcnt(0)
	v_fmac_f32_e32 v8, v13, v17
	v_fmac_f32_e32 v9, v14, v17
	v_fmac_f32_e32 v8, v15, v18
	v_fmac_f32_e32 v9, v16, v18
	global_load_dwordx4 v[13:16], v[21:22], off offset:16
	s_waitcnt vmcnt(0)
	v_fmac_f32_e32 v8, v13, v19
	v_fmac_f32_e32 v9, v14, v19
	v_fmac_f32_e32 v8, v15, v20
	v_fmac_f32_e32 v9, v16, v20
	global_load_dwordx4 v[13:16], v[21:22], off offset:32
	global_load_dwordx4 v[17:20], v[23:24], off offset:16
	s_waitcnt vmcnt(0)
	v_fmac_f32_e32 v8, v13, v17
	v_fmac_f32_e32 v9, v14, v17
	v_fmac_f32_e32 v8, v15, v18
	v_fmac_f32_e32 v9, v16, v18
	global_load_dwordx4 v[13:16], v[21:22], off offset:48
	s_waitcnt vmcnt(0)
	v_fmac_f32_e32 v8, v13, v19
	v_fmac_f32_e32 v9, v14, v19
	v_fmac_f32_e32 v8, v15, v20
	v_fmac_f32_e32 v9, v16, v20
	global_load_dwordx4 v[13:16], v[21:22], off offset:64
	global_load_dwordx4 v[17:20], v[23:24], off offset:32
	;; [unrolled: 13-line block ×3, first 2 shown]
	s_waitcnt vmcnt(0)
	v_fmac_f32_e32 v8, v13, v17
	v_fmac_f32_e32 v9, v14, v17
	;; [unrolled: 1-line block ×4, first 2 shown]
	global_load_dwordx4 v[13:16], v[21:22], off offset:112
	s_waitcnt vmcnt(0)
	v_fmac_f32_e32 v8, v13, v19
	v_fmac_f32_e32 v9, v14, v19
	;; [unrolled: 1-line block ×4, first 2 shown]
	s_andn2_b64 exec, exec, s[8:9]
	s_cbranch_execnz .LBB70_9
; %bb.10:
	s_or_b64 exec, exec, s[8:9]
.LBB70_11:
	s_or_b64 exec, exec, s[6:7]
	s_cbranch_execz .LBB70_13
	s_branch .LBB70_18
.LBB70_12:
                                        ; implicit-def: $vgpr8
                                        ; implicit-def: $vgpr9
.LBB70_13:
	v_mov_b32_e32 v8, 0
	v_mov_b32_e32 v9, 0
	s_and_saveexec_b64 s[6:7], s[0:1]
	s_cbranch_execz .LBB70_17
; %bb.14:
	v_mov_b32_e32 v5, 0
	v_lshlrev_b32_e32 v4, 5, v2
	s_mov_b64 s[0:1], 0
	v_mov_b32_e32 v6, s11
	v_mov_b32_e32 v10, s13
	;; [unrolled: 1-line block ×5, first 2 shown]
.LBB70_15:                              ; =>This Inner Loop Header: Depth=1
	v_lshlrev_b64 v[12:13], 2, v[4:5]
	v_ashrrev_i32_e32 v3, 31, v2
	v_lshlrev_b64 v[14:15], 2, v[2:3]
	v_add_co_u32_e32 v20, vcc, s12, v12
	v_addc_co_u32_e32 v21, vcc, v10, v13, vcc
	v_add_co_u32_e32 v18, vcc, s10, v14
	v_addc_co_u32_e32 v19, vcc, v6, v15, vcc
	global_load_dwordx4 v[12:15], v[20:21], off
	global_load_dword v3, v[18:19], off
	v_mov_b32_e32 v17, v5
	v_add_u32_e32 v2, 4, v2
	v_add_u32_e32 v4, 0x80, v4
	s_waitcnt vmcnt(0)
	v_subrev_u32_e32 v3, s18, v3
	v_lshlrev_b32_e32 v16, 4, v3
	v_lshlrev_b64 v[16:17], 2, v[16:17]
	v_add_co_u32_e32 v22, vcc, s14, v16
	v_addc_co_u32_e32 v23, vcc, v11, v17, vcc
	global_load_dwordx4 v[16:19], v[22:23], off
	v_cmp_ge_i32_e32 vcc, v2, v7
	s_or_b64 s[0:1], vcc, s[0:1]
	s_waitcnt vmcnt(0)
	v_fmac_f32_e32 v8, v12, v16
	v_fmac_f32_e32 v8, v13, v17
	v_fmac_f32_e32 v8, v14, v18
	v_fmac_f32_e32 v8, v15, v19
	global_load_dwordx4 v[12:15], v[20:21], off offset:64
	s_waitcnt vmcnt(0)
	v_fmac_f32_e32 v9, v12, v16
	v_fmac_f32_e32 v9, v13, v17
	v_fmac_f32_e32 v9, v14, v18
	v_fmac_f32_e32 v9, v15, v19
	global_load_dwordx4 v[12:15], v[20:21], off offset:16
	global_load_dwordx4 v[16:19], v[22:23], off offset:16
	s_waitcnt vmcnt(0)
	v_fmac_f32_e32 v8, v12, v16
	v_fmac_f32_e32 v8, v13, v17
	v_fmac_f32_e32 v8, v14, v18
	v_fmac_f32_e32 v8, v15, v19
	global_load_dwordx4 v[12:15], v[20:21], off offset:80
	s_waitcnt vmcnt(0)
	v_fmac_f32_e32 v9, v12, v16
	v_fmac_f32_e32 v9, v13, v17
	v_fmac_f32_e32 v9, v14, v18
	v_fmac_f32_e32 v9, v15, v19
	global_load_dwordx4 v[12:15], v[20:21], off offset:32
	global_load_dwordx4 v[16:19], v[22:23], off offset:32
	;; [unrolled: 13-line block ×3, first 2 shown]
	s_waitcnt vmcnt(0)
	v_fmac_f32_e32 v8, v12, v16
	v_fmac_f32_e32 v8, v13, v17
	;; [unrolled: 1-line block ×4, first 2 shown]
	global_load_dwordx4 v[12:15], v[20:21], off offset:112
	s_waitcnt vmcnt(0)
	v_fmac_f32_e32 v9, v12, v16
	v_fmac_f32_e32 v9, v13, v17
	v_fmac_f32_e32 v9, v14, v18
	v_fmac_f32_e32 v9, v15, v19
	s_andn2_b64 exec, exec, s[0:1]
	s_cbranch_execnz .LBB70_15
; %bb.16:
	s_or_b64 exec, exec, s[0:1]
.LBB70_17:
	s_or_b64 exec, exec, s[6:7]
.LBB70_18:
	v_mov_b32_dpp v2, v8 row_shr:1 row_mask:0xf bank_mask:0xf
	v_mov_b32_dpp v4, v9 row_shr:1 row_mask:0xf bank_mask:0xf
	v_add_f32_e32 v2, v8, v2
	v_add_f32_e32 v4, v9, v4
	v_cmp_eq_u32_e32 vcc, 3, v0
	v_mov_b32_dpp v3, v2 row_shr:2 row_mask:0xf bank_mask:0xf
	v_mov_b32_dpp v5, v4 row_shr:2 row_mask:0xf bank_mask:0xf
	s_and_b64 exec, exec, vcc
	s_cbranch_execz .LBB70_22
; %bb.19:
	s_load_dwordx2 s[0:1], s[4:5], 0x38
	v_add_f32_e32 v0, v2, v3
	v_add_f32_e32 v3, v4, v5
	v_cmp_eq_f32_e64 s[4:5], s2, 0
	s_and_b64 vcc, exec, s[4:5]
	v_mul_f32_e32 v2, s16, v0
	v_mul_f32_e32 v3, s16, v3
	v_lshlrev_b32_e32 v0, 1, v1
	s_cbranch_vccz .LBB70_23
; %bb.20:
	v_ashrrev_i32_e32 v1, 31, v0
	v_lshlrev_b64 v[4:5], 2, v[0:1]
	s_waitcnt lgkmcnt(0)
	v_mov_b32_e32 v1, s1
	v_add_co_u32_e32 v4, vcc, s0, v4
	v_addc_co_u32_e32 v5, vcc, v1, v5, vcc
	global_store_dwordx2 v[4:5], v[2:3], off
	s_cbranch_execnz .LBB70_22
.LBB70_21:
	v_ashrrev_i32_e32 v1, 31, v0
	v_lshlrev_b64 v[0:1], 2, v[0:1]
	s_waitcnt lgkmcnt(0)
	v_mov_b32_e32 v4, s1
	v_add_co_u32_e32 v0, vcc, s0, v0
	v_addc_co_u32_e32 v1, vcc, v4, v1, vcc
	global_load_dwordx2 v[4:5], v[0:1], off
	s_waitcnt vmcnt(0)
	v_fmac_f32_e32 v2, s2, v4
	v_fmac_f32_e32 v3, s2, v5
	global_store_dwordx2 v[0:1], v[2:3], off
.LBB70_22:
	s_endpgm
.LBB70_23:
	s_branch .LBB70_21
	.section	.rodata,"a",@progbits
	.p2align	6, 0x0
	.amdhsa_kernel _ZN9rocsparseL19gebsrmvn_2xn_kernelILj128ELj16ELj4EfEEvi20rocsparse_direction_NS_24const_host_device_scalarIT2_EEPKiS6_PKS3_S8_S4_PS3_21rocsparse_index_base_b
		.amdhsa_group_segment_fixed_size 0
		.amdhsa_private_segment_fixed_size 0
		.amdhsa_kernarg_size 72
		.amdhsa_user_sgpr_count 6
		.amdhsa_user_sgpr_private_segment_buffer 1
		.amdhsa_user_sgpr_dispatch_ptr 0
		.amdhsa_user_sgpr_queue_ptr 0
		.amdhsa_user_sgpr_kernarg_segment_ptr 1
		.amdhsa_user_sgpr_dispatch_id 0
		.amdhsa_user_sgpr_flat_scratch_init 0
		.amdhsa_user_sgpr_private_segment_size 0
		.amdhsa_uses_dynamic_stack 0
		.amdhsa_system_sgpr_private_segment_wavefront_offset 0
		.amdhsa_system_sgpr_workgroup_id_x 1
		.amdhsa_system_sgpr_workgroup_id_y 0
		.amdhsa_system_sgpr_workgroup_id_z 0
		.amdhsa_system_sgpr_workgroup_info 0
		.amdhsa_system_vgpr_workitem_id 0
		.amdhsa_next_free_vgpr 25
		.amdhsa_next_free_sgpr 20
		.amdhsa_reserve_vcc 1
		.amdhsa_reserve_flat_scratch 0
		.amdhsa_float_round_mode_32 0
		.amdhsa_float_round_mode_16_64 0
		.amdhsa_float_denorm_mode_32 3
		.amdhsa_float_denorm_mode_16_64 3
		.amdhsa_dx10_clamp 1
		.amdhsa_ieee_mode 1
		.amdhsa_fp16_overflow 0
		.amdhsa_exception_fp_ieee_invalid_op 0
		.amdhsa_exception_fp_denorm_src 0
		.amdhsa_exception_fp_ieee_div_zero 0
		.amdhsa_exception_fp_ieee_overflow 0
		.amdhsa_exception_fp_ieee_underflow 0
		.amdhsa_exception_fp_ieee_inexact 0
		.amdhsa_exception_int_div_zero 0
	.end_amdhsa_kernel
	.section	.text._ZN9rocsparseL19gebsrmvn_2xn_kernelILj128ELj16ELj4EfEEvi20rocsparse_direction_NS_24const_host_device_scalarIT2_EEPKiS6_PKS3_S8_S4_PS3_21rocsparse_index_base_b,"axG",@progbits,_ZN9rocsparseL19gebsrmvn_2xn_kernelILj128ELj16ELj4EfEEvi20rocsparse_direction_NS_24const_host_device_scalarIT2_EEPKiS6_PKS3_S8_S4_PS3_21rocsparse_index_base_b,comdat
.Lfunc_end70:
	.size	_ZN9rocsparseL19gebsrmvn_2xn_kernelILj128ELj16ELj4EfEEvi20rocsparse_direction_NS_24const_host_device_scalarIT2_EEPKiS6_PKS3_S8_S4_PS3_21rocsparse_index_base_b, .Lfunc_end70-_ZN9rocsparseL19gebsrmvn_2xn_kernelILj128ELj16ELj4EfEEvi20rocsparse_direction_NS_24const_host_device_scalarIT2_EEPKiS6_PKS3_S8_S4_PS3_21rocsparse_index_base_b
                                        ; -- End function
	.set _ZN9rocsparseL19gebsrmvn_2xn_kernelILj128ELj16ELj4EfEEvi20rocsparse_direction_NS_24const_host_device_scalarIT2_EEPKiS6_PKS3_S8_S4_PS3_21rocsparse_index_base_b.num_vgpr, 25
	.set _ZN9rocsparseL19gebsrmvn_2xn_kernelILj128ELj16ELj4EfEEvi20rocsparse_direction_NS_24const_host_device_scalarIT2_EEPKiS6_PKS3_S8_S4_PS3_21rocsparse_index_base_b.num_agpr, 0
	.set _ZN9rocsparseL19gebsrmvn_2xn_kernelILj128ELj16ELj4EfEEvi20rocsparse_direction_NS_24const_host_device_scalarIT2_EEPKiS6_PKS3_S8_S4_PS3_21rocsparse_index_base_b.numbered_sgpr, 20
	.set _ZN9rocsparseL19gebsrmvn_2xn_kernelILj128ELj16ELj4EfEEvi20rocsparse_direction_NS_24const_host_device_scalarIT2_EEPKiS6_PKS3_S8_S4_PS3_21rocsparse_index_base_b.num_named_barrier, 0
	.set _ZN9rocsparseL19gebsrmvn_2xn_kernelILj128ELj16ELj4EfEEvi20rocsparse_direction_NS_24const_host_device_scalarIT2_EEPKiS6_PKS3_S8_S4_PS3_21rocsparse_index_base_b.private_seg_size, 0
	.set _ZN9rocsparseL19gebsrmvn_2xn_kernelILj128ELj16ELj4EfEEvi20rocsparse_direction_NS_24const_host_device_scalarIT2_EEPKiS6_PKS3_S8_S4_PS3_21rocsparse_index_base_b.uses_vcc, 1
	.set _ZN9rocsparseL19gebsrmvn_2xn_kernelILj128ELj16ELj4EfEEvi20rocsparse_direction_NS_24const_host_device_scalarIT2_EEPKiS6_PKS3_S8_S4_PS3_21rocsparse_index_base_b.uses_flat_scratch, 0
	.set _ZN9rocsparseL19gebsrmvn_2xn_kernelILj128ELj16ELj4EfEEvi20rocsparse_direction_NS_24const_host_device_scalarIT2_EEPKiS6_PKS3_S8_S4_PS3_21rocsparse_index_base_b.has_dyn_sized_stack, 0
	.set _ZN9rocsparseL19gebsrmvn_2xn_kernelILj128ELj16ELj4EfEEvi20rocsparse_direction_NS_24const_host_device_scalarIT2_EEPKiS6_PKS3_S8_S4_PS3_21rocsparse_index_base_b.has_recursion, 0
	.set _ZN9rocsparseL19gebsrmvn_2xn_kernelILj128ELj16ELj4EfEEvi20rocsparse_direction_NS_24const_host_device_scalarIT2_EEPKiS6_PKS3_S8_S4_PS3_21rocsparse_index_base_b.has_indirect_call, 0
	.section	.AMDGPU.csdata,"",@progbits
; Kernel info:
; codeLenInByte = 1264
; TotalNumSgprs: 24
; NumVgprs: 25
; ScratchSize: 0
; MemoryBound: 0
; FloatMode: 240
; IeeeMode: 1
; LDSByteSize: 0 bytes/workgroup (compile time only)
; SGPRBlocks: 2
; VGPRBlocks: 6
; NumSGPRsForWavesPerEU: 24
; NumVGPRsForWavesPerEU: 25
; Occupancy: 9
; WaveLimiterHint : 1
; COMPUTE_PGM_RSRC2:SCRATCH_EN: 0
; COMPUTE_PGM_RSRC2:USER_SGPR: 6
; COMPUTE_PGM_RSRC2:TRAP_HANDLER: 0
; COMPUTE_PGM_RSRC2:TGID_X_EN: 1
; COMPUTE_PGM_RSRC2:TGID_Y_EN: 0
; COMPUTE_PGM_RSRC2:TGID_Z_EN: 0
; COMPUTE_PGM_RSRC2:TIDIG_COMP_CNT: 0
	.section	.text._ZN9rocsparseL19gebsrmvn_2xn_kernelILj128ELj16ELj8EfEEvi20rocsparse_direction_NS_24const_host_device_scalarIT2_EEPKiS6_PKS3_S8_S4_PS3_21rocsparse_index_base_b,"axG",@progbits,_ZN9rocsparseL19gebsrmvn_2xn_kernelILj128ELj16ELj8EfEEvi20rocsparse_direction_NS_24const_host_device_scalarIT2_EEPKiS6_PKS3_S8_S4_PS3_21rocsparse_index_base_b,comdat
	.globl	_ZN9rocsparseL19gebsrmvn_2xn_kernelILj128ELj16ELj8EfEEvi20rocsparse_direction_NS_24const_host_device_scalarIT2_EEPKiS6_PKS3_S8_S4_PS3_21rocsparse_index_base_b ; -- Begin function _ZN9rocsparseL19gebsrmvn_2xn_kernelILj128ELj16ELj8EfEEvi20rocsparse_direction_NS_24const_host_device_scalarIT2_EEPKiS6_PKS3_S8_S4_PS3_21rocsparse_index_base_b
	.p2align	8
	.type	_ZN9rocsparseL19gebsrmvn_2xn_kernelILj128ELj16ELj8EfEEvi20rocsparse_direction_NS_24const_host_device_scalarIT2_EEPKiS6_PKS3_S8_S4_PS3_21rocsparse_index_base_b,@function
_ZN9rocsparseL19gebsrmvn_2xn_kernelILj128ELj16ELj8EfEEvi20rocsparse_direction_NS_24const_host_device_scalarIT2_EEPKiS6_PKS3_S8_S4_PS3_21rocsparse_index_base_b: ; @_ZN9rocsparseL19gebsrmvn_2xn_kernelILj128ELj16ELj8EfEEvi20rocsparse_direction_NS_24const_host_device_scalarIT2_EEPKiS6_PKS3_S8_S4_PS3_21rocsparse_index_base_b
; %bb.0:
	s_load_dwordx2 s[18:19], s[4:5], 0x40
	s_load_dwordx2 s[16:17], s[4:5], 0x8
	;; [unrolled: 1-line block ×3, first 2 shown]
	s_waitcnt lgkmcnt(0)
	s_bitcmp1_b32 s19, 0
	s_cselect_b64 s[8:9], -1, 0
	s_xor_b64 s[0:1], s[8:9], -1
	s_and_b64 vcc, exec, s[8:9]
	s_cbranch_vccnz .LBB71_2
; %bb.1:
	s_load_dword s16, s[16:17], 0x0
.LBB71_2:
	s_andn2_b64 vcc, exec, s[0:1]
	s_cbranch_vccnz .LBB71_4
; %bb.3:
	s_load_dword s2, s[2:3], 0x0
.LBB71_4:
	s_waitcnt lgkmcnt(0)
	v_cmp_eq_f32_e64 s[0:1], s16, 0
	v_cmp_eq_f32_e64 s[8:9], s2, 1.0
	s_and_b64 s[0:1], s[0:1], s[8:9]
	s_and_b64 vcc, exec, s[0:1]
	s_cbranch_vccnz .LBB71_22
; %bb.5:
	s_load_dwordx2 s[0:1], s[4:5], 0x0
	v_lshrrev_b32_e32 v1, 3, v0
	v_lshl_or_b32 v1, s6, 4, v1
	s_waitcnt lgkmcnt(0)
	v_cmp_gt_i32_e32 vcc, s0, v1
	s_and_saveexec_b64 s[6:7], vcc
	s_cbranch_execz .LBB71_22
; %bb.6:
	s_load_dwordx8 s[8:15], s[4:5], 0x10
	v_ashrrev_i32_e32 v2, 31, v1
	v_lshlrev_b64 v[2:3], 2, v[1:2]
	v_and_b32_e32 v0, 7, v0
	s_cmp_lg_u32 s1, 0
	s_waitcnt lgkmcnt(0)
	v_mov_b32_e32 v4, s9
	v_add_co_u32_e32 v2, vcc, s8, v2
	v_addc_co_u32_e32 v3, vcc, v4, v3, vcc
	global_load_dwordx2 v[2:3], v[2:3], off
	s_waitcnt vmcnt(0)
	v_subrev_u32_e32 v2, s18, v2
	v_subrev_u32_e32 v7, s18, v3
	v_add_u32_e32 v2, v2, v0
	v_cmp_lt_i32_e64 s[0:1], v2, v7
	s_cbranch_scc0 .LBB71_12
; %bb.7:
	v_mov_b32_e32 v8, 0
	v_mov_b32_e32 v9, 0
	s_and_saveexec_b64 s[6:7], s[0:1]
	s_cbranch_execz .LBB71_11
; %bb.8:
	v_mov_b32_e32 v4, 0
	v_lshlrev_b32_e32 v3, 5, v2
	s_mov_b64 s[8:9], 0
	v_mov_b32_e32 v10, s11
	v_mov_b32_e32 v11, s13
	;; [unrolled: 1-line block ×6, first 2 shown]
.LBB71_9:                               ; =>This Inner Loop Header: Depth=1
	v_lshlrev_b64 v[13:14], 2, v[3:4]
	v_ashrrev_i32_e32 v6, 31, v5
	v_lshlrev_b64 v[15:16], 2, v[5:6]
	v_add_co_u32_e32 v21, vcc, s12, v13
	v_addc_co_u32_e32 v22, vcc, v11, v14, vcc
	v_add_co_u32_e32 v19, vcc, s10, v15
	v_addc_co_u32_e32 v20, vcc, v10, v16, vcc
	global_load_dwordx4 v[13:16], v[21:22], off
	global_load_dword v6, v[19:20], off
	v_mov_b32_e32 v18, v4
	v_add_u32_e32 v5, 8, v5
	v_add_u32_e32 v3, 0x100, v3
	s_waitcnt vmcnt(0)
	v_subrev_u32_e32 v6, s18, v6
	v_lshlrev_b32_e32 v17, 4, v6
	v_lshlrev_b64 v[17:18], 2, v[17:18]
	v_add_co_u32_e32 v23, vcc, s14, v17
	v_addc_co_u32_e32 v24, vcc, v12, v18, vcc
	global_load_dwordx4 v[17:20], v[23:24], off
	v_cmp_ge_i32_e32 vcc, v5, v7
	s_or_b64 s[8:9], vcc, s[8:9]
	s_waitcnt vmcnt(0)
	v_fmac_f32_e32 v8, v13, v17
	v_fmac_f32_e32 v9, v14, v17
	v_fmac_f32_e32 v8, v15, v18
	v_fmac_f32_e32 v9, v16, v18
	global_load_dwordx4 v[13:16], v[21:22], off offset:16
	s_waitcnt vmcnt(0)
	v_fmac_f32_e32 v8, v13, v19
	v_fmac_f32_e32 v9, v14, v19
	v_fmac_f32_e32 v8, v15, v20
	v_fmac_f32_e32 v9, v16, v20
	global_load_dwordx4 v[13:16], v[21:22], off offset:32
	global_load_dwordx4 v[17:20], v[23:24], off offset:16
	s_waitcnt vmcnt(0)
	v_fmac_f32_e32 v8, v13, v17
	v_fmac_f32_e32 v9, v14, v17
	v_fmac_f32_e32 v8, v15, v18
	v_fmac_f32_e32 v9, v16, v18
	global_load_dwordx4 v[13:16], v[21:22], off offset:48
	s_waitcnt vmcnt(0)
	v_fmac_f32_e32 v8, v13, v19
	v_fmac_f32_e32 v9, v14, v19
	v_fmac_f32_e32 v8, v15, v20
	v_fmac_f32_e32 v9, v16, v20
	global_load_dwordx4 v[13:16], v[21:22], off offset:64
	global_load_dwordx4 v[17:20], v[23:24], off offset:32
	;; [unrolled: 13-line block ×3, first 2 shown]
	s_waitcnt vmcnt(0)
	v_fmac_f32_e32 v8, v13, v17
	v_fmac_f32_e32 v9, v14, v17
	;; [unrolled: 1-line block ×4, first 2 shown]
	global_load_dwordx4 v[13:16], v[21:22], off offset:112
	s_waitcnt vmcnt(0)
	v_fmac_f32_e32 v8, v13, v19
	v_fmac_f32_e32 v9, v14, v19
	;; [unrolled: 1-line block ×4, first 2 shown]
	s_andn2_b64 exec, exec, s[8:9]
	s_cbranch_execnz .LBB71_9
; %bb.10:
	s_or_b64 exec, exec, s[8:9]
.LBB71_11:
	s_or_b64 exec, exec, s[6:7]
	s_cbranch_execz .LBB71_13
	s_branch .LBB71_18
.LBB71_12:
                                        ; implicit-def: $vgpr8
                                        ; implicit-def: $vgpr9
.LBB71_13:
	v_mov_b32_e32 v8, 0
	v_mov_b32_e32 v9, 0
	s_and_saveexec_b64 s[6:7], s[0:1]
	s_cbranch_execz .LBB71_17
; %bb.14:
	v_mov_b32_e32 v5, 0
	v_lshlrev_b32_e32 v4, 5, v2
	s_mov_b64 s[0:1], 0
	v_mov_b32_e32 v6, s11
	v_mov_b32_e32 v10, s13
	;; [unrolled: 1-line block ×5, first 2 shown]
.LBB71_15:                              ; =>This Inner Loop Header: Depth=1
	v_lshlrev_b64 v[12:13], 2, v[4:5]
	v_ashrrev_i32_e32 v3, 31, v2
	v_lshlrev_b64 v[14:15], 2, v[2:3]
	v_add_co_u32_e32 v20, vcc, s12, v12
	v_addc_co_u32_e32 v21, vcc, v10, v13, vcc
	v_add_co_u32_e32 v18, vcc, s10, v14
	v_addc_co_u32_e32 v19, vcc, v6, v15, vcc
	global_load_dwordx4 v[12:15], v[20:21], off
	global_load_dword v3, v[18:19], off
	v_mov_b32_e32 v17, v5
	v_add_u32_e32 v2, 8, v2
	v_add_u32_e32 v4, 0x100, v4
	s_waitcnt vmcnt(0)
	v_subrev_u32_e32 v3, s18, v3
	v_lshlrev_b32_e32 v16, 4, v3
	v_lshlrev_b64 v[16:17], 2, v[16:17]
	v_add_co_u32_e32 v22, vcc, s14, v16
	v_addc_co_u32_e32 v23, vcc, v11, v17, vcc
	global_load_dwordx4 v[16:19], v[22:23], off
	v_cmp_ge_i32_e32 vcc, v2, v7
	s_or_b64 s[0:1], vcc, s[0:1]
	s_waitcnt vmcnt(0)
	v_fmac_f32_e32 v8, v12, v16
	v_fmac_f32_e32 v8, v13, v17
	v_fmac_f32_e32 v8, v14, v18
	v_fmac_f32_e32 v8, v15, v19
	global_load_dwordx4 v[12:15], v[20:21], off offset:64
	s_waitcnt vmcnt(0)
	v_fmac_f32_e32 v9, v12, v16
	v_fmac_f32_e32 v9, v13, v17
	v_fmac_f32_e32 v9, v14, v18
	v_fmac_f32_e32 v9, v15, v19
	global_load_dwordx4 v[12:15], v[20:21], off offset:16
	global_load_dwordx4 v[16:19], v[22:23], off offset:16
	s_waitcnt vmcnt(0)
	v_fmac_f32_e32 v8, v12, v16
	v_fmac_f32_e32 v8, v13, v17
	v_fmac_f32_e32 v8, v14, v18
	v_fmac_f32_e32 v8, v15, v19
	global_load_dwordx4 v[12:15], v[20:21], off offset:80
	s_waitcnt vmcnt(0)
	v_fmac_f32_e32 v9, v12, v16
	v_fmac_f32_e32 v9, v13, v17
	v_fmac_f32_e32 v9, v14, v18
	v_fmac_f32_e32 v9, v15, v19
	global_load_dwordx4 v[12:15], v[20:21], off offset:32
	global_load_dwordx4 v[16:19], v[22:23], off offset:32
	;; [unrolled: 13-line block ×3, first 2 shown]
	s_waitcnt vmcnt(0)
	v_fmac_f32_e32 v8, v12, v16
	v_fmac_f32_e32 v8, v13, v17
	v_fmac_f32_e32 v8, v14, v18
	v_fmac_f32_e32 v8, v15, v19
	global_load_dwordx4 v[12:15], v[20:21], off offset:112
	s_waitcnt vmcnt(0)
	v_fmac_f32_e32 v9, v12, v16
	v_fmac_f32_e32 v9, v13, v17
	;; [unrolled: 1-line block ×4, first 2 shown]
	s_andn2_b64 exec, exec, s[0:1]
	s_cbranch_execnz .LBB71_15
; %bb.16:
	s_or_b64 exec, exec, s[0:1]
.LBB71_17:
	s_or_b64 exec, exec, s[6:7]
.LBB71_18:
	v_mov_b32_dpp v2, v8 row_shr:1 row_mask:0xf bank_mask:0xf
	v_mov_b32_dpp v4, v9 row_shr:1 row_mask:0xf bank_mask:0xf
	v_add_f32_e32 v2, v8, v2
	v_add_f32_e32 v4, v9, v4
	v_cmp_eq_u32_e32 vcc, 7, v0
	v_mov_b32_dpp v3, v2 row_shr:2 row_mask:0xf bank_mask:0xf
	v_mov_b32_dpp v5, v4 row_shr:2 row_mask:0xf bank_mask:0xf
	v_add_f32_e32 v2, v2, v3
	v_add_f32_e32 v4, v4, v5
	s_nop 0
	v_mov_b32_dpp v3, v2 row_shr:4 row_mask:0xf bank_mask:0xe
	v_mov_b32_dpp v5, v4 row_shr:4 row_mask:0xf bank_mask:0xe
	s_and_b64 exec, exec, vcc
	s_cbranch_execz .LBB71_22
; %bb.19:
	s_load_dwordx2 s[0:1], s[4:5], 0x38
	v_add_f32_e32 v0, v2, v3
	v_add_f32_e32 v3, v4, v5
	v_cmp_eq_f32_e64 s[4:5], s2, 0
	s_and_b64 vcc, exec, s[4:5]
	v_mul_f32_e32 v2, s16, v0
	v_mul_f32_e32 v3, s16, v3
	v_lshlrev_b32_e32 v0, 1, v1
	s_cbranch_vccz .LBB71_23
; %bb.20:
	v_ashrrev_i32_e32 v1, 31, v0
	v_lshlrev_b64 v[4:5], 2, v[0:1]
	s_waitcnt lgkmcnt(0)
	v_mov_b32_e32 v1, s1
	v_add_co_u32_e32 v4, vcc, s0, v4
	v_addc_co_u32_e32 v5, vcc, v1, v5, vcc
	global_store_dwordx2 v[4:5], v[2:3], off
	s_cbranch_execnz .LBB71_22
.LBB71_21:
	v_ashrrev_i32_e32 v1, 31, v0
	v_lshlrev_b64 v[0:1], 2, v[0:1]
	s_waitcnt lgkmcnt(0)
	v_mov_b32_e32 v4, s1
	v_add_co_u32_e32 v0, vcc, s0, v0
	v_addc_co_u32_e32 v1, vcc, v4, v1, vcc
	global_load_dwordx2 v[4:5], v[0:1], off
	s_waitcnt vmcnt(0)
	v_fmac_f32_e32 v2, s2, v4
	v_fmac_f32_e32 v3, s2, v5
	global_store_dwordx2 v[0:1], v[2:3], off
.LBB71_22:
	s_endpgm
.LBB71_23:
	s_branch .LBB71_21
	.section	.rodata,"a",@progbits
	.p2align	6, 0x0
	.amdhsa_kernel _ZN9rocsparseL19gebsrmvn_2xn_kernelILj128ELj16ELj8EfEEvi20rocsparse_direction_NS_24const_host_device_scalarIT2_EEPKiS6_PKS3_S8_S4_PS3_21rocsparse_index_base_b
		.amdhsa_group_segment_fixed_size 0
		.amdhsa_private_segment_fixed_size 0
		.amdhsa_kernarg_size 72
		.amdhsa_user_sgpr_count 6
		.amdhsa_user_sgpr_private_segment_buffer 1
		.amdhsa_user_sgpr_dispatch_ptr 0
		.amdhsa_user_sgpr_queue_ptr 0
		.amdhsa_user_sgpr_kernarg_segment_ptr 1
		.amdhsa_user_sgpr_dispatch_id 0
		.amdhsa_user_sgpr_flat_scratch_init 0
		.amdhsa_user_sgpr_private_segment_size 0
		.amdhsa_uses_dynamic_stack 0
		.amdhsa_system_sgpr_private_segment_wavefront_offset 0
		.amdhsa_system_sgpr_workgroup_id_x 1
		.amdhsa_system_sgpr_workgroup_id_y 0
		.amdhsa_system_sgpr_workgroup_id_z 0
		.amdhsa_system_sgpr_workgroup_info 0
		.amdhsa_system_vgpr_workitem_id 0
		.amdhsa_next_free_vgpr 25
		.amdhsa_next_free_sgpr 20
		.amdhsa_reserve_vcc 1
		.amdhsa_reserve_flat_scratch 0
		.amdhsa_float_round_mode_32 0
		.amdhsa_float_round_mode_16_64 0
		.amdhsa_float_denorm_mode_32 3
		.amdhsa_float_denorm_mode_16_64 3
		.amdhsa_dx10_clamp 1
		.amdhsa_ieee_mode 1
		.amdhsa_fp16_overflow 0
		.amdhsa_exception_fp_ieee_invalid_op 0
		.amdhsa_exception_fp_denorm_src 0
		.amdhsa_exception_fp_ieee_div_zero 0
		.amdhsa_exception_fp_ieee_overflow 0
		.amdhsa_exception_fp_ieee_underflow 0
		.amdhsa_exception_fp_ieee_inexact 0
		.amdhsa_exception_int_div_zero 0
	.end_amdhsa_kernel
	.section	.text._ZN9rocsparseL19gebsrmvn_2xn_kernelILj128ELj16ELj8EfEEvi20rocsparse_direction_NS_24const_host_device_scalarIT2_EEPKiS6_PKS3_S8_S4_PS3_21rocsparse_index_base_b,"axG",@progbits,_ZN9rocsparseL19gebsrmvn_2xn_kernelILj128ELj16ELj8EfEEvi20rocsparse_direction_NS_24const_host_device_scalarIT2_EEPKiS6_PKS3_S8_S4_PS3_21rocsparse_index_base_b,comdat
.Lfunc_end71:
	.size	_ZN9rocsparseL19gebsrmvn_2xn_kernelILj128ELj16ELj8EfEEvi20rocsparse_direction_NS_24const_host_device_scalarIT2_EEPKiS6_PKS3_S8_S4_PS3_21rocsparse_index_base_b, .Lfunc_end71-_ZN9rocsparseL19gebsrmvn_2xn_kernelILj128ELj16ELj8EfEEvi20rocsparse_direction_NS_24const_host_device_scalarIT2_EEPKiS6_PKS3_S8_S4_PS3_21rocsparse_index_base_b
                                        ; -- End function
	.set _ZN9rocsparseL19gebsrmvn_2xn_kernelILj128ELj16ELj8EfEEvi20rocsparse_direction_NS_24const_host_device_scalarIT2_EEPKiS6_PKS3_S8_S4_PS3_21rocsparse_index_base_b.num_vgpr, 25
	.set _ZN9rocsparseL19gebsrmvn_2xn_kernelILj128ELj16ELj8EfEEvi20rocsparse_direction_NS_24const_host_device_scalarIT2_EEPKiS6_PKS3_S8_S4_PS3_21rocsparse_index_base_b.num_agpr, 0
	.set _ZN9rocsparseL19gebsrmvn_2xn_kernelILj128ELj16ELj8EfEEvi20rocsparse_direction_NS_24const_host_device_scalarIT2_EEPKiS6_PKS3_S8_S4_PS3_21rocsparse_index_base_b.numbered_sgpr, 20
	.set _ZN9rocsparseL19gebsrmvn_2xn_kernelILj128ELj16ELj8EfEEvi20rocsparse_direction_NS_24const_host_device_scalarIT2_EEPKiS6_PKS3_S8_S4_PS3_21rocsparse_index_base_b.num_named_barrier, 0
	.set _ZN9rocsparseL19gebsrmvn_2xn_kernelILj128ELj16ELj8EfEEvi20rocsparse_direction_NS_24const_host_device_scalarIT2_EEPKiS6_PKS3_S8_S4_PS3_21rocsparse_index_base_b.private_seg_size, 0
	.set _ZN9rocsparseL19gebsrmvn_2xn_kernelILj128ELj16ELj8EfEEvi20rocsparse_direction_NS_24const_host_device_scalarIT2_EEPKiS6_PKS3_S8_S4_PS3_21rocsparse_index_base_b.uses_vcc, 1
	.set _ZN9rocsparseL19gebsrmvn_2xn_kernelILj128ELj16ELj8EfEEvi20rocsparse_direction_NS_24const_host_device_scalarIT2_EEPKiS6_PKS3_S8_S4_PS3_21rocsparse_index_base_b.uses_flat_scratch, 0
	.set _ZN9rocsparseL19gebsrmvn_2xn_kernelILj128ELj16ELj8EfEEvi20rocsparse_direction_NS_24const_host_device_scalarIT2_EEPKiS6_PKS3_S8_S4_PS3_21rocsparse_index_base_b.has_dyn_sized_stack, 0
	.set _ZN9rocsparseL19gebsrmvn_2xn_kernelILj128ELj16ELj8EfEEvi20rocsparse_direction_NS_24const_host_device_scalarIT2_EEPKiS6_PKS3_S8_S4_PS3_21rocsparse_index_base_b.has_recursion, 0
	.set _ZN9rocsparseL19gebsrmvn_2xn_kernelILj128ELj16ELj8EfEEvi20rocsparse_direction_NS_24const_host_device_scalarIT2_EEPKiS6_PKS3_S8_S4_PS3_21rocsparse_index_base_b.has_indirect_call, 0
	.section	.AMDGPU.csdata,"",@progbits
; Kernel info:
; codeLenInByte = 1292
; TotalNumSgprs: 24
; NumVgprs: 25
; ScratchSize: 0
; MemoryBound: 0
; FloatMode: 240
; IeeeMode: 1
; LDSByteSize: 0 bytes/workgroup (compile time only)
; SGPRBlocks: 2
; VGPRBlocks: 6
; NumSGPRsForWavesPerEU: 24
; NumVGPRsForWavesPerEU: 25
; Occupancy: 9
; WaveLimiterHint : 1
; COMPUTE_PGM_RSRC2:SCRATCH_EN: 0
; COMPUTE_PGM_RSRC2:USER_SGPR: 6
; COMPUTE_PGM_RSRC2:TRAP_HANDLER: 0
; COMPUTE_PGM_RSRC2:TGID_X_EN: 1
; COMPUTE_PGM_RSRC2:TGID_Y_EN: 0
; COMPUTE_PGM_RSRC2:TGID_Z_EN: 0
; COMPUTE_PGM_RSRC2:TIDIG_COMP_CNT: 0
	.section	.text._ZN9rocsparseL19gebsrmvn_2xn_kernelILj128ELj16ELj16EfEEvi20rocsparse_direction_NS_24const_host_device_scalarIT2_EEPKiS6_PKS3_S8_S4_PS3_21rocsparse_index_base_b,"axG",@progbits,_ZN9rocsparseL19gebsrmvn_2xn_kernelILj128ELj16ELj16EfEEvi20rocsparse_direction_NS_24const_host_device_scalarIT2_EEPKiS6_PKS3_S8_S4_PS3_21rocsparse_index_base_b,comdat
	.globl	_ZN9rocsparseL19gebsrmvn_2xn_kernelILj128ELj16ELj16EfEEvi20rocsparse_direction_NS_24const_host_device_scalarIT2_EEPKiS6_PKS3_S8_S4_PS3_21rocsparse_index_base_b ; -- Begin function _ZN9rocsparseL19gebsrmvn_2xn_kernelILj128ELj16ELj16EfEEvi20rocsparse_direction_NS_24const_host_device_scalarIT2_EEPKiS6_PKS3_S8_S4_PS3_21rocsparse_index_base_b
	.p2align	8
	.type	_ZN9rocsparseL19gebsrmvn_2xn_kernelILj128ELj16ELj16EfEEvi20rocsparse_direction_NS_24const_host_device_scalarIT2_EEPKiS6_PKS3_S8_S4_PS3_21rocsparse_index_base_b,@function
_ZN9rocsparseL19gebsrmvn_2xn_kernelILj128ELj16ELj16EfEEvi20rocsparse_direction_NS_24const_host_device_scalarIT2_EEPKiS6_PKS3_S8_S4_PS3_21rocsparse_index_base_b: ; @_ZN9rocsparseL19gebsrmvn_2xn_kernelILj128ELj16ELj16EfEEvi20rocsparse_direction_NS_24const_host_device_scalarIT2_EEPKiS6_PKS3_S8_S4_PS3_21rocsparse_index_base_b
; %bb.0:
	s_load_dwordx2 s[18:19], s[4:5], 0x40
	s_load_dwordx2 s[16:17], s[4:5], 0x8
	s_load_dwordx2 s[2:3], s[4:5], 0x30
	s_waitcnt lgkmcnt(0)
	s_bitcmp1_b32 s19, 0
	s_cselect_b64 s[8:9], -1, 0
	s_xor_b64 s[0:1], s[8:9], -1
	s_and_b64 vcc, exec, s[8:9]
	s_cbranch_vccnz .LBB72_2
; %bb.1:
	s_load_dword s16, s[16:17], 0x0
.LBB72_2:
	s_andn2_b64 vcc, exec, s[0:1]
	s_cbranch_vccnz .LBB72_4
; %bb.3:
	s_load_dword s2, s[2:3], 0x0
.LBB72_4:
	s_waitcnt lgkmcnt(0)
	v_cmp_eq_f32_e64 s[0:1], s16, 0
	v_cmp_eq_f32_e64 s[8:9], s2, 1.0
	s_and_b64 s[0:1], s[0:1], s[8:9]
	s_and_b64 vcc, exec, s[0:1]
	s_cbranch_vccnz .LBB72_22
; %bb.5:
	s_load_dwordx2 s[0:1], s[4:5], 0x0
	v_lshrrev_b32_e32 v1, 4, v0
	v_lshl_or_b32 v1, s6, 3, v1
	s_waitcnt lgkmcnt(0)
	v_cmp_gt_i32_e32 vcc, s0, v1
	s_and_saveexec_b64 s[6:7], vcc
	s_cbranch_execz .LBB72_22
; %bb.6:
	s_load_dwordx8 s[8:15], s[4:5], 0x10
	v_ashrrev_i32_e32 v2, 31, v1
	v_lshlrev_b64 v[2:3], 2, v[1:2]
	v_and_b32_e32 v0, 15, v0
	s_cmp_lg_u32 s1, 0
	s_waitcnt lgkmcnt(0)
	v_mov_b32_e32 v4, s9
	v_add_co_u32_e32 v2, vcc, s8, v2
	v_addc_co_u32_e32 v3, vcc, v4, v3, vcc
	global_load_dwordx2 v[2:3], v[2:3], off
	s_waitcnt vmcnt(0)
	v_subrev_u32_e32 v2, s18, v2
	v_subrev_u32_e32 v7, s18, v3
	v_add_u32_e32 v2, v2, v0
	v_cmp_lt_i32_e64 s[0:1], v2, v7
	s_cbranch_scc0 .LBB72_12
; %bb.7:
	v_mov_b32_e32 v8, 0
	v_mov_b32_e32 v9, 0
	s_and_saveexec_b64 s[6:7], s[0:1]
	s_cbranch_execz .LBB72_11
; %bb.8:
	v_mov_b32_e32 v4, 0
	v_lshlrev_b32_e32 v3, 5, v2
	s_mov_b64 s[8:9], 0
	v_mov_b32_e32 v10, s11
	v_mov_b32_e32 v11, s13
	;; [unrolled: 1-line block ×6, first 2 shown]
.LBB72_9:                               ; =>This Inner Loop Header: Depth=1
	v_lshlrev_b64 v[13:14], 2, v[3:4]
	v_ashrrev_i32_e32 v6, 31, v5
	v_lshlrev_b64 v[15:16], 2, v[5:6]
	v_add_co_u32_e32 v21, vcc, s12, v13
	v_addc_co_u32_e32 v22, vcc, v11, v14, vcc
	v_add_co_u32_e32 v19, vcc, s10, v15
	v_addc_co_u32_e32 v20, vcc, v10, v16, vcc
	global_load_dwordx4 v[13:16], v[21:22], off
	global_load_dword v6, v[19:20], off
	v_mov_b32_e32 v18, v4
	v_add_u32_e32 v5, 16, v5
	v_add_u32_e32 v3, 0x200, v3
	s_waitcnt vmcnt(0)
	v_subrev_u32_e32 v6, s18, v6
	v_lshlrev_b32_e32 v17, 4, v6
	v_lshlrev_b64 v[17:18], 2, v[17:18]
	v_add_co_u32_e32 v23, vcc, s14, v17
	v_addc_co_u32_e32 v24, vcc, v12, v18, vcc
	global_load_dwordx4 v[17:20], v[23:24], off
	v_cmp_ge_i32_e32 vcc, v5, v7
	s_or_b64 s[8:9], vcc, s[8:9]
	s_waitcnt vmcnt(0)
	v_fmac_f32_e32 v8, v13, v17
	v_fmac_f32_e32 v9, v14, v17
	v_fmac_f32_e32 v8, v15, v18
	v_fmac_f32_e32 v9, v16, v18
	global_load_dwordx4 v[13:16], v[21:22], off offset:16
	s_waitcnt vmcnt(0)
	v_fmac_f32_e32 v8, v13, v19
	v_fmac_f32_e32 v9, v14, v19
	v_fmac_f32_e32 v8, v15, v20
	v_fmac_f32_e32 v9, v16, v20
	global_load_dwordx4 v[13:16], v[21:22], off offset:32
	global_load_dwordx4 v[17:20], v[23:24], off offset:16
	s_waitcnt vmcnt(0)
	v_fmac_f32_e32 v8, v13, v17
	v_fmac_f32_e32 v9, v14, v17
	v_fmac_f32_e32 v8, v15, v18
	v_fmac_f32_e32 v9, v16, v18
	global_load_dwordx4 v[13:16], v[21:22], off offset:48
	s_waitcnt vmcnt(0)
	v_fmac_f32_e32 v8, v13, v19
	v_fmac_f32_e32 v9, v14, v19
	v_fmac_f32_e32 v8, v15, v20
	v_fmac_f32_e32 v9, v16, v20
	global_load_dwordx4 v[13:16], v[21:22], off offset:64
	global_load_dwordx4 v[17:20], v[23:24], off offset:32
	;; [unrolled: 13-line block ×3, first 2 shown]
	s_waitcnt vmcnt(0)
	v_fmac_f32_e32 v8, v13, v17
	v_fmac_f32_e32 v9, v14, v17
	;; [unrolled: 1-line block ×4, first 2 shown]
	global_load_dwordx4 v[13:16], v[21:22], off offset:112
	s_waitcnt vmcnt(0)
	v_fmac_f32_e32 v8, v13, v19
	v_fmac_f32_e32 v9, v14, v19
	v_fmac_f32_e32 v8, v15, v20
	v_fmac_f32_e32 v9, v16, v20
	s_andn2_b64 exec, exec, s[8:9]
	s_cbranch_execnz .LBB72_9
; %bb.10:
	s_or_b64 exec, exec, s[8:9]
.LBB72_11:
	s_or_b64 exec, exec, s[6:7]
	s_cbranch_execz .LBB72_13
	s_branch .LBB72_18
.LBB72_12:
                                        ; implicit-def: $vgpr8
                                        ; implicit-def: $vgpr9
.LBB72_13:
	v_mov_b32_e32 v8, 0
	v_mov_b32_e32 v9, 0
	s_and_saveexec_b64 s[6:7], s[0:1]
	s_cbranch_execz .LBB72_17
; %bb.14:
	v_mov_b32_e32 v5, 0
	v_lshlrev_b32_e32 v4, 5, v2
	s_mov_b64 s[0:1], 0
	v_mov_b32_e32 v6, s11
	v_mov_b32_e32 v10, s13
	v_mov_b32_e32 v11, s15
	v_mov_b32_e32 v8, v5
	v_mov_b32_e32 v9, v5
.LBB72_15:                              ; =>This Inner Loop Header: Depth=1
	v_lshlrev_b64 v[12:13], 2, v[4:5]
	v_ashrrev_i32_e32 v3, 31, v2
	v_lshlrev_b64 v[14:15], 2, v[2:3]
	v_add_co_u32_e32 v20, vcc, s12, v12
	v_addc_co_u32_e32 v21, vcc, v10, v13, vcc
	v_add_co_u32_e32 v18, vcc, s10, v14
	v_addc_co_u32_e32 v19, vcc, v6, v15, vcc
	global_load_dwordx4 v[12:15], v[20:21], off
	global_load_dword v3, v[18:19], off
	v_mov_b32_e32 v17, v5
	v_add_u32_e32 v2, 16, v2
	v_add_u32_e32 v4, 0x200, v4
	s_waitcnt vmcnt(0)
	v_subrev_u32_e32 v3, s18, v3
	v_lshlrev_b32_e32 v16, 4, v3
	v_lshlrev_b64 v[16:17], 2, v[16:17]
	v_add_co_u32_e32 v22, vcc, s14, v16
	v_addc_co_u32_e32 v23, vcc, v11, v17, vcc
	global_load_dwordx4 v[16:19], v[22:23], off
	v_cmp_ge_i32_e32 vcc, v2, v7
	s_or_b64 s[0:1], vcc, s[0:1]
	s_waitcnt vmcnt(0)
	v_fmac_f32_e32 v8, v12, v16
	v_fmac_f32_e32 v8, v13, v17
	v_fmac_f32_e32 v8, v14, v18
	v_fmac_f32_e32 v8, v15, v19
	global_load_dwordx4 v[12:15], v[20:21], off offset:64
	s_waitcnt vmcnt(0)
	v_fmac_f32_e32 v9, v12, v16
	v_fmac_f32_e32 v9, v13, v17
	v_fmac_f32_e32 v9, v14, v18
	v_fmac_f32_e32 v9, v15, v19
	global_load_dwordx4 v[12:15], v[20:21], off offset:16
	global_load_dwordx4 v[16:19], v[22:23], off offset:16
	s_waitcnt vmcnt(0)
	v_fmac_f32_e32 v8, v12, v16
	v_fmac_f32_e32 v8, v13, v17
	v_fmac_f32_e32 v8, v14, v18
	v_fmac_f32_e32 v8, v15, v19
	global_load_dwordx4 v[12:15], v[20:21], off offset:80
	s_waitcnt vmcnt(0)
	v_fmac_f32_e32 v9, v12, v16
	v_fmac_f32_e32 v9, v13, v17
	v_fmac_f32_e32 v9, v14, v18
	v_fmac_f32_e32 v9, v15, v19
	global_load_dwordx4 v[12:15], v[20:21], off offset:32
	global_load_dwordx4 v[16:19], v[22:23], off offset:32
	;; [unrolled: 13-line block ×3, first 2 shown]
	s_waitcnt vmcnt(0)
	v_fmac_f32_e32 v8, v12, v16
	v_fmac_f32_e32 v8, v13, v17
	;; [unrolled: 1-line block ×4, first 2 shown]
	global_load_dwordx4 v[12:15], v[20:21], off offset:112
	s_waitcnt vmcnt(0)
	v_fmac_f32_e32 v9, v12, v16
	v_fmac_f32_e32 v9, v13, v17
	;; [unrolled: 1-line block ×4, first 2 shown]
	s_andn2_b64 exec, exec, s[0:1]
	s_cbranch_execnz .LBB72_15
; %bb.16:
	s_or_b64 exec, exec, s[0:1]
.LBB72_17:
	s_or_b64 exec, exec, s[6:7]
.LBB72_18:
	v_mov_b32_dpp v2, v8 row_shr:1 row_mask:0xf bank_mask:0xf
	v_mov_b32_dpp v4, v9 row_shr:1 row_mask:0xf bank_mask:0xf
	v_add_f32_e32 v2, v8, v2
	v_add_f32_e32 v4, v9, v4
	v_cmp_eq_u32_e32 vcc, 15, v0
	v_mov_b32_dpp v3, v2 row_shr:2 row_mask:0xf bank_mask:0xf
	v_mov_b32_dpp v5, v4 row_shr:2 row_mask:0xf bank_mask:0xf
	v_add_f32_e32 v2, v2, v3
	v_add_f32_e32 v4, v4, v5
	s_nop 0
	v_mov_b32_dpp v3, v2 row_shr:4 row_mask:0xf bank_mask:0xe
	v_mov_b32_dpp v5, v4 row_shr:4 row_mask:0xf bank_mask:0xe
	v_add_f32_e32 v2, v2, v3
	v_add_f32_e32 v4, v4, v5
	s_nop 0
	v_mov_b32_dpp v3, v2 row_shr:8 row_mask:0xf bank_mask:0xc
	v_mov_b32_dpp v5, v4 row_shr:8 row_mask:0xf bank_mask:0xc
	s_and_b64 exec, exec, vcc
	s_cbranch_execz .LBB72_22
; %bb.19:
	s_load_dwordx2 s[0:1], s[4:5], 0x38
	v_add_f32_e32 v0, v2, v3
	v_add_f32_e32 v3, v4, v5
	v_cmp_eq_f32_e64 s[4:5], s2, 0
	s_and_b64 vcc, exec, s[4:5]
	v_mul_f32_e32 v2, s16, v0
	v_mul_f32_e32 v3, s16, v3
	v_lshlrev_b32_e32 v0, 1, v1
	s_cbranch_vccz .LBB72_23
; %bb.20:
	v_ashrrev_i32_e32 v1, 31, v0
	v_lshlrev_b64 v[4:5], 2, v[0:1]
	s_waitcnt lgkmcnt(0)
	v_mov_b32_e32 v1, s1
	v_add_co_u32_e32 v4, vcc, s0, v4
	v_addc_co_u32_e32 v5, vcc, v1, v5, vcc
	global_store_dwordx2 v[4:5], v[2:3], off
	s_cbranch_execnz .LBB72_22
.LBB72_21:
	v_ashrrev_i32_e32 v1, 31, v0
	v_lshlrev_b64 v[0:1], 2, v[0:1]
	s_waitcnt lgkmcnt(0)
	v_mov_b32_e32 v4, s1
	v_add_co_u32_e32 v0, vcc, s0, v0
	v_addc_co_u32_e32 v1, vcc, v4, v1, vcc
	global_load_dwordx2 v[4:5], v[0:1], off
	s_waitcnt vmcnt(0)
	v_fmac_f32_e32 v2, s2, v4
	v_fmac_f32_e32 v3, s2, v5
	global_store_dwordx2 v[0:1], v[2:3], off
.LBB72_22:
	s_endpgm
.LBB72_23:
	s_branch .LBB72_21
	.section	.rodata,"a",@progbits
	.p2align	6, 0x0
	.amdhsa_kernel _ZN9rocsparseL19gebsrmvn_2xn_kernelILj128ELj16ELj16EfEEvi20rocsparse_direction_NS_24const_host_device_scalarIT2_EEPKiS6_PKS3_S8_S4_PS3_21rocsparse_index_base_b
		.amdhsa_group_segment_fixed_size 0
		.amdhsa_private_segment_fixed_size 0
		.amdhsa_kernarg_size 72
		.amdhsa_user_sgpr_count 6
		.amdhsa_user_sgpr_private_segment_buffer 1
		.amdhsa_user_sgpr_dispatch_ptr 0
		.amdhsa_user_sgpr_queue_ptr 0
		.amdhsa_user_sgpr_kernarg_segment_ptr 1
		.amdhsa_user_sgpr_dispatch_id 0
		.amdhsa_user_sgpr_flat_scratch_init 0
		.amdhsa_user_sgpr_private_segment_size 0
		.amdhsa_uses_dynamic_stack 0
		.amdhsa_system_sgpr_private_segment_wavefront_offset 0
		.amdhsa_system_sgpr_workgroup_id_x 1
		.amdhsa_system_sgpr_workgroup_id_y 0
		.amdhsa_system_sgpr_workgroup_id_z 0
		.amdhsa_system_sgpr_workgroup_info 0
		.amdhsa_system_vgpr_workitem_id 0
		.amdhsa_next_free_vgpr 25
		.amdhsa_next_free_sgpr 20
		.amdhsa_reserve_vcc 1
		.amdhsa_reserve_flat_scratch 0
		.amdhsa_float_round_mode_32 0
		.amdhsa_float_round_mode_16_64 0
		.amdhsa_float_denorm_mode_32 3
		.amdhsa_float_denorm_mode_16_64 3
		.amdhsa_dx10_clamp 1
		.amdhsa_ieee_mode 1
		.amdhsa_fp16_overflow 0
		.amdhsa_exception_fp_ieee_invalid_op 0
		.amdhsa_exception_fp_denorm_src 0
		.amdhsa_exception_fp_ieee_div_zero 0
		.amdhsa_exception_fp_ieee_overflow 0
		.amdhsa_exception_fp_ieee_underflow 0
		.amdhsa_exception_fp_ieee_inexact 0
		.amdhsa_exception_int_div_zero 0
	.end_amdhsa_kernel
	.section	.text._ZN9rocsparseL19gebsrmvn_2xn_kernelILj128ELj16ELj16EfEEvi20rocsparse_direction_NS_24const_host_device_scalarIT2_EEPKiS6_PKS3_S8_S4_PS3_21rocsparse_index_base_b,"axG",@progbits,_ZN9rocsparseL19gebsrmvn_2xn_kernelILj128ELj16ELj16EfEEvi20rocsparse_direction_NS_24const_host_device_scalarIT2_EEPKiS6_PKS3_S8_S4_PS3_21rocsparse_index_base_b,comdat
.Lfunc_end72:
	.size	_ZN9rocsparseL19gebsrmvn_2xn_kernelILj128ELj16ELj16EfEEvi20rocsparse_direction_NS_24const_host_device_scalarIT2_EEPKiS6_PKS3_S8_S4_PS3_21rocsparse_index_base_b, .Lfunc_end72-_ZN9rocsparseL19gebsrmvn_2xn_kernelILj128ELj16ELj16EfEEvi20rocsparse_direction_NS_24const_host_device_scalarIT2_EEPKiS6_PKS3_S8_S4_PS3_21rocsparse_index_base_b
                                        ; -- End function
	.set _ZN9rocsparseL19gebsrmvn_2xn_kernelILj128ELj16ELj16EfEEvi20rocsparse_direction_NS_24const_host_device_scalarIT2_EEPKiS6_PKS3_S8_S4_PS3_21rocsparse_index_base_b.num_vgpr, 25
	.set _ZN9rocsparseL19gebsrmvn_2xn_kernelILj128ELj16ELj16EfEEvi20rocsparse_direction_NS_24const_host_device_scalarIT2_EEPKiS6_PKS3_S8_S4_PS3_21rocsparse_index_base_b.num_agpr, 0
	.set _ZN9rocsparseL19gebsrmvn_2xn_kernelILj128ELj16ELj16EfEEvi20rocsparse_direction_NS_24const_host_device_scalarIT2_EEPKiS6_PKS3_S8_S4_PS3_21rocsparse_index_base_b.numbered_sgpr, 20
	.set _ZN9rocsparseL19gebsrmvn_2xn_kernelILj128ELj16ELj16EfEEvi20rocsparse_direction_NS_24const_host_device_scalarIT2_EEPKiS6_PKS3_S8_S4_PS3_21rocsparse_index_base_b.num_named_barrier, 0
	.set _ZN9rocsparseL19gebsrmvn_2xn_kernelILj128ELj16ELj16EfEEvi20rocsparse_direction_NS_24const_host_device_scalarIT2_EEPKiS6_PKS3_S8_S4_PS3_21rocsparse_index_base_b.private_seg_size, 0
	.set _ZN9rocsparseL19gebsrmvn_2xn_kernelILj128ELj16ELj16EfEEvi20rocsparse_direction_NS_24const_host_device_scalarIT2_EEPKiS6_PKS3_S8_S4_PS3_21rocsparse_index_base_b.uses_vcc, 1
	.set _ZN9rocsparseL19gebsrmvn_2xn_kernelILj128ELj16ELj16EfEEvi20rocsparse_direction_NS_24const_host_device_scalarIT2_EEPKiS6_PKS3_S8_S4_PS3_21rocsparse_index_base_b.uses_flat_scratch, 0
	.set _ZN9rocsparseL19gebsrmvn_2xn_kernelILj128ELj16ELj16EfEEvi20rocsparse_direction_NS_24const_host_device_scalarIT2_EEPKiS6_PKS3_S8_S4_PS3_21rocsparse_index_base_b.has_dyn_sized_stack, 0
	.set _ZN9rocsparseL19gebsrmvn_2xn_kernelILj128ELj16ELj16EfEEvi20rocsparse_direction_NS_24const_host_device_scalarIT2_EEPKiS6_PKS3_S8_S4_PS3_21rocsparse_index_base_b.has_recursion, 0
	.set _ZN9rocsparseL19gebsrmvn_2xn_kernelILj128ELj16ELj16EfEEvi20rocsparse_direction_NS_24const_host_device_scalarIT2_EEPKiS6_PKS3_S8_S4_PS3_21rocsparse_index_base_b.has_indirect_call, 0
	.section	.AMDGPU.csdata,"",@progbits
; Kernel info:
; codeLenInByte = 1320
; TotalNumSgprs: 24
; NumVgprs: 25
; ScratchSize: 0
; MemoryBound: 0
; FloatMode: 240
; IeeeMode: 1
; LDSByteSize: 0 bytes/workgroup (compile time only)
; SGPRBlocks: 2
; VGPRBlocks: 6
; NumSGPRsForWavesPerEU: 24
; NumVGPRsForWavesPerEU: 25
; Occupancy: 9
; WaveLimiterHint : 1
; COMPUTE_PGM_RSRC2:SCRATCH_EN: 0
; COMPUTE_PGM_RSRC2:USER_SGPR: 6
; COMPUTE_PGM_RSRC2:TRAP_HANDLER: 0
; COMPUTE_PGM_RSRC2:TGID_X_EN: 1
; COMPUTE_PGM_RSRC2:TGID_Y_EN: 0
; COMPUTE_PGM_RSRC2:TGID_Z_EN: 0
; COMPUTE_PGM_RSRC2:TIDIG_COMP_CNT: 0
	.section	.text._ZN9rocsparseL19gebsrmvn_2xn_kernelILj128ELj16ELj32EfEEvi20rocsparse_direction_NS_24const_host_device_scalarIT2_EEPKiS6_PKS3_S8_S4_PS3_21rocsparse_index_base_b,"axG",@progbits,_ZN9rocsparseL19gebsrmvn_2xn_kernelILj128ELj16ELj32EfEEvi20rocsparse_direction_NS_24const_host_device_scalarIT2_EEPKiS6_PKS3_S8_S4_PS3_21rocsparse_index_base_b,comdat
	.globl	_ZN9rocsparseL19gebsrmvn_2xn_kernelILj128ELj16ELj32EfEEvi20rocsparse_direction_NS_24const_host_device_scalarIT2_EEPKiS6_PKS3_S8_S4_PS3_21rocsparse_index_base_b ; -- Begin function _ZN9rocsparseL19gebsrmvn_2xn_kernelILj128ELj16ELj32EfEEvi20rocsparse_direction_NS_24const_host_device_scalarIT2_EEPKiS6_PKS3_S8_S4_PS3_21rocsparse_index_base_b
	.p2align	8
	.type	_ZN9rocsparseL19gebsrmvn_2xn_kernelILj128ELj16ELj32EfEEvi20rocsparse_direction_NS_24const_host_device_scalarIT2_EEPKiS6_PKS3_S8_S4_PS3_21rocsparse_index_base_b,@function
_ZN9rocsparseL19gebsrmvn_2xn_kernelILj128ELj16ELj32EfEEvi20rocsparse_direction_NS_24const_host_device_scalarIT2_EEPKiS6_PKS3_S8_S4_PS3_21rocsparse_index_base_b: ; @_ZN9rocsparseL19gebsrmvn_2xn_kernelILj128ELj16ELj32EfEEvi20rocsparse_direction_NS_24const_host_device_scalarIT2_EEPKiS6_PKS3_S8_S4_PS3_21rocsparse_index_base_b
; %bb.0:
	s_load_dwordx2 s[18:19], s[4:5], 0x40
	s_load_dwordx2 s[16:17], s[4:5], 0x8
	;; [unrolled: 1-line block ×3, first 2 shown]
	s_waitcnt lgkmcnt(0)
	s_bitcmp1_b32 s19, 0
	s_cselect_b64 s[8:9], -1, 0
	s_xor_b64 s[0:1], s[8:9], -1
	s_and_b64 vcc, exec, s[8:9]
	s_cbranch_vccnz .LBB73_2
; %bb.1:
	s_load_dword s16, s[16:17], 0x0
.LBB73_2:
	s_andn2_b64 vcc, exec, s[0:1]
	s_cbranch_vccnz .LBB73_4
; %bb.3:
	s_load_dword s2, s[2:3], 0x0
.LBB73_4:
	s_waitcnt lgkmcnt(0)
	v_cmp_eq_f32_e64 s[0:1], s16, 0
	v_cmp_eq_f32_e64 s[8:9], s2, 1.0
	s_and_b64 s[0:1], s[0:1], s[8:9]
	s_and_b64 vcc, exec, s[0:1]
	s_cbranch_vccnz .LBB73_22
; %bb.5:
	s_load_dwordx2 s[0:1], s[4:5], 0x0
	v_lshrrev_b32_e32 v1, 5, v0
	v_lshl_or_b32 v1, s6, 2, v1
	s_waitcnt lgkmcnt(0)
	v_cmp_gt_i32_e32 vcc, s0, v1
	s_and_saveexec_b64 s[6:7], vcc
	s_cbranch_execz .LBB73_22
; %bb.6:
	s_load_dwordx8 s[8:15], s[4:5], 0x10
	v_ashrrev_i32_e32 v2, 31, v1
	v_lshlrev_b64 v[2:3], 2, v[1:2]
	v_and_b32_e32 v0, 31, v0
	s_cmp_lg_u32 s1, 0
	s_waitcnt lgkmcnt(0)
	v_mov_b32_e32 v4, s9
	v_add_co_u32_e32 v2, vcc, s8, v2
	v_addc_co_u32_e32 v3, vcc, v4, v3, vcc
	global_load_dwordx2 v[2:3], v[2:3], off
	s_waitcnt vmcnt(0)
	v_subrev_u32_e32 v2, s18, v2
	v_subrev_u32_e32 v7, s18, v3
	v_add_u32_e32 v2, v2, v0
	v_cmp_lt_i32_e64 s[0:1], v2, v7
	s_cbranch_scc0 .LBB73_12
; %bb.7:
	v_mov_b32_e32 v9, 0
	v_mov_b32_e32 v8, 0
	s_and_saveexec_b64 s[6:7], s[0:1]
	s_cbranch_execz .LBB73_11
; %bb.8:
	v_mov_b32_e32 v4, 0
	v_lshlrev_b32_e32 v3, 5, v2
	s_mov_b64 s[8:9], 0
	v_mov_b32_e32 v10, s11
	v_mov_b32_e32 v11, s13
	;; [unrolled: 1-line block ×6, first 2 shown]
.LBB73_9:                               ; =>This Inner Loop Header: Depth=1
	v_lshlrev_b64 v[13:14], 2, v[3:4]
	v_ashrrev_i32_e32 v6, 31, v5
	v_lshlrev_b64 v[15:16], 2, v[5:6]
	v_add_co_u32_e32 v21, vcc, s12, v13
	v_addc_co_u32_e32 v22, vcc, v11, v14, vcc
	v_add_co_u32_e32 v19, vcc, s10, v15
	v_addc_co_u32_e32 v20, vcc, v10, v16, vcc
	global_load_dwordx4 v[13:16], v[21:22], off
	global_load_dword v6, v[19:20], off
	v_mov_b32_e32 v18, v4
	v_add_u32_e32 v5, 32, v5
	v_add_u32_e32 v3, 0x400, v3
	s_waitcnt vmcnt(0)
	v_subrev_u32_e32 v6, s18, v6
	v_lshlrev_b32_e32 v17, 4, v6
	v_lshlrev_b64 v[17:18], 2, v[17:18]
	v_add_co_u32_e32 v23, vcc, s14, v17
	v_addc_co_u32_e32 v24, vcc, v12, v18, vcc
	global_load_dwordx4 v[17:20], v[23:24], off
	v_cmp_ge_i32_e32 vcc, v5, v7
	s_or_b64 s[8:9], vcc, s[8:9]
	s_waitcnt vmcnt(0)
	v_fmac_f32_e32 v9, v13, v17
	v_fmac_f32_e32 v8, v14, v17
	v_fmac_f32_e32 v9, v15, v18
	v_fmac_f32_e32 v8, v16, v18
	global_load_dwordx4 v[13:16], v[21:22], off offset:16
	s_waitcnt vmcnt(0)
	v_fmac_f32_e32 v9, v13, v19
	v_fmac_f32_e32 v8, v14, v19
	v_fmac_f32_e32 v9, v15, v20
	v_fmac_f32_e32 v8, v16, v20
	global_load_dwordx4 v[13:16], v[21:22], off offset:32
	global_load_dwordx4 v[17:20], v[23:24], off offset:16
	s_waitcnt vmcnt(0)
	v_fmac_f32_e32 v9, v13, v17
	v_fmac_f32_e32 v8, v14, v17
	v_fmac_f32_e32 v9, v15, v18
	v_fmac_f32_e32 v8, v16, v18
	global_load_dwordx4 v[13:16], v[21:22], off offset:48
	s_waitcnt vmcnt(0)
	v_fmac_f32_e32 v9, v13, v19
	v_fmac_f32_e32 v8, v14, v19
	v_fmac_f32_e32 v9, v15, v20
	v_fmac_f32_e32 v8, v16, v20
	global_load_dwordx4 v[13:16], v[21:22], off offset:64
	global_load_dwordx4 v[17:20], v[23:24], off offset:32
	;; [unrolled: 13-line block ×3, first 2 shown]
	s_waitcnt vmcnt(0)
	v_fmac_f32_e32 v9, v13, v17
	v_fmac_f32_e32 v8, v14, v17
	;; [unrolled: 1-line block ×4, first 2 shown]
	global_load_dwordx4 v[13:16], v[21:22], off offset:112
	s_waitcnt vmcnt(0)
	v_fmac_f32_e32 v9, v13, v19
	v_fmac_f32_e32 v8, v14, v19
	v_fmac_f32_e32 v9, v15, v20
	v_fmac_f32_e32 v8, v16, v20
	s_andn2_b64 exec, exec, s[8:9]
	s_cbranch_execnz .LBB73_9
; %bb.10:
	s_or_b64 exec, exec, s[8:9]
.LBB73_11:
	s_or_b64 exec, exec, s[6:7]
	s_cbranch_execz .LBB73_13
	s_branch .LBB73_18
.LBB73_12:
                                        ; implicit-def: $vgpr9
                                        ; implicit-def: $vgpr8
.LBB73_13:
	v_mov_b32_e32 v9, 0
	v_mov_b32_e32 v8, 0
	s_and_saveexec_b64 s[6:7], s[0:1]
	s_cbranch_execz .LBB73_17
; %bb.14:
	v_mov_b32_e32 v5, 0
	v_lshlrev_b32_e32 v4, 5, v2
	s_mov_b64 s[0:1], 0
	v_mov_b32_e32 v6, s11
	v_mov_b32_e32 v10, s13
	;; [unrolled: 1-line block ×5, first 2 shown]
.LBB73_15:                              ; =>This Inner Loop Header: Depth=1
	v_lshlrev_b64 v[12:13], 2, v[4:5]
	v_ashrrev_i32_e32 v3, 31, v2
	v_lshlrev_b64 v[14:15], 2, v[2:3]
	v_add_co_u32_e32 v20, vcc, s12, v12
	v_addc_co_u32_e32 v21, vcc, v10, v13, vcc
	v_add_co_u32_e32 v18, vcc, s10, v14
	v_addc_co_u32_e32 v19, vcc, v6, v15, vcc
	global_load_dwordx4 v[12:15], v[20:21], off
	global_load_dword v3, v[18:19], off
	v_mov_b32_e32 v17, v5
	v_add_u32_e32 v2, 32, v2
	v_add_u32_e32 v4, 0x400, v4
	s_waitcnt vmcnt(0)
	v_subrev_u32_e32 v3, s18, v3
	v_lshlrev_b32_e32 v16, 4, v3
	v_lshlrev_b64 v[16:17], 2, v[16:17]
	v_add_co_u32_e32 v22, vcc, s14, v16
	v_addc_co_u32_e32 v23, vcc, v11, v17, vcc
	global_load_dwordx4 v[16:19], v[22:23], off
	v_cmp_ge_i32_e32 vcc, v2, v7
	s_or_b64 s[0:1], vcc, s[0:1]
	s_waitcnt vmcnt(0)
	v_fmac_f32_e32 v9, v12, v16
	v_fmac_f32_e32 v9, v13, v17
	v_fmac_f32_e32 v9, v14, v18
	v_fmac_f32_e32 v9, v15, v19
	global_load_dwordx4 v[12:15], v[20:21], off offset:64
	s_waitcnt vmcnt(0)
	v_fmac_f32_e32 v8, v12, v16
	v_fmac_f32_e32 v8, v13, v17
	v_fmac_f32_e32 v8, v14, v18
	v_fmac_f32_e32 v8, v15, v19
	global_load_dwordx4 v[12:15], v[20:21], off offset:16
	global_load_dwordx4 v[16:19], v[22:23], off offset:16
	s_waitcnt vmcnt(0)
	v_fmac_f32_e32 v9, v12, v16
	v_fmac_f32_e32 v9, v13, v17
	v_fmac_f32_e32 v9, v14, v18
	v_fmac_f32_e32 v9, v15, v19
	global_load_dwordx4 v[12:15], v[20:21], off offset:80
	s_waitcnt vmcnt(0)
	v_fmac_f32_e32 v8, v12, v16
	v_fmac_f32_e32 v8, v13, v17
	v_fmac_f32_e32 v8, v14, v18
	v_fmac_f32_e32 v8, v15, v19
	global_load_dwordx4 v[12:15], v[20:21], off offset:32
	global_load_dwordx4 v[16:19], v[22:23], off offset:32
	;; [unrolled: 13-line block ×3, first 2 shown]
	s_waitcnt vmcnt(0)
	v_fmac_f32_e32 v9, v12, v16
	v_fmac_f32_e32 v9, v13, v17
	;; [unrolled: 1-line block ×4, first 2 shown]
	global_load_dwordx4 v[12:15], v[20:21], off offset:112
	s_waitcnt vmcnt(0)
	v_fmac_f32_e32 v8, v12, v16
	v_fmac_f32_e32 v8, v13, v17
	v_fmac_f32_e32 v8, v14, v18
	v_fmac_f32_e32 v8, v15, v19
	s_andn2_b64 exec, exec, s[0:1]
	s_cbranch_execnz .LBB73_15
; %bb.16:
	s_or_b64 exec, exec, s[0:1]
.LBB73_17:
	s_or_b64 exec, exec, s[6:7]
.LBB73_18:
	v_mov_b32_dpp v2, v9 row_shr:1 row_mask:0xf bank_mask:0xf
	v_mov_b32_dpp v4, v8 row_shr:1 row_mask:0xf bank_mask:0xf
	v_add_f32_e32 v2, v9, v2
	v_add_f32_e32 v4, v8, v4
	v_cmp_eq_u32_e32 vcc, 31, v0
	v_mov_b32_dpp v3, v2 row_shr:2 row_mask:0xf bank_mask:0xf
	v_mov_b32_dpp v5, v4 row_shr:2 row_mask:0xf bank_mask:0xf
	v_add_f32_e32 v2, v2, v3
	v_add_f32_e32 v4, v4, v5
	s_nop 0
	v_mov_b32_dpp v3, v2 row_shr:4 row_mask:0xf bank_mask:0xe
	v_mov_b32_dpp v5, v4 row_shr:4 row_mask:0xf bank_mask:0xe
	v_add_f32_e32 v2, v2, v3
	v_add_f32_e32 v4, v4, v5
	s_nop 0
	;; [unrolled: 5-line block ×3, first 2 shown]
	v_mov_b32_dpp v3, v2 row_bcast:15 row_mask:0xa bank_mask:0xf
	v_mov_b32_dpp v5, v4 row_bcast:15 row_mask:0xa bank_mask:0xf
	s_and_b64 exec, exec, vcc
	s_cbranch_execz .LBB73_22
; %bb.19:
	s_load_dwordx2 s[0:1], s[4:5], 0x38
	v_add_f32_e32 v0, v2, v3
	v_add_f32_e32 v3, v4, v5
	v_cmp_eq_f32_e64 s[4:5], s2, 0
	s_and_b64 vcc, exec, s[4:5]
	v_mul_f32_e32 v2, s16, v0
	v_mul_f32_e32 v3, s16, v3
	v_lshlrev_b32_e32 v0, 1, v1
	s_cbranch_vccz .LBB73_23
; %bb.20:
	v_ashrrev_i32_e32 v1, 31, v0
	v_lshlrev_b64 v[4:5], 2, v[0:1]
	s_waitcnt lgkmcnt(0)
	v_mov_b32_e32 v1, s1
	v_add_co_u32_e32 v4, vcc, s0, v4
	v_addc_co_u32_e32 v5, vcc, v1, v5, vcc
	global_store_dwordx2 v[4:5], v[2:3], off
	s_cbranch_execnz .LBB73_22
.LBB73_21:
	v_ashrrev_i32_e32 v1, 31, v0
	v_lshlrev_b64 v[0:1], 2, v[0:1]
	s_waitcnt lgkmcnt(0)
	v_mov_b32_e32 v4, s1
	v_add_co_u32_e32 v0, vcc, s0, v0
	v_addc_co_u32_e32 v1, vcc, v4, v1, vcc
	global_load_dwordx2 v[4:5], v[0:1], off
	s_waitcnt vmcnt(0)
	v_fmac_f32_e32 v2, s2, v4
	v_fmac_f32_e32 v3, s2, v5
	global_store_dwordx2 v[0:1], v[2:3], off
.LBB73_22:
	s_endpgm
.LBB73_23:
	s_branch .LBB73_21
	.section	.rodata,"a",@progbits
	.p2align	6, 0x0
	.amdhsa_kernel _ZN9rocsparseL19gebsrmvn_2xn_kernelILj128ELj16ELj32EfEEvi20rocsparse_direction_NS_24const_host_device_scalarIT2_EEPKiS6_PKS3_S8_S4_PS3_21rocsparse_index_base_b
		.amdhsa_group_segment_fixed_size 0
		.amdhsa_private_segment_fixed_size 0
		.amdhsa_kernarg_size 72
		.amdhsa_user_sgpr_count 6
		.amdhsa_user_sgpr_private_segment_buffer 1
		.amdhsa_user_sgpr_dispatch_ptr 0
		.amdhsa_user_sgpr_queue_ptr 0
		.amdhsa_user_sgpr_kernarg_segment_ptr 1
		.amdhsa_user_sgpr_dispatch_id 0
		.amdhsa_user_sgpr_flat_scratch_init 0
		.amdhsa_user_sgpr_private_segment_size 0
		.amdhsa_uses_dynamic_stack 0
		.amdhsa_system_sgpr_private_segment_wavefront_offset 0
		.amdhsa_system_sgpr_workgroup_id_x 1
		.amdhsa_system_sgpr_workgroup_id_y 0
		.amdhsa_system_sgpr_workgroup_id_z 0
		.amdhsa_system_sgpr_workgroup_info 0
		.amdhsa_system_vgpr_workitem_id 0
		.amdhsa_next_free_vgpr 25
		.amdhsa_next_free_sgpr 20
		.amdhsa_reserve_vcc 1
		.amdhsa_reserve_flat_scratch 0
		.amdhsa_float_round_mode_32 0
		.amdhsa_float_round_mode_16_64 0
		.amdhsa_float_denorm_mode_32 3
		.amdhsa_float_denorm_mode_16_64 3
		.amdhsa_dx10_clamp 1
		.amdhsa_ieee_mode 1
		.amdhsa_fp16_overflow 0
		.amdhsa_exception_fp_ieee_invalid_op 0
		.amdhsa_exception_fp_denorm_src 0
		.amdhsa_exception_fp_ieee_div_zero 0
		.amdhsa_exception_fp_ieee_overflow 0
		.amdhsa_exception_fp_ieee_underflow 0
		.amdhsa_exception_fp_ieee_inexact 0
		.amdhsa_exception_int_div_zero 0
	.end_amdhsa_kernel
	.section	.text._ZN9rocsparseL19gebsrmvn_2xn_kernelILj128ELj16ELj32EfEEvi20rocsparse_direction_NS_24const_host_device_scalarIT2_EEPKiS6_PKS3_S8_S4_PS3_21rocsparse_index_base_b,"axG",@progbits,_ZN9rocsparseL19gebsrmvn_2xn_kernelILj128ELj16ELj32EfEEvi20rocsparse_direction_NS_24const_host_device_scalarIT2_EEPKiS6_PKS3_S8_S4_PS3_21rocsparse_index_base_b,comdat
.Lfunc_end73:
	.size	_ZN9rocsparseL19gebsrmvn_2xn_kernelILj128ELj16ELj32EfEEvi20rocsparse_direction_NS_24const_host_device_scalarIT2_EEPKiS6_PKS3_S8_S4_PS3_21rocsparse_index_base_b, .Lfunc_end73-_ZN9rocsparseL19gebsrmvn_2xn_kernelILj128ELj16ELj32EfEEvi20rocsparse_direction_NS_24const_host_device_scalarIT2_EEPKiS6_PKS3_S8_S4_PS3_21rocsparse_index_base_b
                                        ; -- End function
	.set _ZN9rocsparseL19gebsrmvn_2xn_kernelILj128ELj16ELj32EfEEvi20rocsparse_direction_NS_24const_host_device_scalarIT2_EEPKiS6_PKS3_S8_S4_PS3_21rocsparse_index_base_b.num_vgpr, 25
	.set _ZN9rocsparseL19gebsrmvn_2xn_kernelILj128ELj16ELj32EfEEvi20rocsparse_direction_NS_24const_host_device_scalarIT2_EEPKiS6_PKS3_S8_S4_PS3_21rocsparse_index_base_b.num_agpr, 0
	.set _ZN9rocsparseL19gebsrmvn_2xn_kernelILj128ELj16ELj32EfEEvi20rocsparse_direction_NS_24const_host_device_scalarIT2_EEPKiS6_PKS3_S8_S4_PS3_21rocsparse_index_base_b.numbered_sgpr, 20
	.set _ZN9rocsparseL19gebsrmvn_2xn_kernelILj128ELj16ELj32EfEEvi20rocsparse_direction_NS_24const_host_device_scalarIT2_EEPKiS6_PKS3_S8_S4_PS3_21rocsparse_index_base_b.num_named_barrier, 0
	.set _ZN9rocsparseL19gebsrmvn_2xn_kernelILj128ELj16ELj32EfEEvi20rocsparse_direction_NS_24const_host_device_scalarIT2_EEPKiS6_PKS3_S8_S4_PS3_21rocsparse_index_base_b.private_seg_size, 0
	.set _ZN9rocsparseL19gebsrmvn_2xn_kernelILj128ELj16ELj32EfEEvi20rocsparse_direction_NS_24const_host_device_scalarIT2_EEPKiS6_PKS3_S8_S4_PS3_21rocsparse_index_base_b.uses_vcc, 1
	.set _ZN9rocsparseL19gebsrmvn_2xn_kernelILj128ELj16ELj32EfEEvi20rocsparse_direction_NS_24const_host_device_scalarIT2_EEPKiS6_PKS3_S8_S4_PS3_21rocsparse_index_base_b.uses_flat_scratch, 0
	.set _ZN9rocsparseL19gebsrmvn_2xn_kernelILj128ELj16ELj32EfEEvi20rocsparse_direction_NS_24const_host_device_scalarIT2_EEPKiS6_PKS3_S8_S4_PS3_21rocsparse_index_base_b.has_dyn_sized_stack, 0
	.set _ZN9rocsparseL19gebsrmvn_2xn_kernelILj128ELj16ELj32EfEEvi20rocsparse_direction_NS_24const_host_device_scalarIT2_EEPKiS6_PKS3_S8_S4_PS3_21rocsparse_index_base_b.has_recursion, 0
	.set _ZN9rocsparseL19gebsrmvn_2xn_kernelILj128ELj16ELj32EfEEvi20rocsparse_direction_NS_24const_host_device_scalarIT2_EEPKiS6_PKS3_S8_S4_PS3_21rocsparse_index_base_b.has_indirect_call, 0
	.section	.AMDGPU.csdata,"",@progbits
; Kernel info:
; codeLenInByte = 1348
; TotalNumSgprs: 24
; NumVgprs: 25
; ScratchSize: 0
; MemoryBound: 0
; FloatMode: 240
; IeeeMode: 1
; LDSByteSize: 0 bytes/workgroup (compile time only)
; SGPRBlocks: 2
; VGPRBlocks: 6
; NumSGPRsForWavesPerEU: 24
; NumVGPRsForWavesPerEU: 25
; Occupancy: 9
; WaveLimiterHint : 1
; COMPUTE_PGM_RSRC2:SCRATCH_EN: 0
; COMPUTE_PGM_RSRC2:USER_SGPR: 6
; COMPUTE_PGM_RSRC2:TRAP_HANDLER: 0
; COMPUTE_PGM_RSRC2:TGID_X_EN: 1
; COMPUTE_PGM_RSRC2:TGID_Y_EN: 0
; COMPUTE_PGM_RSRC2:TGID_Z_EN: 0
; COMPUTE_PGM_RSRC2:TIDIG_COMP_CNT: 0
	.section	.text._ZN9rocsparseL19gebsrmvn_2xn_kernelILj128ELj16ELj64EfEEvi20rocsparse_direction_NS_24const_host_device_scalarIT2_EEPKiS6_PKS3_S8_S4_PS3_21rocsparse_index_base_b,"axG",@progbits,_ZN9rocsparseL19gebsrmvn_2xn_kernelILj128ELj16ELj64EfEEvi20rocsparse_direction_NS_24const_host_device_scalarIT2_EEPKiS6_PKS3_S8_S4_PS3_21rocsparse_index_base_b,comdat
	.globl	_ZN9rocsparseL19gebsrmvn_2xn_kernelILj128ELj16ELj64EfEEvi20rocsparse_direction_NS_24const_host_device_scalarIT2_EEPKiS6_PKS3_S8_S4_PS3_21rocsparse_index_base_b ; -- Begin function _ZN9rocsparseL19gebsrmvn_2xn_kernelILj128ELj16ELj64EfEEvi20rocsparse_direction_NS_24const_host_device_scalarIT2_EEPKiS6_PKS3_S8_S4_PS3_21rocsparse_index_base_b
	.p2align	8
	.type	_ZN9rocsparseL19gebsrmvn_2xn_kernelILj128ELj16ELj64EfEEvi20rocsparse_direction_NS_24const_host_device_scalarIT2_EEPKiS6_PKS3_S8_S4_PS3_21rocsparse_index_base_b,@function
_ZN9rocsparseL19gebsrmvn_2xn_kernelILj128ELj16ELj64EfEEvi20rocsparse_direction_NS_24const_host_device_scalarIT2_EEPKiS6_PKS3_S8_S4_PS3_21rocsparse_index_base_b: ; @_ZN9rocsparseL19gebsrmvn_2xn_kernelILj128ELj16ELj64EfEEvi20rocsparse_direction_NS_24const_host_device_scalarIT2_EEPKiS6_PKS3_S8_S4_PS3_21rocsparse_index_base_b
; %bb.0:
	s_load_dwordx2 s[18:19], s[4:5], 0x40
	s_load_dwordx2 s[16:17], s[4:5], 0x8
	s_load_dwordx2 s[2:3], s[4:5], 0x30
	s_waitcnt lgkmcnt(0)
	s_bitcmp1_b32 s19, 0
	s_cselect_b64 s[8:9], -1, 0
	s_xor_b64 s[0:1], s[8:9], -1
	s_and_b64 vcc, exec, s[8:9]
	s_cbranch_vccnz .LBB74_2
; %bb.1:
	s_load_dword s16, s[16:17], 0x0
.LBB74_2:
	s_andn2_b64 vcc, exec, s[0:1]
	s_cbranch_vccnz .LBB74_4
; %bb.3:
	s_load_dword s2, s[2:3], 0x0
.LBB74_4:
	s_waitcnt lgkmcnt(0)
	v_cmp_eq_f32_e64 s[0:1], s16, 0
	v_cmp_eq_f32_e64 s[8:9], s2, 1.0
	s_and_b64 s[0:1], s[0:1], s[8:9]
	s_and_b64 vcc, exec, s[0:1]
	s_cbranch_vccnz .LBB74_22
; %bb.5:
	s_load_dwordx2 s[0:1], s[4:5], 0x0
	v_lshrrev_b32_e32 v1, 6, v0
	v_lshl_or_b32 v1, s6, 1, v1
	s_waitcnt lgkmcnt(0)
	v_cmp_gt_i32_e32 vcc, s0, v1
	s_and_saveexec_b64 s[6:7], vcc
	s_cbranch_execz .LBB74_22
; %bb.6:
	s_load_dwordx8 s[8:15], s[4:5], 0x10
	v_ashrrev_i32_e32 v2, 31, v1
	v_lshlrev_b64 v[2:3], 2, v[1:2]
	v_and_b32_e32 v0, 63, v0
	s_cmp_lg_u32 s1, 0
	s_waitcnt lgkmcnt(0)
	v_mov_b32_e32 v4, s9
	v_add_co_u32_e32 v2, vcc, s8, v2
	v_addc_co_u32_e32 v3, vcc, v4, v3, vcc
	global_load_dwordx2 v[2:3], v[2:3], off
	s_waitcnt vmcnt(0)
	v_subrev_u32_e32 v2, s18, v2
	v_subrev_u32_e32 v7, s18, v3
	v_add_u32_e32 v2, v2, v0
	v_cmp_lt_i32_e64 s[0:1], v2, v7
	s_cbranch_scc0 .LBB74_12
; %bb.7:
	v_mov_b32_e32 v9, 0
	v_mov_b32_e32 v8, 0
	s_and_saveexec_b64 s[6:7], s[0:1]
	s_cbranch_execz .LBB74_11
; %bb.8:
	v_mov_b32_e32 v4, 0
	v_lshlrev_b32_e32 v3, 5, v2
	s_mov_b64 s[8:9], 0
	v_mov_b32_e32 v10, s11
	v_mov_b32_e32 v11, s13
	;; [unrolled: 1-line block ×6, first 2 shown]
.LBB74_9:                               ; =>This Inner Loop Header: Depth=1
	v_lshlrev_b64 v[13:14], 2, v[3:4]
	v_ashrrev_i32_e32 v6, 31, v5
	v_lshlrev_b64 v[15:16], 2, v[5:6]
	v_add_co_u32_e32 v21, vcc, s12, v13
	v_addc_co_u32_e32 v22, vcc, v11, v14, vcc
	v_add_co_u32_e32 v19, vcc, s10, v15
	v_addc_co_u32_e32 v20, vcc, v10, v16, vcc
	global_load_dwordx4 v[13:16], v[21:22], off
	global_load_dword v6, v[19:20], off
	v_mov_b32_e32 v18, v4
	v_add_u32_e32 v5, 64, v5
	v_add_u32_e32 v3, 0x800, v3
	s_waitcnt vmcnt(0)
	v_subrev_u32_e32 v6, s18, v6
	v_lshlrev_b32_e32 v17, 4, v6
	v_lshlrev_b64 v[17:18], 2, v[17:18]
	v_add_co_u32_e32 v23, vcc, s14, v17
	v_addc_co_u32_e32 v24, vcc, v12, v18, vcc
	global_load_dwordx4 v[17:20], v[23:24], off
	v_cmp_ge_i32_e32 vcc, v5, v7
	s_or_b64 s[8:9], vcc, s[8:9]
	s_waitcnt vmcnt(0)
	v_fmac_f32_e32 v9, v13, v17
	v_fmac_f32_e32 v8, v14, v17
	v_fmac_f32_e32 v9, v15, v18
	v_fmac_f32_e32 v8, v16, v18
	global_load_dwordx4 v[13:16], v[21:22], off offset:16
	s_waitcnt vmcnt(0)
	v_fmac_f32_e32 v9, v13, v19
	v_fmac_f32_e32 v8, v14, v19
	v_fmac_f32_e32 v9, v15, v20
	v_fmac_f32_e32 v8, v16, v20
	global_load_dwordx4 v[13:16], v[21:22], off offset:32
	global_load_dwordx4 v[17:20], v[23:24], off offset:16
	s_waitcnt vmcnt(0)
	v_fmac_f32_e32 v9, v13, v17
	v_fmac_f32_e32 v8, v14, v17
	v_fmac_f32_e32 v9, v15, v18
	v_fmac_f32_e32 v8, v16, v18
	global_load_dwordx4 v[13:16], v[21:22], off offset:48
	s_waitcnt vmcnt(0)
	v_fmac_f32_e32 v9, v13, v19
	v_fmac_f32_e32 v8, v14, v19
	v_fmac_f32_e32 v9, v15, v20
	v_fmac_f32_e32 v8, v16, v20
	global_load_dwordx4 v[13:16], v[21:22], off offset:64
	global_load_dwordx4 v[17:20], v[23:24], off offset:32
	;; [unrolled: 13-line block ×3, first 2 shown]
	s_waitcnt vmcnt(0)
	v_fmac_f32_e32 v9, v13, v17
	v_fmac_f32_e32 v8, v14, v17
	;; [unrolled: 1-line block ×4, first 2 shown]
	global_load_dwordx4 v[13:16], v[21:22], off offset:112
	s_waitcnt vmcnt(0)
	v_fmac_f32_e32 v9, v13, v19
	v_fmac_f32_e32 v8, v14, v19
	;; [unrolled: 1-line block ×4, first 2 shown]
	s_andn2_b64 exec, exec, s[8:9]
	s_cbranch_execnz .LBB74_9
; %bb.10:
	s_or_b64 exec, exec, s[8:9]
.LBB74_11:
	s_or_b64 exec, exec, s[6:7]
	s_cbranch_execz .LBB74_13
	s_branch .LBB74_18
.LBB74_12:
                                        ; implicit-def: $vgpr9
                                        ; implicit-def: $vgpr8
.LBB74_13:
	v_mov_b32_e32 v9, 0
	v_mov_b32_e32 v8, 0
	s_and_saveexec_b64 s[6:7], s[0:1]
	s_cbranch_execz .LBB74_17
; %bb.14:
	v_mov_b32_e32 v5, 0
	v_lshlrev_b32_e32 v4, 5, v2
	s_mov_b64 s[0:1], 0
	v_mov_b32_e32 v6, s11
	v_mov_b32_e32 v10, s13
	;; [unrolled: 1-line block ×5, first 2 shown]
.LBB74_15:                              ; =>This Inner Loop Header: Depth=1
	v_lshlrev_b64 v[12:13], 2, v[4:5]
	v_ashrrev_i32_e32 v3, 31, v2
	v_lshlrev_b64 v[14:15], 2, v[2:3]
	v_add_co_u32_e32 v20, vcc, s12, v12
	v_addc_co_u32_e32 v21, vcc, v10, v13, vcc
	v_add_co_u32_e32 v18, vcc, s10, v14
	v_addc_co_u32_e32 v19, vcc, v6, v15, vcc
	global_load_dwordx4 v[12:15], v[20:21], off
	global_load_dword v3, v[18:19], off
	v_mov_b32_e32 v17, v5
	v_add_u32_e32 v2, 64, v2
	v_add_u32_e32 v4, 0x800, v4
	s_waitcnt vmcnt(0)
	v_subrev_u32_e32 v3, s18, v3
	v_lshlrev_b32_e32 v16, 4, v3
	v_lshlrev_b64 v[16:17], 2, v[16:17]
	v_add_co_u32_e32 v22, vcc, s14, v16
	v_addc_co_u32_e32 v23, vcc, v11, v17, vcc
	global_load_dwordx4 v[16:19], v[22:23], off
	v_cmp_ge_i32_e32 vcc, v2, v7
	s_or_b64 s[0:1], vcc, s[0:1]
	s_waitcnt vmcnt(0)
	v_fmac_f32_e32 v9, v12, v16
	v_fmac_f32_e32 v9, v13, v17
	v_fmac_f32_e32 v9, v14, v18
	v_fmac_f32_e32 v9, v15, v19
	global_load_dwordx4 v[12:15], v[20:21], off offset:64
	s_waitcnt vmcnt(0)
	v_fmac_f32_e32 v8, v12, v16
	v_fmac_f32_e32 v8, v13, v17
	v_fmac_f32_e32 v8, v14, v18
	v_fmac_f32_e32 v8, v15, v19
	global_load_dwordx4 v[12:15], v[20:21], off offset:16
	global_load_dwordx4 v[16:19], v[22:23], off offset:16
	s_waitcnt vmcnt(0)
	v_fmac_f32_e32 v9, v12, v16
	v_fmac_f32_e32 v9, v13, v17
	v_fmac_f32_e32 v9, v14, v18
	v_fmac_f32_e32 v9, v15, v19
	global_load_dwordx4 v[12:15], v[20:21], off offset:80
	s_waitcnt vmcnt(0)
	v_fmac_f32_e32 v8, v12, v16
	v_fmac_f32_e32 v8, v13, v17
	v_fmac_f32_e32 v8, v14, v18
	v_fmac_f32_e32 v8, v15, v19
	global_load_dwordx4 v[12:15], v[20:21], off offset:32
	global_load_dwordx4 v[16:19], v[22:23], off offset:32
	;; [unrolled: 13-line block ×3, first 2 shown]
	s_waitcnt vmcnt(0)
	v_fmac_f32_e32 v9, v12, v16
	v_fmac_f32_e32 v9, v13, v17
	;; [unrolled: 1-line block ×4, first 2 shown]
	global_load_dwordx4 v[12:15], v[20:21], off offset:112
	s_waitcnt vmcnt(0)
	v_fmac_f32_e32 v8, v12, v16
	v_fmac_f32_e32 v8, v13, v17
	;; [unrolled: 1-line block ×4, first 2 shown]
	s_andn2_b64 exec, exec, s[0:1]
	s_cbranch_execnz .LBB74_15
; %bb.16:
	s_or_b64 exec, exec, s[0:1]
.LBB74_17:
	s_or_b64 exec, exec, s[6:7]
.LBB74_18:
	v_mov_b32_dpp v2, v9 row_shr:1 row_mask:0xf bank_mask:0xf
	v_mov_b32_dpp v4, v8 row_shr:1 row_mask:0xf bank_mask:0xf
	v_add_f32_e32 v2, v9, v2
	v_add_f32_e32 v4, v8, v4
	v_cmp_eq_u32_e32 vcc, 63, v0
	v_mov_b32_dpp v3, v2 row_shr:2 row_mask:0xf bank_mask:0xf
	v_mov_b32_dpp v5, v4 row_shr:2 row_mask:0xf bank_mask:0xf
	v_add_f32_e32 v2, v2, v3
	v_add_f32_e32 v4, v4, v5
	s_nop 0
	v_mov_b32_dpp v3, v2 row_shr:4 row_mask:0xf bank_mask:0xe
	v_mov_b32_dpp v5, v4 row_shr:4 row_mask:0xf bank_mask:0xe
	v_add_f32_e32 v2, v2, v3
	v_add_f32_e32 v4, v4, v5
	s_nop 0
	v_mov_b32_dpp v3, v2 row_shr:8 row_mask:0xf bank_mask:0xc
	v_mov_b32_dpp v5, v4 row_shr:8 row_mask:0xf bank_mask:0xc
	v_add_f32_e32 v2, v2, v3
	v_add_f32_e32 v4, v4, v5
	s_nop 0
	v_mov_b32_dpp v3, v2 row_bcast:15 row_mask:0xa bank_mask:0xf
	v_mov_b32_dpp v5, v4 row_bcast:15 row_mask:0xa bank_mask:0xf
	v_add_f32_e32 v2, v2, v3
	v_add_f32_e32 v4, v4, v5
	s_nop 0
	v_mov_b32_dpp v3, v2 row_bcast:31 row_mask:0xc bank_mask:0xf
	v_mov_b32_dpp v5, v4 row_bcast:31 row_mask:0xc bank_mask:0xf
	s_and_b64 exec, exec, vcc
	s_cbranch_execz .LBB74_22
; %bb.19:
	s_load_dwordx2 s[0:1], s[4:5], 0x38
	v_add_f32_e32 v0, v2, v3
	v_add_f32_e32 v3, v4, v5
	v_cmp_eq_f32_e64 s[4:5], s2, 0
	s_and_b64 vcc, exec, s[4:5]
	v_mul_f32_e32 v2, s16, v0
	v_mul_f32_e32 v3, s16, v3
	v_lshlrev_b32_e32 v0, 1, v1
	s_cbranch_vccz .LBB74_23
; %bb.20:
	v_ashrrev_i32_e32 v1, 31, v0
	v_lshlrev_b64 v[4:5], 2, v[0:1]
	s_waitcnt lgkmcnt(0)
	v_mov_b32_e32 v1, s1
	v_add_co_u32_e32 v4, vcc, s0, v4
	v_addc_co_u32_e32 v5, vcc, v1, v5, vcc
	global_store_dwordx2 v[4:5], v[2:3], off
	s_cbranch_execnz .LBB74_22
.LBB74_21:
	v_ashrrev_i32_e32 v1, 31, v0
	v_lshlrev_b64 v[0:1], 2, v[0:1]
	s_waitcnt lgkmcnt(0)
	v_mov_b32_e32 v4, s1
	v_add_co_u32_e32 v0, vcc, s0, v0
	v_addc_co_u32_e32 v1, vcc, v4, v1, vcc
	global_load_dwordx2 v[4:5], v[0:1], off
	s_waitcnt vmcnt(0)
	v_fmac_f32_e32 v2, s2, v4
	v_fmac_f32_e32 v3, s2, v5
	global_store_dwordx2 v[0:1], v[2:3], off
.LBB74_22:
	s_endpgm
.LBB74_23:
	s_branch .LBB74_21
	.section	.rodata,"a",@progbits
	.p2align	6, 0x0
	.amdhsa_kernel _ZN9rocsparseL19gebsrmvn_2xn_kernelILj128ELj16ELj64EfEEvi20rocsparse_direction_NS_24const_host_device_scalarIT2_EEPKiS6_PKS3_S8_S4_PS3_21rocsparse_index_base_b
		.amdhsa_group_segment_fixed_size 0
		.amdhsa_private_segment_fixed_size 0
		.amdhsa_kernarg_size 72
		.amdhsa_user_sgpr_count 6
		.amdhsa_user_sgpr_private_segment_buffer 1
		.amdhsa_user_sgpr_dispatch_ptr 0
		.amdhsa_user_sgpr_queue_ptr 0
		.amdhsa_user_sgpr_kernarg_segment_ptr 1
		.amdhsa_user_sgpr_dispatch_id 0
		.amdhsa_user_sgpr_flat_scratch_init 0
		.amdhsa_user_sgpr_private_segment_size 0
		.amdhsa_uses_dynamic_stack 0
		.amdhsa_system_sgpr_private_segment_wavefront_offset 0
		.amdhsa_system_sgpr_workgroup_id_x 1
		.amdhsa_system_sgpr_workgroup_id_y 0
		.amdhsa_system_sgpr_workgroup_id_z 0
		.amdhsa_system_sgpr_workgroup_info 0
		.amdhsa_system_vgpr_workitem_id 0
		.amdhsa_next_free_vgpr 25
		.amdhsa_next_free_sgpr 20
		.amdhsa_reserve_vcc 1
		.amdhsa_reserve_flat_scratch 0
		.amdhsa_float_round_mode_32 0
		.amdhsa_float_round_mode_16_64 0
		.amdhsa_float_denorm_mode_32 3
		.amdhsa_float_denorm_mode_16_64 3
		.amdhsa_dx10_clamp 1
		.amdhsa_ieee_mode 1
		.amdhsa_fp16_overflow 0
		.amdhsa_exception_fp_ieee_invalid_op 0
		.amdhsa_exception_fp_denorm_src 0
		.amdhsa_exception_fp_ieee_div_zero 0
		.amdhsa_exception_fp_ieee_overflow 0
		.amdhsa_exception_fp_ieee_underflow 0
		.amdhsa_exception_fp_ieee_inexact 0
		.amdhsa_exception_int_div_zero 0
	.end_amdhsa_kernel
	.section	.text._ZN9rocsparseL19gebsrmvn_2xn_kernelILj128ELj16ELj64EfEEvi20rocsparse_direction_NS_24const_host_device_scalarIT2_EEPKiS6_PKS3_S8_S4_PS3_21rocsparse_index_base_b,"axG",@progbits,_ZN9rocsparseL19gebsrmvn_2xn_kernelILj128ELj16ELj64EfEEvi20rocsparse_direction_NS_24const_host_device_scalarIT2_EEPKiS6_PKS3_S8_S4_PS3_21rocsparse_index_base_b,comdat
.Lfunc_end74:
	.size	_ZN9rocsparseL19gebsrmvn_2xn_kernelILj128ELj16ELj64EfEEvi20rocsparse_direction_NS_24const_host_device_scalarIT2_EEPKiS6_PKS3_S8_S4_PS3_21rocsparse_index_base_b, .Lfunc_end74-_ZN9rocsparseL19gebsrmvn_2xn_kernelILj128ELj16ELj64EfEEvi20rocsparse_direction_NS_24const_host_device_scalarIT2_EEPKiS6_PKS3_S8_S4_PS3_21rocsparse_index_base_b
                                        ; -- End function
	.set _ZN9rocsparseL19gebsrmvn_2xn_kernelILj128ELj16ELj64EfEEvi20rocsparse_direction_NS_24const_host_device_scalarIT2_EEPKiS6_PKS3_S8_S4_PS3_21rocsparse_index_base_b.num_vgpr, 25
	.set _ZN9rocsparseL19gebsrmvn_2xn_kernelILj128ELj16ELj64EfEEvi20rocsparse_direction_NS_24const_host_device_scalarIT2_EEPKiS6_PKS3_S8_S4_PS3_21rocsparse_index_base_b.num_agpr, 0
	.set _ZN9rocsparseL19gebsrmvn_2xn_kernelILj128ELj16ELj64EfEEvi20rocsparse_direction_NS_24const_host_device_scalarIT2_EEPKiS6_PKS3_S8_S4_PS3_21rocsparse_index_base_b.numbered_sgpr, 20
	.set _ZN9rocsparseL19gebsrmvn_2xn_kernelILj128ELj16ELj64EfEEvi20rocsparse_direction_NS_24const_host_device_scalarIT2_EEPKiS6_PKS3_S8_S4_PS3_21rocsparse_index_base_b.num_named_barrier, 0
	.set _ZN9rocsparseL19gebsrmvn_2xn_kernelILj128ELj16ELj64EfEEvi20rocsparse_direction_NS_24const_host_device_scalarIT2_EEPKiS6_PKS3_S8_S4_PS3_21rocsparse_index_base_b.private_seg_size, 0
	.set _ZN9rocsparseL19gebsrmvn_2xn_kernelILj128ELj16ELj64EfEEvi20rocsparse_direction_NS_24const_host_device_scalarIT2_EEPKiS6_PKS3_S8_S4_PS3_21rocsparse_index_base_b.uses_vcc, 1
	.set _ZN9rocsparseL19gebsrmvn_2xn_kernelILj128ELj16ELj64EfEEvi20rocsparse_direction_NS_24const_host_device_scalarIT2_EEPKiS6_PKS3_S8_S4_PS3_21rocsparse_index_base_b.uses_flat_scratch, 0
	.set _ZN9rocsparseL19gebsrmvn_2xn_kernelILj128ELj16ELj64EfEEvi20rocsparse_direction_NS_24const_host_device_scalarIT2_EEPKiS6_PKS3_S8_S4_PS3_21rocsparse_index_base_b.has_dyn_sized_stack, 0
	.set _ZN9rocsparseL19gebsrmvn_2xn_kernelILj128ELj16ELj64EfEEvi20rocsparse_direction_NS_24const_host_device_scalarIT2_EEPKiS6_PKS3_S8_S4_PS3_21rocsparse_index_base_b.has_recursion, 0
	.set _ZN9rocsparseL19gebsrmvn_2xn_kernelILj128ELj16ELj64EfEEvi20rocsparse_direction_NS_24const_host_device_scalarIT2_EEPKiS6_PKS3_S8_S4_PS3_21rocsparse_index_base_b.has_indirect_call, 0
	.section	.AMDGPU.csdata,"",@progbits
; Kernel info:
; codeLenInByte = 1376
; TotalNumSgprs: 24
; NumVgprs: 25
; ScratchSize: 0
; MemoryBound: 0
; FloatMode: 240
; IeeeMode: 1
; LDSByteSize: 0 bytes/workgroup (compile time only)
; SGPRBlocks: 2
; VGPRBlocks: 6
; NumSGPRsForWavesPerEU: 24
; NumVGPRsForWavesPerEU: 25
; Occupancy: 9
; WaveLimiterHint : 1
; COMPUTE_PGM_RSRC2:SCRATCH_EN: 0
; COMPUTE_PGM_RSRC2:USER_SGPR: 6
; COMPUTE_PGM_RSRC2:TRAP_HANDLER: 0
; COMPUTE_PGM_RSRC2:TGID_X_EN: 1
; COMPUTE_PGM_RSRC2:TGID_Y_EN: 0
; COMPUTE_PGM_RSRC2:TGID_Z_EN: 0
; COMPUTE_PGM_RSRC2:TIDIG_COMP_CNT: 0
	.section	.text._ZN9rocsparseL23gebsrmvn_general_kernelILj32ELj32EfEEvi20rocsparse_direction_NS_24const_host_device_scalarIT1_EEPKiS6_PKS3_iiS8_S4_PS3_21rocsparse_index_base_b,"axG",@progbits,_ZN9rocsparseL23gebsrmvn_general_kernelILj32ELj32EfEEvi20rocsparse_direction_NS_24const_host_device_scalarIT1_EEPKiS6_PKS3_iiS8_S4_PS3_21rocsparse_index_base_b,comdat
	.globl	_ZN9rocsparseL23gebsrmvn_general_kernelILj32ELj32EfEEvi20rocsparse_direction_NS_24const_host_device_scalarIT1_EEPKiS6_PKS3_iiS8_S4_PS3_21rocsparse_index_base_b ; -- Begin function _ZN9rocsparseL23gebsrmvn_general_kernelILj32ELj32EfEEvi20rocsparse_direction_NS_24const_host_device_scalarIT1_EEPKiS6_PKS3_iiS8_S4_PS3_21rocsparse_index_base_b
	.p2align	8
	.type	_ZN9rocsparseL23gebsrmvn_general_kernelILj32ELj32EfEEvi20rocsparse_direction_NS_24const_host_device_scalarIT1_EEPKiS6_PKS3_iiS8_S4_PS3_21rocsparse_index_base_b,@function
_ZN9rocsparseL23gebsrmvn_general_kernelILj32ELj32EfEEvi20rocsparse_direction_NS_24const_host_device_scalarIT1_EEPKiS6_PKS3_iiS8_S4_PS3_21rocsparse_index_base_b: ; @_ZN9rocsparseL23gebsrmvn_general_kernelILj32ELj32EfEEvi20rocsparse_direction_NS_24const_host_device_scalarIT1_EEPKiS6_PKS3_iiS8_S4_PS3_21rocsparse_index_base_b
; %bb.0:
	s_load_dwordx2 s[12:13], s[4:5], 0x48
	s_load_dwordx2 s[14:15], s[4:5], 0x8
	;; [unrolled: 1-line block ×3, first 2 shown]
	s_waitcnt lgkmcnt(0)
	s_bitcmp1_b32 s13, 0
	s_cselect_b64 s[2:3], -1, 0
	s_xor_b64 s[0:1], s[2:3], -1
	s_and_b64 vcc, exec, s[2:3]
	s_cbranch_vccnz .LBB75_2
; %bb.1:
	s_load_dword s14, s[14:15], 0x0
.LBB75_2:
	s_andn2_b64 vcc, exec, s[0:1]
	s_cbranch_vccnz .LBB75_4
; %bb.3:
	s_load_dword s16, s[16:17], 0x0
.LBB75_4:
	s_waitcnt lgkmcnt(0)
	v_cmp_eq_f32_e64 s[0:1], s14, 0
	v_cmp_eq_f32_e64 s[2:3], s16, 1.0
	s_and_b64 s[0:1], s[0:1], s[2:3]
	s_and_b64 vcc, exec, s[0:1]
	s_cbranch_vccnz .LBB75_24
; %bb.5:
	s_load_dwordx2 s[18:19], s[4:5], 0x28
	s_waitcnt lgkmcnt(0)
	s_cmp_gt_i32 s18, 0
	s_cselect_b64 s[0:1], -1, 0
	s_and_saveexec_b64 s[2:3], s[0:1]
	s_cbranch_execz .LBB75_24
; %bb.6:
	s_load_dwordx4 s[8:11], s[4:5], 0x10
	s_load_dword s17, s[4:5], 0x4
	s_ashr_i32 s7, s6, 31
	s_lshl_b64 s[0:1], s[6:7], 2
	v_mov_b32_e32 v1, 0
	s_waitcnt lgkmcnt(0)
	s_add_u32 s0, s8, s0
	s_addc_u32 s1, s9, s1
	s_load_dwordx2 s[2:3], s[0:1], 0x0
	s_load_dwordx2 s[8:9], s[4:5], 0x20
	;; [unrolled: 1-line block ×4, first 2 shown]
	v_cmp_gt_i32_e64 s[0:1], s19, v0
	s_waitcnt lgkmcnt(0)
	s_sub_i32 s13, s2, s12
	s_sub_i32 s15, s3, s12
	s_cmp_lt_i32 s2, s3
	s_cselect_b64 s[4:5], -1, 0
	s_cmp_lg_u32 s17, 0
	s_mul_i32 s17, s18, s6
	s_mul_i32 s6, s18, s13
	;; [unrolled: 1-line block ×3, first 2 shown]
	v_cndmask_b32_e64 v2, 0, 1, s[4:5]
	s_cselect_b64 s[24:25], -1, 0
	v_cmp_eq_u32_e64 s[2:3], 31, v0
	v_cmp_eq_f32_e64 s[26:27], s16, 0
	v_mov_b32_e32 v4, s6
	s_mul_i32 s33, s19, s18
	s_mov_b64 s[6:7], 0
	v_cmp_ne_u32_e64 s[4:5], 1, v2
	s_branch .LBB75_8
.LBB75_7:                               ;   in Loop: Header=BB75_8 Depth=1
	s_or_b64 exec, exec, s[28:29]
	v_add_u32_e32 v1, 1, v1
	v_cmp_le_i32_e32 vcc, s18, v1
	s_or_b64 s[6:7], vcc, s[6:7]
	v_add_u32_e32 v4, s19, v4
	s_andn2_b64 exec, exec, s[6:7]
	s_cbranch_execz .LBB75_24
.LBB75_8:                               ; =>This Loop Header: Depth=1
                                        ;     Child Loop BB75_12 Depth 2
                                        ;       Child Loop BB75_15 Depth 3
	s_and_b64 vcc, exec, s[4:5]
	v_mov_b32_e32 v5, 0
	s_cbranch_vccnz .LBB75_19
; %bb.9:                                ;   in Loop: Header=BB75_8 Depth=1
	v_mov_b32_e32 v5, 0
	v_mov_b32_e32 v6, v4
	s_mov_b32 s28, s13
	s_branch .LBB75_12
.LBB75_10:                              ;   in Loop: Header=BB75_12 Depth=2
	s_or_b64 exec, exec, s[34:35]
.LBB75_11:                              ;   in Loop: Header=BB75_12 Depth=2
	s_or_b64 exec, exec, s[30:31]
	s_add_i32 s28, s28, 1
	s_cmp_ge_i32 s28, s15
	v_add_u32_e32 v6, s33, v6
	s_cbranch_scc1 .LBB75_19
.LBB75_12:                              ;   Parent Loop BB75_8 Depth=1
                                        ; =>  This Loop Header: Depth=2
                                        ;       Child Loop BB75_15 Depth 3
	s_and_saveexec_b64 s[30:31], s[0:1]
	s_cbranch_execz .LBB75_11
; %bb.13:                               ;   in Loop: Header=BB75_12 Depth=2
	s_ashr_i32 s29, s28, 31
	s_lshl_b64 s[34:35], s[28:29], 2
	s_add_u32 s34, s10, s34
	s_addc_u32 s35, s11, s35
	s_load_dword s36, s[34:35], 0x0
	s_mul_i32 s29, s28, s19
	s_mov_b64 s[34:35], 0
	v_mov_b32_e32 v7, v0
	s_waitcnt lgkmcnt(0)
	s_sub_i32 s38, s36, s12
	s_mul_i32 s38, s38, s19
	s_branch .LBB75_15
.LBB75_14:                              ;   in Loop: Header=BB75_15 Depth=3
	v_ashrrev_i32_e32 v3, 31, v2
	v_lshlrev_b64 v[2:3], 2, v[2:3]
	v_mov_b32_e32 v8, s9
	v_add_co_u32_e32 v2, vcc, s8, v2
	v_addc_co_u32_e32 v3, vcc, v8, v3, vcc
	global_load_dword v8, v[2:3], off
	v_add_u32_e32 v2, s38, v7
	v_ashrrev_i32_e32 v3, 31, v2
	v_lshlrev_b64 v[2:3], 2, v[2:3]
	v_mov_b32_e32 v9, s21
	v_add_co_u32_e32 v2, vcc, s20, v2
	v_addc_co_u32_e32 v3, vcc, v9, v3, vcc
	global_load_dword v2, v[2:3], off
	v_add_u32_e32 v7, 32, v7
	v_cmp_le_i32_e32 vcc, s19, v7
	s_or_b64 s[34:35], vcc, s[34:35]
	s_waitcnt vmcnt(0)
	v_fmac_f32_e32 v5, v8, v2
	s_andn2_b64 exec, exec, s[34:35]
	s_cbranch_execz .LBB75_10
.LBB75_15:                              ;   Parent Loop BB75_8 Depth=1
                                        ;     Parent Loop BB75_12 Depth=2
                                        ; =>    This Inner Loop Header: Depth=3
	s_and_b64 vcc, exec, s[24:25]
	s_cbranch_vccz .LBB75_17
; %bb.16:                               ;   in Loop: Header=BB75_15 Depth=3
	v_add_u32_e32 v2, s29, v7
	v_mad_u64_u32 v[2:3], s[36:37], v2, s18, v[1:2]
	s_cbranch_execnz .LBB75_14
	s_branch .LBB75_18
.LBB75_17:                              ;   in Loop: Header=BB75_15 Depth=3
                                        ; implicit-def: $vgpr2
.LBB75_18:                              ;   in Loop: Header=BB75_15 Depth=3
	v_add_u32_e32 v2, v6, v7
	s_branch .LBB75_14
.LBB75_19:                              ;   in Loop: Header=BB75_8 Depth=1
	s_nop 0
	v_mov_b32_dpp v2, v5 row_shr:1 row_mask:0xf bank_mask:0xf
	v_add_f32_e32 v2, v5, v2
	s_nop 1
	v_mov_b32_dpp v3, v2 row_shr:2 row_mask:0xf bank_mask:0xf
	v_add_f32_e32 v2, v2, v3
	s_nop 1
	v_mov_b32_dpp v3, v2 row_shr:4 row_mask:0xf bank_mask:0xe
	v_add_f32_e32 v2, v2, v3
	s_nop 1
	v_mov_b32_dpp v3, v2 row_shr:8 row_mask:0xf bank_mask:0xc
	v_add_f32_e32 v2, v2, v3
	s_nop 1
	v_mov_b32_dpp v3, v2 row_bcast:15 row_mask:0xa bank_mask:0xf
	s_and_saveexec_b64 s[28:29], s[2:3]
	s_cbranch_execz .LBB75_7
; %bb.20:                               ;   in Loop: Header=BB75_8 Depth=1
	v_add_f32_e32 v2, v2, v3
	v_mul_f32_e32 v5, s14, v2
	v_add_u32_e32 v2, s17, v1
	s_and_b64 vcc, exec, s[26:27]
	v_ashrrev_i32_e32 v3, 31, v2
	s_cbranch_vccz .LBB75_22
; %bb.21:                               ;   in Loop: Header=BB75_8 Depth=1
	v_lshlrev_b64 v[6:7], 2, v[2:3]
	v_mov_b32_e32 v8, s23
	v_add_co_u32_e32 v6, vcc, s22, v6
	v_addc_co_u32_e32 v7, vcc, v8, v7, vcc
	global_store_dword v[6:7], v5, off
	s_cbranch_execnz .LBB75_7
	s_branch .LBB75_23
.LBB75_22:                              ;   in Loop: Header=BB75_8 Depth=1
.LBB75_23:                              ;   in Loop: Header=BB75_8 Depth=1
	v_lshlrev_b64 v[2:3], 2, v[2:3]
	v_mov_b32_e32 v6, s23
	v_add_co_u32_e32 v2, vcc, s22, v2
	v_addc_co_u32_e32 v3, vcc, v6, v3, vcc
	global_load_dword v6, v[2:3], off
	s_waitcnt vmcnt(0)
	v_fmac_f32_e32 v5, s16, v6
	global_store_dword v[2:3], v5, off
	s_branch .LBB75_7
.LBB75_24:
	s_endpgm
	.section	.rodata,"a",@progbits
	.p2align	6, 0x0
	.amdhsa_kernel _ZN9rocsparseL23gebsrmvn_general_kernelILj32ELj32EfEEvi20rocsparse_direction_NS_24const_host_device_scalarIT1_EEPKiS6_PKS3_iiS8_S4_PS3_21rocsparse_index_base_b
		.amdhsa_group_segment_fixed_size 0
		.amdhsa_private_segment_fixed_size 0
		.amdhsa_kernarg_size 80
		.amdhsa_user_sgpr_count 6
		.amdhsa_user_sgpr_private_segment_buffer 1
		.amdhsa_user_sgpr_dispatch_ptr 0
		.amdhsa_user_sgpr_queue_ptr 0
		.amdhsa_user_sgpr_kernarg_segment_ptr 1
		.amdhsa_user_sgpr_dispatch_id 0
		.amdhsa_user_sgpr_flat_scratch_init 0
		.amdhsa_user_sgpr_private_segment_size 0
		.amdhsa_uses_dynamic_stack 0
		.amdhsa_system_sgpr_private_segment_wavefront_offset 0
		.amdhsa_system_sgpr_workgroup_id_x 1
		.amdhsa_system_sgpr_workgroup_id_y 0
		.amdhsa_system_sgpr_workgroup_id_z 0
		.amdhsa_system_sgpr_workgroup_info 0
		.amdhsa_system_vgpr_workitem_id 0
		.amdhsa_next_free_vgpr 10
		.amdhsa_next_free_sgpr 39
		.amdhsa_reserve_vcc 1
		.amdhsa_reserve_flat_scratch 0
		.amdhsa_float_round_mode_32 0
		.amdhsa_float_round_mode_16_64 0
		.amdhsa_float_denorm_mode_32 3
		.amdhsa_float_denorm_mode_16_64 3
		.amdhsa_dx10_clamp 1
		.amdhsa_ieee_mode 1
		.amdhsa_fp16_overflow 0
		.amdhsa_exception_fp_ieee_invalid_op 0
		.amdhsa_exception_fp_denorm_src 0
		.amdhsa_exception_fp_ieee_div_zero 0
		.amdhsa_exception_fp_ieee_overflow 0
		.amdhsa_exception_fp_ieee_underflow 0
		.amdhsa_exception_fp_ieee_inexact 0
		.amdhsa_exception_int_div_zero 0
	.end_amdhsa_kernel
	.section	.text._ZN9rocsparseL23gebsrmvn_general_kernelILj32ELj32EfEEvi20rocsparse_direction_NS_24const_host_device_scalarIT1_EEPKiS6_PKS3_iiS8_S4_PS3_21rocsparse_index_base_b,"axG",@progbits,_ZN9rocsparseL23gebsrmvn_general_kernelILj32ELj32EfEEvi20rocsparse_direction_NS_24const_host_device_scalarIT1_EEPKiS6_PKS3_iiS8_S4_PS3_21rocsparse_index_base_b,comdat
.Lfunc_end75:
	.size	_ZN9rocsparseL23gebsrmvn_general_kernelILj32ELj32EfEEvi20rocsparse_direction_NS_24const_host_device_scalarIT1_EEPKiS6_PKS3_iiS8_S4_PS3_21rocsparse_index_base_b, .Lfunc_end75-_ZN9rocsparseL23gebsrmvn_general_kernelILj32ELj32EfEEvi20rocsparse_direction_NS_24const_host_device_scalarIT1_EEPKiS6_PKS3_iiS8_S4_PS3_21rocsparse_index_base_b
                                        ; -- End function
	.set _ZN9rocsparseL23gebsrmvn_general_kernelILj32ELj32EfEEvi20rocsparse_direction_NS_24const_host_device_scalarIT1_EEPKiS6_PKS3_iiS8_S4_PS3_21rocsparse_index_base_b.num_vgpr, 10
	.set _ZN9rocsparseL23gebsrmvn_general_kernelILj32ELj32EfEEvi20rocsparse_direction_NS_24const_host_device_scalarIT1_EEPKiS6_PKS3_iiS8_S4_PS3_21rocsparse_index_base_b.num_agpr, 0
	.set _ZN9rocsparseL23gebsrmvn_general_kernelILj32ELj32EfEEvi20rocsparse_direction_NS_24const_host_device_scalarIT1_EEPKiS6_PKS3_iiS8_S4_PS3_21rocsparse_index_base_b.numbered_sgpr, 39
	.set _ZN9rocsparseL23gebsrmvn_general_kernelILj32ELj32EfEEvi20rocsparse_direction_NS_24const_host_device_scalarIT1_EEPKiS6_PKS3_iiS8_S4_PS3_21rocsparse_index_base_b.num_named_barrier, 0
	.set _ZN9rocsparseL23gebsrmvn_general_kernelILj32ELj32EfEEvi20rocsparse_direction_NS_24const_host_device_scalarIT1_EEPKiS6_PKS3_iiS8_S4_PS3_21rocsparse_index_base_b.private_seg_size, 0
	.set _ZN9rocsparseL23gebsrmvn_general_kernelILj32ELj32EfEEvi20rocsparse_direction_NS_24const_host_device_scalarIT1_EEPKiS6_PKS3_iiS8_S4_PS3_21rocsparse_index_base_b.uses_vcc, 1
	.set _ZN9rocsparseL23gebsrmvn_general_kernelILj32ELj32EfEEvi20rocsparse_direction_NS_24const_host_device_scalarIT1_EEPKiS6_PKS3_iiS8_S4_PS3_21rocsparse_index_base_b.uses_flat_scratch, 0
	.set _ZN9rocsparseL23gebsrmvn_general_kernelILj32ELj32EfEEvi20rocsparse_direction_NS_24const_host_device_scalarIT1_EEPKiS6_PKS3_iiS8_S4_PS3_21rocsparse_index_base_b.has_dyn_sized_stack, 0
	.set _ZN9rocsparseL23gebsrmvn_general_kernelILj32ELj32EfEEvi20rocsparse_direction_NS_24const_host_device_scalarIT1_EEPKiS6_PKS3_iiS8_S4_PS3_21rocsparse_index_base_b.has_recursion, 0
	.set _ZN9rocsparseL23gebsrmvn_general_kernelILj32ELj32EfEEvi20rocsparse_direction_NS_24const_host_device_scalarIT1_EEPKiS6_PKS3_iiS8_S4_PS3_21rocsparse_index_base_b.has_indirect_call, 0
	.section	.AMDGPU.csdata,"",@progbits
; Kernel info:
; codeLenInByte = 768
; TotalNumSgprs: 43
; NumVgprs: 10
; ScratchSize: 0
; MemoryBound: 0
; FloatMode: 240
; IeeeMode: 1
; LDSByteSize: 0 bytes/workgroup (compile time only)
; SGPRBlocks: 5
; VGPRBlocks: 2
; NumSGPRsForWavesPerEU: 43
; NumVGPRsForWavesPerEU: 10
; Occupancy: 10
; WaveLimiterHint : 1
; COMPUTE_PGM_RSRC2:SCRATCH_EN: 0
; COMPUTE_PGM_RSRC2:USER_SGPR: 6
; COMPUTE_PGM_RSRC2:TRAP_HANDLER: 0
; COMPUTE_PGM_RSRC2:TGID_X_EN: 1
; COMPUTE_PGM_RSRC2:TGID_Y_EN: 0
; COMPUTE_PGM_RSRC2:TGID_Z_EN: 0
; COMPUTE_PGM_RSRC2:TIDIG_COMP_CNT: 0
	.section	.text._ZN9rocsparseL19gebsrmvn_2xn_kernelILj128ELj1ELj4EdEEvi20rocsparse_direction_NS_24const_host_device_scalarIT2_EEPKiS6_PKS3_S8_S4_PS3_21rocsparse_index_base_b,"axG",@progbits,_ZN9rocsparseL19gebsrmvn_2xn_kernelILj128ELj1ELj4EdEEvi20rocsparse_direction_NS_24const_host_device_scalarIT2_EEPKiS6_PKS3_S8_S4_PS3_21rocsparse_index_base_b,comdat
	.globl	_ZN9rocsparseL19gebsrmvn_2xn_kernelILj128ELj1ELj4EdEEvi20rocsparse_direction_NS_24const_host_device_scalarIT2_EEPKiS6_PKS3_S8_S4_PS3_21rocsparse_index_base_b ; -- Begin function _ZN9rocsparseL19gebsrmvn_2xn_kernelILj128ELj1ELj4EdEEvi20rocsparse_direction_NS_24const_host_device_scalarIT2_EEPKiS6_PKS3_S8_S4_PS3_21rocsparse_index_base_b
	.p2align	8
	.type	_ZN9rocsparseL19gebsrmvn_2xn_kernelILj128ELj1ELj4EdEEvi20rocsparse_direction_NS_24const_host_device_scalarIT2_EEPKiS6_PKS3_S8_S4_PS3_21rocsparse_index_base_b,@function
_ZN9rocsparseL19gebsrmvn_2xn_kernelILj128ELj1ELj4EdEEvi20rocsparse_direction_NS_24const_host_device_scalarIT2_EEPKiS6_PKS3_S8_S4_PS3_21rocsparse_index_base_b: ; @_ZN9rocsparseL19gebsrmvn_2xn_kernelILj128ELj1ELj4EdEEvi20rocsparse_direction_NS_24const_host_device_scalarIT2_EEPKiS6_PKS3_S8_S4_PS3_21rocsparse_index_base_b
; %bb.0:
	s_load_dwordx2 s[2:3], s[4:5], 0x40
	s_load_dwordx2 s[10:11], s[4:5], 0x8
	s_load_dwordx2 s[0:1], s[4:5], 0x30
	s_waitcnt lgkmcnt(0)
	s_bitcmp1_b32 s3, 0
	s_cselect_b64 s[12:13], -1, 0
	v_mov_b32_e32 v1, s10
	s_xor_b64 s[8:9], s[12:13], -1
	s_and_b64 vcc, exec, s[12:13]
	v_mov_b32_e32 v2, s11
	s_cbranch_vccnz .LBB76_2
; %bb.1:
	v_mov_b32_e32 v1, s10
	v_mov_b32_e32 v2, s11
	flat_load_dwordx2 v[1:2], v[1:2]
.LBB76_2:
	v_mov_b32_e32 v4, s1
	s_andn2_b64 vcc, exec, s[8:9]
	v_mov_b32_e32 v3, s0
	s_cbranch_vccnz .LBB76_4
; %bb.3:
	v_mov_b32_e32 v4, s1
	v_mov_b32_e32 v3, s0
	flat_load_dwordx2 v[3:4], v[3:4]
.LBB76_4:
	s_waitcnt vmcnt(0) lgkmcnt(0)
	v_cmp_neq_f64_e32 vcc, 0, v[1:2]
	v_cmp_neq_f64_e64 s[0:1], 1.0, v[3:4]
	s_or_b64 s[0:1], vcc, s[0:1]
	s_and_saveexec_b64 s[8:9], s[0:1]
	s_cbranch_execz .LBB76_23
; %bb.5:
	s_load_dwordx2 s[0:1], s[4:5], 0x0
	v_lshrrev_b32_e32 v5, 2, v0
	v_lshl_or_b32 v5, s6, 5, v5
	s_waitcnt lgkmcnt(0)
	v_cmp_gt_i32_e32 vcc, s0, v5
	s_and_b64 exec, exec, vcc
	s_cbranch_execz .LBB76_23
; %bb.6:
	s_load_dwordx8 s[8:15], s[4:5], 0x10
	v_ashrrev_i32_e32 v6, 31, v5
	v_lshlrev_b64 v[6:7], 2, v[5:6]
	v_and_b32_e32 v0, 3, v0
	s_cmp_lg_u32 s1, 0
	s_waitcnt lgkmcnt(0)
	v_mov_b32_e32 v8, s9
	v_add_co_u32_e32 v6, vcc, s8, v6
	v_addc_co_u32_e32 v7, vcc, v8, v7, vcc
	global_load_dwordx2 v[6:7], v[6:7], off
	s_waitcnt vmcnt(0)
	v_subrev_u32_e32 v6, s2, v6
	v_subrev_u32_e32 v16, s2, v7
	v_add_u32_e32 v8, v6, v0
	v_cmp_lt_i32_e64 s[0:1], v8, v16
	s_cbranch_scc0 .LBB76_12
; %bb.7:
	v_mov_b32_e32 v6, 0
	v_mov_b32_e32 v10, 0
	;; [unrolled: 1-line block ×4, first 2 shown]
	s_and_saveexec_b64 s[6:7], s[0:1]
	s_cbranch_execz .LBB76_11
; %bb.8:
	v_mov_b32_e32 v6, 0
	v_mov_b32_e32 v10, 0
	v_lshlrev_b32_e32 v12, 1, v8
	v_mov_b32_e32 v7, 0
	s_mov_b64 s[8:9], 0
	v_mov_b32_e32 v9, s11
	v_mov_b32_e32 v13, 0
	;; [unrolled: 1-line block ×6, first 2 shown]
.LBB76_9:                               ; =>This Inner Loop Header: Depth=1
	v_ashrrev_i32_e32 v15, 31, v14
	v_lshlrev_b64 v[19:20], 2, v[14:15]
	v_mov_b32_e32 v24, v13
	v_add_co_u32_e32 v19, vcc, s10, v19
	v_addc_co_u32_e32 v20, vcc, v9, v20, vcc
	global_load_dword v15, v[19:20], off
	v_lshlrev_b64 v[19:20], 3, v[12:13]
	v_add_u32_e32 v14, 4, v14
	v_add_co_u32_e32 v19, vcc, s12, v19
	v_addc_co_u32_e32 v20, vcc, v17, v20, vcc
	global_load_dwordx4 v[19:22], v[19:20], off
	v_add_u32_e32 v12, 8, v12
	s_waitcnt vmcnt(1)
	v_subrev_u32_e32 v23, s2, v15
	v_lshlrev_b64 v[23:24], 3, v[23:24]
	v_add_co_u32_e32 v23, vcc, s14, v23
	v_addc_co_u32_e32 v24, vcc, v18, v24, vcc
	global_load_dwordx2 v[23:24], v[23:24], off
	v_cmp_ge_i32_e32 vcc, v14, v16
	s_or_b64 s[8:9], vcc, s[8:9]
	s_waitcnt vmcnt(0)
	v_fma_f64 v[6:7], v[19:20], v[23:24], v[6:7]
	v_fma_f64 v[10:11], v[21:22], v[23:24], v[10:11]
	s_andn2_b64 exec, exec, s[8:9]
	s_cbranch_execnz .LBB76_9
; %bb.10:
	s_or_b64 exec, exec, s[8:9]
.LBB76_11:
	s_or_b64 exec, exec, s[6:7]
	s_cbranch_execz .LBB76_13
	s_branch .LBB76_18
.LBB76_12:
                                        ; implicit-def: $vgpr6_vgpr7
                                        ; implicit-def: $vgpr10_vgpr11
.LBB76_13:
	v_mov_b32_e32 v6, 0
	v_mov_b32_e32 v10, 0
	v_mov_b32_e32 v7, 0
	v_mov_b32_e32 v11, 0
	s_and_saveexec_b64 s[6:7], s[0:1]
	s_cbranch_execz .LBB76_17
; %bb.14:
	v_mov_b32_e32 v6, 0
	v_mov_b32_e32 v10, 0
	v_lshlrev_b32_e32 v12, 1, v8
	v_mov_b32_e32 v7, 0
	s_mov_b64 s[0:1], 0
	v_mov_b32_e32 v14, s11
	v_mov_b32_e32 v13, 0
	;; [unrolled: 1-line block ×5, first 2 shown]
.LBB76_15:                              ; =>This Inner Loop Header: Depth=1
	v_ashrrev_i32_e32 v9, 31, v8
	v_lshlrev_b64 v[18:19], 2, v[8:9]
	v_mov_b32_e32 v23, v13
	v_add_co_u32_e32 v18, vcc, s10, v18
	v_addc_co_u32_e32 v19, vcc, v14, v19, vcc
	global_load_dword v9, v[18:19], off
	v_lshlrev_b64 v[18:19], 3, v[12:13]
	v_add_u32_e32 v8, 4, v8
	v_add_co_u32_e32 v18, vcc, s12, v18
	v_addc_co_u32_e32 v19, vcc, v15, v19, vcc
	global_load_dwordx4 v[18:21], v[18:19], off
	v_add_u32_e32 v12, 8, v12
	s_waitcnt vmcnt(1)
	v_subrev_u32_e32 v22, s2, v9
	v_lshlrev_b64 v[22:23], 3, v[22:23]
	v_add_co_u32_e32 v22, vcc, s14, v22
	v_addc_co_u32_e32 v23, vcc, v17, v23, vcc
	global_load_dwordx2 v[22:23], v[22:23], off
	v_cmp_ge_i32_e32 vcc, v8, v16
	s_or_b64 s[0:1], vcc, s[0:1]
	s_waitcnt vmcnt(0)
	v_fma_f64 v[6:7], v[18:19], v[22:23], v[6:7]
	v_fma_f64 v[10:11], v[20:21], v[22:23], v[10:11]
	s_andn2_b64 exec, exec, s[0:1]
	s_cbranch_execnz .LBB76_15
; %bb.16:
	s_or_b64 exec, exec, s[0:1]
.LBB76_17:
	s_or_b64 exec, exec, s[6:7]
.LBB76_18:
	v_mov_b32_dpp v8, v6 row_shr:1 row_mask:0xf bank_mask:0xf
	v_mov_b32_dpp v9, v7 row_shr:1 row_mask:0xf bank_mask:0xf
	v_add_f64 v[6:7], v[6:7], v[8:9]
	v_mov_b32_dpp v8, v10 row_shr:1 row_mask:0xf bank_mask:0xf
	v_mov_b32_dpp v9, v11 row_shr:1 row_mask:0xf bank_mask:0xf
	v_add_f64 v[10:11], v[10:11], v[8:9]
	v_cmp_eq_u32_e32 vcc, 3, v0
	v_mov_b32_dpp v8, v6 row_shr:2 row_mask:0xf bank_mask:0xf
	v_mov_b32_dpp v9, v7 row_shr:2 row_mask:0xf bank_mask:0xf
	;; [unrolled: 1-line block ×4, first 2 shown]
	s_and_b64 exec, exec, vcc
	s_cbranch_execz .LBB76_23
; %bb.19:
	v_add_f64 v[8:9], v[6:7], v[8:9]
	v_add_f64 v[6:7], v[10:11], v[12:13]
	v_cmp_eq_f64_e32 vcc, 0, v[3:4]
	s_load_dwordx2 s[0:1], s[4:5], 0x38
	s_and_saveexec_b64 s[2:3], vcc
	s_xor_b64 s[2:3], exec, s[2:3]
	s_cbranch_execz .LBB76_21
; %bb.20:
	v_mul_f64 v[3:4], v[1:2], v[8:9]
	v_lshlrev_b32_e32 v0, 1, v5
	v_mul_f64 v[5:6], v[1:2], v[6:7]
	v_ashrrev_i32_e32 v1, 31, v0
	v_lshlrev_b64 v[0:1], 3, v[0:1]
	s_waitcnt lgkmcnt(0)
	v_mov_b32_e32 v2, s1
	v_add_co_u32_e32 v0, vcc, s0, v0
	v_addc_co_u32_e32 v1, vcc, v2, v1, vcc
	global_store_dwordx4 v[0:1], v[3:6], off
                                        ; implicit-def: $vgpr5
                                        ; implicit-def: $vgpr1_vgpr2
                                        ; implicit-def: $vgpr8_vgpr9
                                        ; implicit-def: $vgpr3_vgpr4
                                        ; implicit-def: $vgpr6_vgpr7
.LBB76_21:
	s_andn2_saveexec_b64 s[2:3], s[2:3]
	s_cbranch_execz .LBB76_23
; %bb.22:
	v_lshlrev_b32_e32 v10, 1, v5
	v_ashrrev_i32_e32 v11, 31, v10
	v_lshlrev_b64 v[10:11], 3, v[10:11]
	s_waitcnt lgkmcnt(0)
	v_mov_b32_e32 v0, s1
	v_add_co_u32_e32 v14, vcc, s0, v10
	v_addc_co_u32_e32 v15, vcc, v0, v11, vcc
	global_load_dwordx4 v[10:13], v[14:15], off
	v_mul_f64 v[8:9], v[1:2], v[8:9]
	v_mul_f64 v[5:6], v[1:2], v[6:7]
	s_waitcnt vmcnt(0)
	v_fma_f64 v[0:1], v[3:4], v[10:11], v[8:9]
	v_fma_f64 v[2:3], v[3:4], v[12:13], v[5:6]
	global_store_dwordx4 v[14:15], v[0:3], off
.LBB76_23:
	s_endpgm
	.section	.rodata,"a",@progbits
	.p2align	6, 0x0
	.amdhsa_kernel _ZN9rocsparseL19gebsrmvn_2xn_kernelILj128ELj1ELj4EdEEvi20rocsparse_direction_NS_24const_host_device_scalarIT2_EEPKiS6_PKS3_S8_S4_PS3_21rocsparse_index_base_b
		.amdhsa_group_segment_fixed_size 0
		.amdhsa_private_segment_fixed_size 0
		.amdhsa_kernarg_size 72
		.amdhsa_user_sgpr_count 6
		.amdhsa_user_sgpr_private_segment_buffer 1
		.amdhsa_user_sgpr_dispatch_ptr 0
		.amdhsa_user_sgpr_queue_ptr 0
		.amdhsa_user_sgpr_kernarg_segment_ptr 1
		.amdhsa_user_sgpr_dispatch_id 0
		.amdhsa_user_sgpr_flat_scratch_init 0
		.amdhsa_user_sgpr_private_segment_size 0
		.amdhsa_uses_dynamic_stack 0
		.amdhsa_system_sgpr_private_segment_wavefront_offset 0
		.amdhsa_system_sgpr_workgroup_id_x 1
		.amdhsa_system_sgpr_workgroup_id_y 0
		.amdhsa_system_sgpr_workgroup_id_z 0
		.amdhsa_system_sgpr_workgroup_info 0
		.amdhsa_system_vgpr_workitem_id 0
		.amdhsa_next_free_vgpr 25
		.amdhsa_next_free_sgpr 16
		.amdhsa_reserve_vcc 1
		.amdhsa_reserve_flat_scratch 0
		.amdhsa_float_round_mode_32 0
		.amdhsa_float_round_mode_16_64 0
		.amdhsa_float_denorm_mode_32 3
		.amdhsa_float_denorm_mode_16_64 3
		.amdhsa_dx10_clamp 1
		.amdhsa_ieee_mode 1
		.amdhsa_fp16_overflow 0
		.amdhsa_exception_fp_ieee_invalid_op 0
		.amdhsa_exception_fp_denorm_src 0
		.amdhsa_exception_fp_ieee_div_zero 0
		.amdhsa_exception_fp_ieee_overflow 0
		.amdhsa_exception_fp_ieee_underflow 0
		.amdhsa_exception_fp_ieee_inexact 0
		.amdhsa_exception_int_div_zero 0
	.end_amdhsa_kernel
	.section	.text._ZN9rocsparseL19gebsrmvn_2xn_kernelILj128ELj1ELj4EdEEvi20rocsparse_direction_NS_24const_host_device_scalarIT2_EEPKiS6_PKS3_S8_S4_PS3_21rocsparse_index_base_b,"axG",@progbits,_ZN9rocsparseL19gebsrmvn_2xn_kernelILj128ELj1ELj4EdEEvi20rocsparse_direction_NS_24const_host_device_scalarIT2_EEPKiS6_PKS3_S8_S4_PS3_21rocsparse_index_base_b,comdat
.Lfunc_end76:
	.size	_ZN9rocsparseL19gebsrmvn_2xn_kernelILj128ELj1ELj4EdEEvi20rocsparse_direction_NS_24const_host_device_scalarIT2_EEPKiS6_PKS3_S8_S4_PS3_21rocsparse_index_base_b, .Lfunc_end76-_ZN9rocsparseL19gebsrmvn_2xn_kernelILj128ELj1ELj4EdEEvi20rocsparse_direction_NS_24const_host_device_scalarIT2_EEPKiS6_PKS3_S8_S4_PS3_21rocsparse_index_base_b
                                        ; -- End function
	.set _ZN9rocsparseL19gebsrmvn_2xn_kernelILj128ELj1ELj4EdEEvi20rocsparse_direction_NS_24const_host_device_scalarIT2_EEPKiS6_PKS3_S8_S4_PS3_21rocsparse_index_base_b.num_vgpr, 25
	.set _ZN9rocsparseL19gebsrmvn_2xn_kernelILj128ELj1ELj4EdEEvi20rocsparse_direction_NS_24const_host_device_scalarIT2_EEPKiS6_PKS3_S8_S4_PS3_21rocsparse_index_base_b.num_agpr, 0
	.set _ZN9rocsparseL19gebsrmvn_2xn_kernelILj128ELj1ELj4EdEEvi20rocsparse_direction_NS_24const_host_device_scalarIT2_EEPKiS6_PKS3_S8_S4_PS3_21rocsparse_index_base_b.numbered_sgpr, 16
	.set _ZN9rocsparseL19gebsrmvn_2xn_kernelILj128ELj1ELj4EdEEvi20rocsparse_direction_NS_24const_host_device_scalarIT2_EEPKiS6_PKS3_S8_S4_PS3_21rocsparse_index_base_b.num_named_barrier, 0
	.set _ZN9rocsparseL19gebsrmvn_2xn_kernelILj128ELj1ELj4EdEEvi20rocsparse_direction_NS_24const_host_device_scalarIT2_EEPKiS6_PKS3_S8_S4_PS3_21rocsparse_index_base_b.private_seg_size, 0
	.set _ZN9rocsparseL19gebsrmvn_2xn_kernelILj128ELj1ELj4EdEEvi20rocsparse_direction_NS_24const_host_device_scalarIT2_EEPKiS6_PKS3_S8_S4_PS3_21rocsparse_index_base_b.uses_vcc, 1
	.set _ZN9rocsparseL19gebsrmvn_2xn_kernelILj128ELj1ELj4EdEEvi20rocsparse_direction_NS_24const_host_device_scalarIT2_EEPKiS6_PKS3_S8_S4_PS3_21rocsparse_index_base_b.uses_flat_scratch, 0
	.set _ZN9rocsparseL19gebsrmvn_2xn_kernelILj128ELj1ELj4EdEEvi20rocsparse_direction_NS_24const_host_device_scalarIT2_EEPKiS6_PKS3_S8_S4_PS3_21rocsparse_index_base_b.has_dyn_sized_stack, 0
	.set _ZN9rocsparseL19gebsrmvn_2xn_kernelILj128ELj1ELj4EdEEvi20rocsparse_direction_NS_24const_host_device_scalarIT2_EEPKiS6_PKS3_S8_S4_PS3_21rocsparse_index_base_b.has_recursion, 0
	.set _ZN9rocsparseL19gebsrmvn_2xn_kernelILj128ELj1ELj4EdEEvi20rocsparse_direction_NS_24const_host_device_scalarIT2_EEPKiS6_PKS3_S8_S4_PS3_21rocsparse_index_base_b.has_indirect_call, 0
	.section	.AMDGPU.csdata,"",@progbits
; Kernel info:
; codeLenInByte = 952
; TotalNumSgprs: 20
; NumVgprs: 25
; ScratchSize: 0
; MemoryBound: 0
; FloatMode: 240
; IeeeMode: 1
; LDSByteSize: 0 bytes/workgroup (compile time only)
; SGPRBlocks: 2
; VGPRBlocks: 6
; NumSGPRsForWavesPerEU: 20
; NumVGPRsForWavesPerEU: 25
; Occupancy: 9
; WaveLimiterHint : 1
; COMPUTE_PGM_RSRC2:SCRATCH_EN: 0
; COMPUTE_PGM_RSRC2:USER_SGPR: 6
; COMPUTE_PGM_RSRC2:TRAP_HANDLER: 0
; COMPUTE_PGM_RSRC2:TGID_X_EN: 1
; COMPUTE_PGM_RSRC2:TGID_Y_EN: 0
; COMPUTE_PGM_RSRC2:TGID_Z_EN: 0
; COMPUTE_PGM_RSRC2:TIDIG_COMP_CNT: 0
	.section	.text._ZN9rocsparseL19gebsrmvn_2xn_kernelILj128ELj1ELj8EdEEvi20rocsparse_direction_NS_24const_host_device_scalarIT2_EEPKiS6_PKS3_S8_S4_PS3_21rocsparse_index_base_b,"axG",@progbits,_ZN9rocsparseL19gebsrmvn_2xn_kernelILj128ELj1ELj8EdEEvi20rocsparse_direction_NS_24const_host_device_scalarIT2_EEPKiS6_PKS3_S8_S4_PS3_21rocsparse_index_base_b,comdat
	.globl	_ZN9rocsparseL19gebsrmvn_2xn_kernelILj128ELj1ELj8EdEEvi20rocsparse_direction_NS_24const_host_device_scalarIT2_EEPKiS6_PKS3_S8_S4_PS3_21rocsparse_index_base_b ; -- Begin function _ZN9rocsparseL19gebsrmvn_2xn_kernelILj128ELj1ELj8EdEEvi20rocsparse_direction_NS_24const_host_device_scalarIT2_EEPKiS6_PKS3_S8_S4_PS3_21rocsparse_index_base_b
	.p2align	8
	.type	_ZN9rocsparseL19gebsrmvn_2xn_kernelILj128ELj1ELj8EdEEvi20rocsparse_direction_NS_24const_host_device_scalarIT2_EEPKiS6_PKS3_S8_S4_PS3_21rocsparse_index_base_b,@function
_ZN9rocsparseL19gebsrmvn_2xn_kernelILj128ELj1ELj8EdEEvi20rocsparse_direction_NS_24const_host_device_scalarIT2_EEPKiS6_PKS3_S8_S4_PS3_21rocsparse_index_base_b: ; @_ZN9rocsparseL19gebsrmvn_2xn_kernelILj128ELj1ELj8EdEEvi20rocsparse_direction_NS_24const_host_device_scalarIT2_EEPKiS6_PKS3_S8_S4_PS3_21rocsparse_index_base_b
; %bb.0:
	s_load_dwordx2 s[2:3], s[4:5], 0x40
	s_load_dwordx2 s[10:11], s[4:5], 0x8
	;; [unrolled: 1-line block ×3, first 2 shown]
	s_waitcnt lgkmcnt(0)
	s_bitcmp1_b32 s3, 0
	s_cselect_b64 s[12:13], -1, 0
	v_mov_b32_e32 v1, s10
	s_xor_b64 s[8:9], s[12:13], -1
	s_and_b64 vcc, exec, s[12:13]
	v_mov_b32_e32 v2, s11
	s_cbranch_vccnz .LBB77_2
; %bb.1:
	v_mov_b32_e32 v1, s10
	v_mov_b32_e32 v2, s11
	flat_load_dwordx2 v[1:2], v[1:2]
.LBB77_2:
	v_mov_b32_e32 v4, s1
	s_andn2_b64 vcc, exec, s[8:9]
	v_mov_b32_e32 v3, s0
	s_cbranch_vccnz .LBB77_4
; %bb.3:
	v_mov_b32_e32 v4, s1
	v_mov_b32_e32 v3, s0
	flat_load_dwordx2 v[3:4], v[3:4]
.LBB77_4:
	s_waitcnt vmcnt(0) lgkmcnt(0)
	v_cmp_neq_f64_e32 vcc, 0, v[1:2]
	v_cmp_neq_f64_e64 s[0:1], 1.0, v[3:4]
	s_or_b64 s[0:1], vcc, s[0:1]
	s_and_saveexec_b64 s[8:9], s[0:1]
	s_cbranch_execz .LBB77_23
; %bb.5:
	s_load_dwordx2 s[0:1], s[4:5], 0x0
	v_lshrrev_b32_e32 v5, 3, v0
	v_lshl_or_b32 v5, s6, 4, v5
	s_waitcnt lgkmcnt(0)
	v_cmp_gt_i32_e32 vcc, s0, v5
	s_and_b64 exec, exec, vcc
	s_cbranch_execz .LBB77_23
; %bb.6:
	s_load_dwordx8 s[8:15], s[4:5], 0x10
	v_ashrrev_i32_e32 v6, 31, v5
	v_lshlrev_b64 v[6:7], 2, v[5:6]
	v_and_b32_e32 v0, 7, v0
	s_cmp_lg_u32 s1, 0
	s_waitcnt lgkmcnt(0)
	v_mov_b32_e32 v8, s9
	v_add_co_u32_e32 v6, vcc, s8, v6
	v_addc_co_u32_e32 v7, vcc, v8, v7, vcc
	global_load_dwordx2 v[6:7], v[6:7], off
	s_waitcnt vmcnt(0)
	v_subrev_u32_e32 v6, s2, v6
	v_subrev_u32_e32 v16, s2, v7
	v_add_u32_e32 v8, v6, v0
	v_cmp_lt_i32_e64 s[0:1], v8, v16
	s_cbranch_scc0 .LBB77_12
; %bb.7:
	v_mov_b32_e32 v6, 0
	v_mov_b32_e32 v10, 0
	;; [unrolled: 1-line block ×4, first 2 shown]
	s_and_saveexec_b64 s[6:7], s[0:1]
	s_cbranch_execz .LBB77_11
; %bb.8:
	v_mov_b32_e32 v6, 0
	v_mov_b32_e32 v10, 0
	v_lshlrev_b32_e32 v12, 1, v8
	v_mov_b32_e32 v7, 0
	s_mov_b64 s[8:9], 0
	v_mov_b32_e32 v9, s11
	v_mov_b32_e32 v13, 0
	;; [unrolled: 1-line block ×6, first 2 shown]
.LBB77_9:                               ; =>This Inner Loop Header: Depth=1
	v_ashrrev_i32_e32 v15, 31, v14
	v_lshlrev_b64 v[19:20], 2, v[14:15]
	v_mov_b32_e32 v24, v13
	v_add_co_u32_e32 v19, vcc, s10, v19
	v_addc_co_u32_e32 v20, vcc, v9, v20, vcc
	global_load_dword v15, v[19:20], off
	v_lshlrev_b64 v[19:20], 3, v[12:13]
	v_add_u32_e32 v14, 8, v14
	v_add_co_u32_e32 v19, vcc, s12, v19
	v_addc_co_u32_e32 v20, vcc, v17, v20, vcc
	global_load_dwordx4 v[19:22], v[19:20], off
	v_add_u32_e32 v12, 16, v12
	s_waitcnt vmcnt(1)
	v_subrev_u32_e32 v23, s2, v15
	v_lshlrev_b64 v[23:24], 3, v[23:24]
	v_add_co_u32_e32 v23, vcc, s14, v23
	v_addc_co_u32_e32 v24, vcc, v18, v24, vcc
	global_load_dwordx2 v[23:24], v[23:24], off
	v_cmp_ge_i32_e32 vcc, v14, v16
	s_or_b64 s[8:9], vcc, s[8:9]
	s_waitcnt vmcnt(0)
	v_fma_f64 v[6:7], v[19:20], v[23:24], v[6:7]
	v_fma_f64 v[10:11], v[21:22], v[23:24], v[10:11]
	s_andn2_b64 exec, exec, s[8:9]
	s_cbranch_execnz .LBB77_9
; %bb.10:
	s_or_b64 exec, exec, s[8:9]
.LBB77_11:
	s_or_b64 exec, exec, s[6:7]
	s_cbranch_execz .LBB77_13
	s_branch .LBB77_18
.LBB77_12:
                                        ; implicit-def: $vgpr6_vgpr7
                                        ; implicit-def: $vgpr10_vgpr11
.LBB77_13:
	v_mov_b32_e32 v6, 0
	v_mov_b32_e32 v10, 0
	;; [unrolled: 1-line block ×4, first 2 shown]
	s_and_saveexec_b64 s[6:7], s[0:1]
	s_cbranch_execz .LBB77_17
; %bb.14:
	v_mov_b32_e32 v6, 0
	v_mov_b32_e32 v10, 0
	v_lshlrev_b32_e32 v12, 1, v8
	v_mov_b32_e32 v7, 0
	s_mov_b64 s[0:1], 0
	v_mov_b32_e32 v14, s11
	v_mov_b32_e32 v13, 0
	;; [unrolled: 1-line block ×5, first 2 shown]
.LBB77_15:                              ; =>This Inner Loop Header: Depth=1
	v_ashrrev_i32_e32 v9, 31, v8
	v_lshlrev_b64 v[18:19], 2, v[8:9]
	v_mov_b32_e32 v23, v13
	v_add_co_u32_e32 v18, vcc, s10, v18
	v_addc_co_u32_e32 v19, vcc, v14, v19, vcc
	global_load_dword v9, v[18:19], off
	v_lshlrev_b64 v[18:19], 3, v[12:13]
	v_add_u32_e32 v8, 8, v8
	v_add_co_u32_e32 v18, vcc, s12, v18
	v_addc_co_u32_e32 v19, vcc, v15, v19, vcc
	global_load_dwordx4 v[18:21], v[18:19], off
	v_add_u32_e32 v12, 16, v12
	s_waitcnt vmcnt(1)
	v_subrev_u32_e32 v22, s2, v9
	v_lshlrev_b64 v[22:23], 3, v[22:23]
	v_add_co_u32_e32 v22, vcc, s14, v22
	v_addc_co_u32_e32 v23, vcc, v17, v23, vcc
	global_load_dwordx2 v[22:23], v[22:23], off
	v_cmp_ge_i32_e32 vcc, v8, v16
	s_or_b64 s[0:1], vcc, s[0:1]
	s_waitcnt vmcnt(0)
	v_fma_f64 v[6:7], v[18:19], v[22:23], v[6:7]
	v_fma_f64 v[10:11], v[20:21], v[22:23], v[10:11]
	s_andn2_b64 exec, exec, s[0:1]
	s_cbranch_execnz .LBB77_15
; %bb.16:
	s_or_b64 exec, exec, s[0:1]
.LBB77_17:
	s_or_b64 exec, exec, s[6:7]
.LBB77_18:
	v_mov_b32_dpp v8, v6 row_shr:1 row_mask:0xf bank_mask:0xf
	v_mov_b32_dpp v9, v7 row_shr:1 row_mask:0xf bank_mask:0xf
	v_add_f64 v[6:7], v[6:7], v[8:9]
	v_mov_b32_dpp v8, v10 row_shr:1 row_mask:0xf bank_mask:0xf
	v_mov_b32_dpp v9, v11 row_shr:1 row_mask:0xf bank_mask:0xf
	v_add_f64 v[8:9], v[10:11], v[8:9]
	v_cmp_eq_u32_e32 vcc, 7, v0
	v_mov_b32_dpp v10, v6 row_shr:2 row_mask:0xf bank_mask:0xf
	v_mov_b32_dpp v11, v7 row_shr:2 row_mask:0xf bank_mask:0xf
	v_add_f64 v[6:7], v[6:7], v[10:11]
	v_mov_b32_dpp v12, v8 row_shr:2 row_mask:0xf bank_mask:0xf
	v_mov_b32_dpp v13, v9 row_shr:2 row_mask:0xf bank_mask:0xf
	v_add_f64 v[10:11], v[8:9], v[12:13]
	v_mov_b32_dpp v8, v6 row_shr:4 row_mask:0xf bank_mask:0xe
	v_mov_b32_dpp v9, v7 row_shr:4 row_mask:0xf bank_mask:0xe
	;; [unrolled: 1-line block ×4, first 2 shown]
	s_and_b64 exec, exec, vcc
	s_cbranch_execz .LBB77_23
; %bb.19:
	v_add_f64 v[8:9], v[6:7], v[8:9]
	v_add_f64 v[6:7], v[10:11], v[12:13]
	v_cmp_eq_f64_e32 vcc, 0, v[3:4]
	s_load_dwordx2 s[0:1], s[4:5], 0x38
	s_and_saveexec_b64 s[2:3], vcc
	s_xor_b64 s[2:3], exec, s[2:3]
	s_cbranch_execz .LBB77_21
; %bb.20:
	v_mul_f64 v[3:4], v[1:2], v[8:9]
	v_lshlrev_b32_e32 v0, 1, v5
	v_mul_f64 v[5:6], v[1:2], v[6:7]
	v_ashrrev_i32_e32 v1, 31, v0
	v_lshlrev_b64 v[0:1], 3, v[0:1]
	s_waitcnt lgkmcnt(0)
	v_mov_b32_e32 v2, s1
	v_add_co_u32_e32 v0, vcc, s0, v0
	v_addc_co_u32_e32 v1, vcc, v2, v1, vcc
	global_store_dwordx4 v[0:1], v[3:6], off
                                        ; implicit-def: $vgpr5
                                        ; implicit-def: $vgpr1_vgpr2
                                        ; implicit-def: $vgpr8_vgpr9
                                        ; implicit-def: $vgpr3_vgpr4
                                        ; implicit-def: $vgpr6_vgpr7
.LBB77_21:
	s_andn2_saveexec_b64 s[2:3], s[2:3]
	s_cbranch_execz .LBB77_23
; %bb.22:
	v_lshlrev_b32_e32 v10, 1, v5
	v_ashrrev_i32_e32 v11, 31, v10
	v_lshlrev_b64 v[10:11], 3, v[10:11]
	s_waitcnt lgkmcnt(0)
	v_mov_b32_e32 v0, s1
	v_add_co_u32_e32 v14, vcc, s0, v10
	v_addc_co_u32_e32 v15, vcc, v0, v11, vcc
	global_load_dwordx4 v[10:13], v[14:15], off
	v_mul_f64 v[8:9], v[1:2], v[8:9]
	v_mul_f64 v[5:6], v[1:2], v[6:7]
	s_waitcnt vmcnt(0)
	v_fma_f64 v[0:1], v[3:4], v[10:11], v[8:9]
	v_fma_f64 v[2:3], v[3:4], v[12:13], v[5:6]
	global_store_dwordx4 v[14:15], v[0:3], off
.LBB77_23:
	s_endpgm
	.section	.rodata,"a",@progbits
	.p2align	6, 0x0
	.amdhsa_kernel _ZN9rocsparseL19gebsrmvn_2xn_kernelILj128ELj1ELj8EdEEvi20rocsparse_direction_NS_24const_host_device_scalarIT2_EEPKiS6_PKS3_S8_S4_PS3_21rocsparse_index_base_b
		.amdhsa_group_segment_fixed_size 0
		.amdhsa_private_segment_fixed_size 0
		.amdhsa_kernarg_size 72
		.amdhsa_user_sgpr_count 6
		.amdhsa_user_sgpr_private_segment_buffer 1
		.amdhsa_user_sgpr_dispatch_ptr 0
		.amdhsa_user_sgpr_queue_ptr 0
		.amdhsa_user_sgpr_kernarg_segment_ptr 1
		.amdhsa_user_sgpr_dispatch_id 0
		.amdhsa_user_sgpr_flat_scratch_init 0
		.amdhsa_user_sgpr_private_segment_size 0
		.amdhsa_uses_dynamic_stack 0
		.amdhsa_system_sgpr_private_segment_wavefront_offset 0
		.amdhsa_system_sgpr_workgroup_id_x 1
		.amdhsa_system_sgpr_workgroup_id_y 0
		.amdhsa_system_sgpr_workgroup_id_z 0
		.amdhsa_system_sgpr_workgroup_info 0
		.amdhsa_system_vgpr_workitem_id 0
		.amdhsa_next_free_vgpr 25
		.amdhsa_next_free_sgpr 16
		.amdhsa_reserve_vcc 1
		.amdhsa_reserve_flat_scratch 0
		.amdhsa_float_round_mode_32 0
		.amdhsa_float_round_mode_16_64 0
		.amdhsa_float_denorm_mode_32 3
		.amdhsa_float_denorm_mode_16_64 3
		.amdhsa_dx10_clamp 1
		.amdhsa_ieee_mode 1
		.amdhsa_fp16_overflow 0
		.amdhsa_exception_fp_ieee_invalid_op 0
		.amdhsa_exception_fp_denorm_src 0
		.amdhsa_exception_fp_ieee_div_zero 0
		.amdhsa_exception_fp_ieee_overflow 0
		.amdhsa_exception_fp_ieee_underflow 0
		.amdhsa_exception_fp_ieee_inexact 0
		.amdhsa_exception_int_div_zero 0
	.end_amdhsa_kernel
	.section	.text._ZN9rocsparseL19gebsrmvn_2xn_kernelILj128ELj1ELj8EdEEvi20rocsparse_direction_NS_24const_host_device_scalarIT2_EEPKiS6_PKS3_S8_S4_PS3_21rocsparse_index_base_b,"axG",@progbits,_ZN9rocsparseL19gebsrmvn_2xn_kernelILj128ELj1ELj8EdEEvi20rocsparse_direction_NS_24const_host_device_scalarIT2_EEPKiS6_PKS3_S8_S4_PS3_21rocsparse_index_base_b,comdat
.Lfunc_end77:
	.size	_ZN9rocsparseL19gebsrmvn_2xn_kernelILj128ELj1ELj8EdEEvi20rocsparse_direction_NS_24const_host_device_scalarIT2_EEPKiS6_PKS3_S8_S4_PS3_21rocsparse_index_base_b, .Lfunc_end77-_ZN9rocsparseL19gebsrmvn_2xn_kernelILj128ELj1ELj8EdEEvi20rocsparse_direction_NS_24const_host_device_scalarIT2_EEPKiS6_PKS3_S8_S4_PS3_21rocsparse_index_base_b
                                        ; -- End function
	.set _ZN9rocsparseL19gebsrmvn_2xn_kernelILj128ELj1ELj8EdEEvi20rocsparse_direction_NS_24const_host_device_scalarIT2_EEPKiS6_PKS3_S8_S4_PS3_21rocsparse_index_base_b.num_vgpr, 25
	.set _ZN9rocsparseL19gebsrmvn_2xn_kernelILj128ELj1ELj8EdEEvi20rocsparse_direction_NS_24const_host_device_scalarIT2_EEPKiS6_PKS3_S8_S4_PS3_21rocsparse_index_base_b.num_agpr, 0
	.set _ZN9rocsparseL19gebsrmvn_2xn_kernelILj128ELj1ELj8EdEEvi20rocsparse_direction_NS_24const_host_device_scalarIT2_EEPKiS6_PKS3_S8_S4_PS3_21rocsparse_index_base_b.numbered_sgpr, 16
	.set _ZN9rocsparseL19gebsrmvn_2xn_kernelILj128ELj1ELj8EdEEvi20rocsparse_direction_NS_24const_host_device_scalarIT2_EEPKiS6_PKS3_S8_S4_PS3_21rocsparse_index_base_b.num_named_barrier, 0
	.set _ZN9rocsparseL19gebsrmvn_2xn_kernelILj128ELj1ELj8EdEEvi20rocsparse_direction_NS_24const_host_device_scalarIT2_EEPKiS6_PKS3_S8_S4_PS3_21rocsparse_index_base_b.private_seg_size, 0
	.set _ZN9rocsparseL19gebsrmvn_2xn_kernelILj128ELj1ELj8EdEEvi20rocsparse_direction_NS_24const_host_device_scalarIT2_EEPKiS6_PKS3_S8_S4_PS3_21rocsparse_index_base_b.uses_vcc, 1
	.set _ZN9rocsparseL19gebsrmvn_2xn_kernelILj128ELj1ELj8EdEEvi20rocsparse_direction_NS_24const_host_device_scalarIT2_EEPKiS6_PKS3_S8_S4_PS3_21rocsparse_index_base_b.uses_flat_scratch, 0
	.set _ZN9rocsparseL19gebsrmvn_2xn_kernelILj128ELj1ELj8EdEEvi20rocsparse_direction_NS_24const_host_device_scalarIT2_EEPKiS6_PKS3_S8_S4_PS3_21rocsparse_index_base_b.has_dyn_sized_stack, 0
	.set _ZN9rocsparseL19gebsrmvn_2xn_kernelILj128ELj1ELj8EdEEvi20rocsparse_direction_NS_24const_host_device_scalarIT2_EEPKiS6_PKS3_S8_S4_PS3_21rocsparse_index_base_b.has_recursion, 0
	.set _ZN9rocsparseL19gebsrmvn_2xn_kernelILj128ELj1ELj8EdEEvi20rocsparse_direction_NS_24const_host_device_scalarIT2_EEPKiS6_PKS3_S8_S4_PS3_21rocsparse_index_base_b.has_indirect_call, 0
	.section	.AMDGPU.csdata,"",@progbits
; Kernel info:
; codeLenInByte = 1000
; TotalNumSgprs: 20
; NumVgprs: 25
; ScratchSize: 0
; MemoryBound: 0
; FloatMode: 240
; IeeeMode: 1
; LDSByteSize: 0 bytes/workgroup (compile time only)
; SGPRBlocks: 2
; VGPRBlocks: 6
; NumSGPRsForWavesPerEU: 20
; NumVGPRsForWavesPerEU: 25
; Occupancy: 9
; WaveLimiterHint : 1
; COMPUTE_PGM_RSRC2:SCRATCH_EN: 0
; COMPUTE_PGM_RSRC2:USER_SGPR: 6
; COMPUTE_PGM_RSRC2:TRAP_HANDLER: 0
; COMPUTE_PGM_RSRC2:TGID_X_EN: 1
; COMPUTE_PGM_RSRC2:TGID_Y_EN: 0
; COMPUTE_PGM_RSRC2:TGID_Z_EN: 0
; COMPUTE_PGM_RSRC2:TIDIG_COMP_CNT: 0
	.section	.text._ZN9rocsparseL19gebsrmvn_2xn_kernelILj128ELj1ELj16EdEEvi20rocsparse_direction_NS_24const_host_device_scalarIT2_EEPKiS6_PKS3_S8_S4_PS3_21rocsparse_index_base_b,"axG",@progbits,_ZN9rocsparseL19gebsrmvn_2xn_kernelILj128ELj1ELj16EdEEvi20rocsparse_direction_NS_24const_host_device_scalarIT2_EEPKiS6_PKS3_S8_S4_PS3_21rocsparse_index_base_b,comdat
	.globl	_ZN9rocsparseL19gebsrmvn_2xn_kernelILj128ELj1ELj16EdEEvi20rocsparse_direction_NS_24const_host_device_scalarIT2_EEPKiS6_PKS3_S8_S4_PS3_21rocsparse_index_base_b ; -- Begin function _ZN9rocsparseL19gebsrmvn_2xn_kernelILj128ELj1ELj16EdEEvi20rocsparse_direction_NS_24const_host_device_scalarIT2_EEPKiS6_PKS3_S8_S4_PS3_21rocsparse_index_base_b
	.p2align	8
	.type	_ZN9rocsparseL19gebsrmvn_2xn_kernelILj128ELj1ELj16EdEEvi20rocsparse_direction_NS_24const_host_device_scalarIT2_EEPKiS6_PKS3_S8_S4_PS3_21rocsparse_index_base_b,@function
_ZN9rocsparseL19gebsrmvn_2xn_kernelILj128ELj1ELj16EdEEvi20rocsparse_direction_NS_24const_host_device_scalarIT2_EEPKiS6_PKS3_S8_S4_PS3_21rocsparse_index_base_b: ; @_ZN9rocsparseL19gebsrmvn_2xn_kernelILj128ELj1ELj16EdEEvi20rocsparse_direction_NS_24const_host_device_scalarIT2_EEPKiS6_PKS3_S8_S4_PS3_21rocsparse_index_base_b
; %bb.0:
	s_load_dwordx2 s[2:3], s[4:5], 0x40
	s_load_dwordx2 s[10:11], s[4:5], 0x8
	;; [unrolled: 1-line block ×3, first 2 shown]
	s_waitcnt lgkmcnt(0)
	s_bitcmp1_b32 s3, 0
	s_cselect_b64 s[12:13], -1, 0
	v_mov_b32_e32 v1, s10
	s_xor_b64 s[8:9], s[12:13], -1
	s_and_b64 vcc, exec, s[12:13]
	v_mov_b32_e32 v2, s11
	s_cbranch_vccnz .LBB78_2
; %bb.1:
	v_mov_b32_e32 v1, s10
	v_mov_b32_e32 v2, s11
	flat_load_dwordx2 v[1:2], v[1:2]
.LBB78_2:
	v_mov_b32_e32 v4, s1
	s_andn2_b64 vcc, exec, s[8:9]
	v_mov_b32_e32 v3, s0
	s_cbranch_vccnz .LBB78_4
; %bb.3:
	v_mov_b32_e32 v4, s1
	v_mov_b32_e32 v3, s0
	flat_load_dwordx2 v[3:4], v[3:4]
.LBB78_4:
	s_waitcnt vmcnt(0) lgkmcnt(0)
	v_cmp_neq_f64_e32 vcc, 0, v[1:2]
	v_cmp_neq_f64_e64 s[0:1], 1.0, v[3:4]
	s_or_b64 s[0:1], vcc, s[0:1]
	s_and_saveexec_b64 s[8:9], s[0:1]
	s_cbranch_execz .LBB78_23
; %bb.5:
	s_load_dwordx2 s[0:1], s[4:5], 0x0
	v_lshrrev_b32_e32 v5, 4, v0
	v_lshl_or_b32 v5, s6, 3, v5
	s_waitcnt lgkmcnt(0)
	v_cmp_gt_i32_e32 vcc, s0, v5
	s_and_b64 exec, exec, vcc
	s_cbranch_execz .LBB78_23
; %bb.6:
	s_load_dwordx8 s[8:15], s[4:5], 0x10
	v_ashrrev_i32_e32 v6, 31, v5
	v_lshlrev_b64 v[6:7], 2, v[5:6]
	v_and_b32_e32 v0, 15, v0
	s_cmp_lg_u32 s1, 0
	s_waitcnt lgkmcnt(0)
	v_mov_b32_e32 v8, s9
	v_add_co_u32_e32 v6, vcc, s8, v6
	v_addc_co_u32_e32 v7, vcc, v8, v7, vcc
	global_load_dwordx2 v[6:7], v[6:7], off
	s_waitcnt vmcnt(0)
	v_subrev_u32_e32 v6, s2, v6
	v_subrev_u32_e32 v16, s2, v7
	v_add_u32_e32 v8, v6, v0
	v_cmp_lt_i32_e64 s[0:1], v8, v16
	s_cbranch_scc0 .LBB78_12
; %bb.7:
	v_mov_b32_e32 v6, 0
	v_mov_b32_e32 v10, 0
	;; [unrolled: 1-line block ×4, first 2 shown]
	s_and_saveexec_b64 s[6:7], s[0:1]
	s_cbranch_execz .LBB78_11
; %bb.8:
	v_mov_b32_e32 v6, 0
	v_mov_b32_e32 v10, 0
	v_lshlrev_b32_e32 v12, 1, v8
	v_mov_b32_e32 v7, 0
	s_mov_b64 s[8:9], 0
	v_mov_b32_e32 v9, s11
	v_mov_b32_e32 v13, 0
	;; [unrolled: 1-line block ×6, first 2 shown]
.LBB78_9:                               ; =>This Inner Loop Header: Depth=1
	v_ashrrev_i32_e32 v15, 31, v14
	v_lshlrev_b64 v[19:20], 2, v[14:15]
	v_mov_b32_e32 v24, v13
	v_add_co_u32_e32 v19, vcc, s10, v19
	v_addc_co_u32_e32 v20, vcc, v9, v20, vcc
	global_load_dword v15, v[19:20], off
	v_lshlrev_b64 v[19:20], 3, v[12:13]
	v_add_u32_e32 v14, 16, v14
	v_add_co_u32_e32 v19, vcc, s12, v19
	v_addc_co_u32_e32 v20, vcc, v17, v20, vcc
	global_load_dwordx4 v[19:22], v[19:20], off
	v_add_u32_e32 v12, 32, v12
	s_waitcnt vmcnt(1)
	v_subrev_u32_e32 v23, s2, v15
	v_lshlrev_b64 v[23:24], 3, v[23:24]
	v_add_co_u32_e32 v23, vcc, s14, v23
	v_addc_co_u32_e32 v24, vcc, v18, v24, vcc
	global_load_dwordx2 v[23:24], v[23:24], off
	v_cmp_ge_i32_e32 vcc, v14, v16
	s_or_b64 s[8:9], vcc, s[8:9]
	s_waitcnt vmcnt(0)
	v_fma_f64 v[6:7], v[19:20], v[23:24], v[6:7]
	v_fma_f64 v[10:11], v[21:22], v[23:24], v[10:11]
	s_andn2_b64 exec, exec, s[8:9]
	s_cbranch_execnz .LBB78_9
; %bb.10:
	s_or_b64 exec, exec, s[8:9]
.LBB78_11:
	s_or_b64 exec, exec, s[6:7]
	s_cbranch_execz .LBB78_13
	s_branch .LBB78_18
.LBB78_12:
                                        ; implicit-def: $vgpr6_vgpr7
                                        ; implicit-def: $vgpr10_vgpr11
.LBB78_13:
	v_mov_b32_e32 v6, 0
	v_mov_b32_e32 v10, 0
	;; [unrolled: 1-line block ×4, first 2 shown]
	s_and_saveexec_b64 s[6:7], s[0:1]
	s_cbranch_execz .LBB78_17
; %bb.14:
	v_mov_b32_e32 v6, 0
	v_mov_b32_e32 v10, 0
	v_lshlrev_b32_e32 v12, 1, v8
	v_mov_b32_e32 v7, 0
	s_mov_b64 s[0:1], 0
	v_mov_b32_e32 v14, s11
	v_mov_b32_e32 v13, 0
	;; [unrolled: 1-line block ×5, first 2 shown]
.LBB78_15:                              ; =>This Inner Loop Header: Depth=1
	v_ashrrev_i32_e32 v9, 31, v8
	v_lshlrev_b64 v[18:19], 2, v[8:9]
	v_mov_b32_e32 v23, v13
	v_add_co_u32_e32 v18, vcc, s10, v18
	v_addc_co_u32_e32 v19, vcc, v14, v19, vcc
	global_load_dword v9, v[18:19], off
	v_lshlrev_b64 v[18:19], 3, v[12:13]
	v_add_u32_e32 v8, 16, v8
	v_add_co_u32_e32 v18, vcc, s12, v18
	v_addc_co_u32_e32 v19, vcc, v15, v19, vcc
	global_load_dwordx4 v[18:21], v[18:19], off
	v_add_u32_e32 v12, 32, v12
	s_waitcnt vmcnt(1)
	v_subrev_u32_e32 v22, s2, v9
	v_lshlrev_b64 v[22:23], 3, v[22:23]
	v_add_co_u32_e32 v22, vcc, s14, v22
	v_addc_co_u32_e32 v23, vcc, v17, v23, vcc
	global_load_dwordx2 v[22:23], v[22:23], off
	v_cmp_ge_i32_e32 vcc, v8, v16
	s_or_b64 s[0:1], vcc, s[0:1]
	s_waitcnt vmcnt(0)
	v_fma_f64 v[6:7], v[18:19], v[22:23], v[6:7]
	v_fma_f64 v[10:11], v[20:21], v[22:23], v[10:11]
	s_andn2_b64 exec, exec, s[0:1]
	s_cbranch_execnz .LBB78_15
; %bb.16:
	s_or_b64 exec, exec, s[0:1]
.LBB78_17:
	s_or_b64 exec, exec, s[6:7]
.LBB78_18:
	v_mov_b32_dpp v8, v6 row_shr:1 row_mask:0xf bank_mask:0xf
	v_mov_b32_dpp v9, v7 row_shr:1 row_mask:0xf bank_mask:0xf
	v_add_f64 v[6:7], v[6:7], v[8:9]
	v_mov_b32_dpp v8, v10 row_shr:1 row_mask:0xf bank_mask:0xf
	v_mov_b32_dpp v9, v11 row_shr:1 row_mask:0xf bank_mask:0xf
	v_add_f64 v[8:9], v[10:11], v[8:9]
	v_cmp_eq_u32_e32 vcc, 15, v0
	v_mov_b32_dpp v10, v6 row_shr:2 row_mask:0xf bank_mask:0xf
	v_mov_b32_dpp v11, v7 row_shr:2 row_mask:0xf bank_mask:0xf
	v_add_f64 v[6:7], v[6:7], v[10:11]
	v_mov_b32_dpp v12, v8 row_shr:2 row_mask:0xf bank_mask:0xf
	v_mov_b32_dpp v13, v9 row_shr:2 row_mask:0xf bank_mask:0xf
	v_add_f64 v[8:9], v[8:9], v[12:13]
	v_mov_b32_dpp v10, v6 row_shr:4 row_mask:0xf bank_mask:0xe
	v_mov_b32_dpp v11, v7 row_shr:4 row_mask:0xf bank_mask:0xe
	v_add_f64 v[6:7], v[6:7], v[10:11]
	v_mov_b32_dpp v12, v8 row_shr:4 row_mask:0xf bank_mask:0xe
	v_mov_b32_dpp v13, v9 row_shr:4 row_mask:0xf bank_mask:0xe
	v_add_f64 v[10:11], v[8:9], v[12:13]
	v_mov_b32_dpp v8, v6 row_shr:8 row_mask:0xf bank_mask:0xc
	v_mov_b32_dpp v9, v7 row_shr:8 row_mask:0xf bank_mask:0xc
	;; [unrolled: 1-line block ×4, first 2 shown]
	s_and_b64 exec, exec, vcc
	s_cbranch_execz .LBB78_23
; %bb.19:
	v_add_f64 v[8:9], v[6:7], v[8:9]
	v_add_f64 v[6:7], v[10:11], v[12:13]
	v_cmp_eq_f64_e32 vcc, 0, v[3:4]
	s_load_dwordx2 s[0:1], s[4:5], 0x38
	s_and_saveexec_b64 s[2:3], vcc
	s_xor_b64 s[2:3], exec, s[2:3]
	s_cbranch_execz .LBB78_21
; %bb.20:
	v_mul_f64 v[3:4], v[1:2], v[8:9]
	v_lshlrev_b32_e32 v0, 1, v5
	v_mul_f64 v[5:6], v[1:2], v[6:7]
	v_ashrrev_i32_e32 v1, 31, v0
	v_lshlrev_b64 v[0:1], 3, v[0:1]
	s_waitcnt lgkmcnt(0)
	v_mov_b32_e32 v2, s1
	v_add_co_u32_e32 v0, vcc, s0, v0
	v_addc_co_u32_e32 v1, vcc, v2, v1, vcc
	global_store_dwordx4 v[0:1], v[3:6], off
                                        ; implicit-def: $vgpr5
                                        ; implicit-def: $vgpr1_vgpr2
                                        ; implicit-def: $vgpr8_vgpr9
                                        ; implicit-def: $vgpr3_vgpr4
                                        ; implicit-def: $vgpr6_vgpr7
.LBB78_21:
	s_andn2_saveexec_b64 s[2:3], s[2:3]
	s_cbranch_execz .LBB78_23
; %bb.22:
	v_lshlrev_b32_e32 v10, 1, v5
	v_ashrrev_i32_e32 v11, 31, v10
	v_lshlrev_b64 v[10:11], 3, v[10:11]
	s_waitcnt lgkmcnt(0)
	v_mov_b32_e32 v0, s1
	v_add_co_u32_e32 v14, vcc, s0, v10
	v_addc_co_u32_e32 v15, vcc, v0, v11, vcc
	global_load_dwordx4 v[10:13], v[14:15], off
	v_mul_f64 v[8:9], v[1:2], v[8:9]
	v_mul_f64 v[5:6], v[1:2], v[6:7]
	s_waitcnt vmcnt(0)
	v_fma_f64 v[0:1], v[3:4], v[10:11], v[8:9]
	v_fma_f64 v[2:3], v[3:4], v[12:13], v[5:6]
	global_store_dwordx4 v[14:15], v[0:3], off
.LBB78_23:
	s_endpgm
	.section	.rodata,"a",@progbits
	.p2align	6, 0x0
	.amdhsa_kernel _ZN9rocsparseL19gebsrmvn_2xn_kernelILj128ELj1ELj16EdEEvi20rocsparse_direction_NS_24const_host_device_scalarIT2_EEPKiS6_PKS3_S8_S4_PS3_21rocsparse_index_base_b
		.amdhsa_group_segment_fixed_size 0
		.amdhsa_private_segment_fixed_size 0
		.amdhsa_kernarg_size 72
		.amdhsa_user_sgpr_count 6
		.amdhsa_user_sgpr_private_segment_buffer 1
		.amdhsa_user_sgpr_dispatch_ptr 0
		.amdhsa_user_sgpr_queue_ptr 0
		.amdhsa_user_sgpr_kernarg_segment_ptr 1
		.amdhsa_user_sgpr_dispatch_id 0
		.amdhsa_user_sgpr_flat_scratch_init 0
		.amdhsa_user_sgpr_private_segment_size 0
		.amdhsa_uses_dynamic_stack 0
		.amdhsa_system_sgpr_private_segment_wavefront_offset 0
		.amdhsa_system_sgpr_workgroup_id_x 1
		.amdhsa_system_sgpr_workgroup_id_y 0
		.amdhsa_system_sgpr_workgroup_id_z 0
		.amdhsa_system_sgpr_workgroup_info 0
		.amdhsa_system_vgpr_workitem_id 0
		.amdhsa_next_free_vgpr 25
		.amdhsa_next_free_sgpr 16
		.amdhsa_reserve_vcc 1
		.amdhsa_reserve_flat_scratch 0
		.amdhsa_float_round_mode_32 0
		.amdhsa_float_round_mode_16_64 0
		.amdhsa_float_denorm_mode_32 3
		.amdhsa_float_denorm_mode_16_64 3
		.amdhsa_dx10_clamp 1
		.amdhsa_ieee_mode 1
		.amdhsa_fp16_overflow 0
		.amdhsa_exception_fp_ieee_invalid_op 0
		.amdhsa_exception_fp_denorm_src 0
		.amdhsa_exception_fp_ieee_div_zero 0
		.amdhsa_exception_fp_ieee_overflow 0
		.amdhsa_exception_fp_ieee_underflow 0
		.amdhsa_exception_fp_ieee_inexact 0
		.amdhsa_exception_int_div_zero 0
	.end_amdhsa_kernel
	.section	.text._ZN9rocsparseL19gebsrmvn_2xn_kernelILj128ELj1ELj16EdEEvi20rocsparse_direction_NS_24const_host_device_scalarIT2_EEPKiS6_PKS3_S8_S4_PS3_21rocsparse_index_base_b,"axG",@progbits,_ZN9rocsparseL19gebsrmvn_2xn_kernelILj128ELj1ELj16EdEEvi20rocsparse_direction_NS_24const_host_device_scalarIT2_EEPKiS6_PKS3_S8_S4_PS3_21rocsparse_index_base_b,comdat
.Lfunc_end78:
	.size	_ZN9rocsparseL19gebsrmvn_2xn_kernelILj128ELj1ELj16EdEEvi20rocsparse_direction_NS_24const_host_device_scalarIT2_EEPKiS6_PKS3_S8_S4_PS3_21rocsparse_index_base_b, .Lfunc_end78-_ZN9rocsparseL19gebsrmvn_2xn_kernelILj128ELj1ELj16EdEEvi20rocsparse_direction_NS_24const_host_device_scalarIT2_EEPKiS6_PKS3_S8_S4_PS3_21rocsparse_index_base_b
                                        ; -- End function
	.set _ZN9rocsparseL19gebsrmvn_2xn_kernelILj128ELj1ELj16EdEEvi20rocsparse_direction_NS_24const_host_device_scalarIT2_EEPKiS6_PKS3_S8_S4_PS3_21rocsparse_index_base_b.num_vgpr, 25
	.set _ZN9rocsparseL19gebsrmvn_2xn_kernelILj128ELj1ELj16EdEEvi20rocsparse_direction_NS_24const_host_device_scalarIT2_EEPKiS6_PKS3_S8_S4_PS3_21rocsparse_index_base_b.num_agpr, 0
	.set _ZN9rocsparseL19gebsrmvn_2xn_kernelILj128ELj1ELj16EdEEvi20rocsparse_direction_NS_24const_host_device_scalarIT2_EEPKiS6_PKS3_S8_S4_PS3_21rocsparse_index_base_b.numbered_sgpr, 16
	.set _ZN9rocsparseL19gebsrmvn_2xn_kernelILj128ELj1ELj16EdEEvi20rocsparse_direction_NS_24const_host_device_scalarIT2_EEPKiS6_PKS3_S8_S4_PS3_21rocsparse_index_base_b.num_named_barrier, 0
	.set _ZN9rocsparseL19gebsrmvn_2xn_kernelILj128ELj1ELj16EdEEvi20rocsparse_direction_NS_24const_host_device_scalarIT2_EEPKiS6_PKS3_S8_S4_PS3_21rocsparse_index_base_b.private_seg_size, 0
	.set _ZN9rocsparseL19gebsrmvn_2xn_kernelILj128ELj1ELj16EdEEvi20rocsparse_direction_NS_24const_host_device_scalarIT2_EEPKiS6_PKS3_S8_S4_PS3_21rocsparse_index_base_b.uses_vcc, 1
	.set _ZN9rocsparseL19gebsrmvn_2xn_kernelILj128ELj1ELj16EdEEvi20rocsparse_direction_NS_24const_host_device_scalarIT2_EEPKiS6_PKS3_S8_S4_PS3_21rocsparse_index_base_b.uses_flat_scratch, 0
	.set _ZN9rocsparseL19gebsrmvn_2xn_kernelILj128ELj1ELj16EdEEvi20rocsparse_direction_NS_24const_host_device_scalarIT2_EEPKiS6_PKS3_S8_S4_PS3_21rocsparse_index_base_b.has_dyn_sized_stack, 0
	.set _ZN9rocsparseL19gebsrmvn_2xn_kernelILj128ELj1ELj16EdEEvi20rocsparse_direction_NS_24const_host_device_scalarIT2_EEPKiS6_PKS3_S8_S4_PS3_21rocsparse_index_base_b.has_recursion, 0
	.set _ZN9rocsparseL19gebsrmvn_2xn_kernelILj128ELj1ELj16EdEEvi20rocsparse_direction_NS_24const_host_device_scalarIT2_EEPKiS6_PKS3_S8_S4_PS3_21rocsparse_index_base_b.has_indirect_call, 0
	.section	.AMDGPU.csdata,"",@progbits
; Kernel info:
; codeLenInByte = 1048
; TotalNumSgprs: 20
; NumVgprs: 25
; ScratchSize: 0
; MemoryBound: 0
; FloatMode: 240
; IeeeMode: 1
; LDSByteSize: 0 bytes/workgroup (compile time only)
; SGPRBlocks: 2
; VGPRBlocks: 6
; NumSGPRsForWavesPerEU: 20
; NumVGPRsForWavesPerEU: 25
; Occupancy: 9
; WaveLimiterHint : 1
; COMPUTE_PGM_RSRC2:SCRATCH_EN: 0
; COMPUTE_PGM_RSRC2:USER_SGPR: 6
; COMPUTE_PGM_RSRC2:TRAP_HANDLER: 0
; COMPUTE_PGM_RSRC2:TGID_X_EN: 1
; COMPUTE_PGM_RSRC2:TGID_Y_EN: 0
; COMPUTE_PGM_RSRC2:TGID_Z_EN: 0
; COMPUTE_PGM_RSRC2:TIDIG_COMP_CNT: 0
	.section	.text._ZN9rocsparseL19gebsrmvn_2xn_kernelILj128ELj1ELj32EdEEvi20rocsparse_direction_NS_24const_host_device_scalarIT2_EEPKiS6_PKS3_S8_S4_PS3_21rocsparse_index_base_b,"axG",@progbits,_ZN9rocsparseL19gebsrmvn_2xn_kernelILj128ELj1ELj32EdEEvi20rocsparse_direction_NS_24const_host_device_scalarIT2_EEPKiS6_PKS3_S8_S4_PS3_21rocsparse_index_base_b,comdat
	.globl	_ZN9rocsparseL19gebsrmvn_2xn_kernelILj128ELj1ELj32EdEEvi20rocsparse_direction_NS_24const_host_device_scalarIT2_EEPKiS6_PKS3_S8_S4_PS3_21rocsparse_index_base_b ; -- Begin function _ZN9rocsparseL19gebsrmvn_2xn_kernelILj128ELj1ELj32EdEEvi20rocsparse_direction_NS_24const_host_device_scalarIT2_EEPKiS6_PKS3_S8_S4_PS3_21rocsparse_index_base_b
	.p2align	8
	.type	_ZN9rocsparseL19gebsrmvn_2xn_kernelILj128ELj1ELj32EdEEvi20rocsparse_direction_NS_24const_host_device_scalarIT2_EEPKiS6_PKS3_S8_S4_PS3_21rocsparse_index_base_b,@function
_ZN9rocsparseL19gebsrmvn_2xn_kernelILj128ELj1ELj32EdEEvi20rocsparse_direction_NS_24const_host_device_scalarIT2_EEPKiS6_PKS3_S8_S4_PS3_21rocsparse_index_base_b: ; @_ZN9rocsparseL19gebsrmvn_2xn_kernelILj128ELj1ELj32EdEEvi20rocsparse_direction_NS_24const_host_device_scalarIT2_EEPKiS6_PKS3_S8_S4_PS3_21rocsparse_index_base_b
; %bb.0:
	s_load_dwordx2 s[2:3], s[4:5], 0x40
	s_load_dwordx2 s[10:11], s[4:5], 0x8
	;; [unrolled: 1-line block ×3, first 2 shown]
	s_waitcnt lgkmcnt(0)
	s_bitcmp1_b32 s3, 0
	s_cselect_b64 s[12:13], -1, 0
	v_mov_b32_e32 v1, s10
	s_xor_b64 s[8:9], s[12:13], -1
	s_and_b64 vcc, exec, s[12:13]
	v_mov_b32_e32 v2, s11
	s_cbranch_vccnz .LBB79_2
; %bb.1:
	v_mov_b32_e32 v1, s10
	v_mov_b32_e32 v2, s11
	flat_load_dwordx2 v[1:2], v[1:2]
.LBB79_2:
	v_mov_b32_e32 v4, s1
	s_andn2_b64 vcc, exec, s[8:9]
	v_mov_b32_e32 v3, s0
	s_cbranch_vccnz .LBB79_4
; %bb.3:
	v_mov_b32_e32 v4, s1
	v_mov_b32_e32 v3, s0
	flat_load_dwordx2 v[3:4], v[3:4]
.LBB79_4:
	s_waitcnt vmcnt(0) lgkmcnt(0)
	v_cmp_neq_f64_e32 vcc, 0, v[1:2]
	v_cmp_neq_f64_e64 s[0:1], 1.0, v[3:4]
	s_or_b64 s[0:1], vcc, s[0:1]
	s_and_saveexec_b64 s[8:9], s[0:1]
	s_cbranch_execz .LBB79_23
; %bb.5:
	s_load_dwordx2 s[0:1], s[4:5], 0x0
	v_lshrrev_b32_e32 v5, 5, v0
	v_lshl_or_b32 v5, s6, 2, v5
	s_waitcnt lgkmcnt(0)
	v_cmp_gt_i32_e32 vcc, s0, v5
	s_and_b64 exec, exec, vcc
	s_cbranch_execz .LBB79_23
; %bb.6:
	s_load_dwordx8 s[8:15], s[4:5], 0x10
	v_ashrrev_i32_e32 v6, 31, v5
	v_lshlrev_b64 v[6:7], 2, v[5:6]
	v_and_b32_e32 v0, 31, v0
	s_cmp_lg_u32 s1, 0
	s_waitcnt lgkmcnt(0)
	v_mov_b32_e32 v8, s9
	v_add_co_u32_e32 v6, vcc, s8, v6
	v_addc_co_u32_e32 v7, vcc, v8, v7, vcc
	global_load_dwordx2 v[6:7], v[6:7], off
	s_waitcnt vmcnt(0)
	v_subrev_u32_e32 v6, s2, v6
	v_subrev_u32_e32 v15, s2, v7
	v_add_u32_e32 v10, v6, v0
	v_cmp_lt_i32_e64 s[0:1], v10, v15
	s_cbranch_scc0 .LBB79_12
; %bb.7:
	v_mov_b32_e32 v6, 0
	v_mov_b32_e32 v8, 0
	;; [unrolled: 1-line block ×4, first 2 shown]
	s_and_saveexec_b64 s[6:7], s[0:1]
	s_cbranch_execz .LBB79_11
; %bb.8:
	v_mov_b32_e32 v6, 0
	v_mov_b32_e32 v8, 0
	v_lshlrev_b32_e32 v11, 1, v10
	v_mov_b32_e32 v7, 0
	s_mov_b64 s[8:9], 0
	v_mov_b32_e32 v16, s11
	v_mov_b32_e32 v12, 0
	;; [unrolled: 1-line block ×6, first 2 shown]
.LBB79_9:                               ; =>This Inner Loop Header: Depth=1
	v_ashrrev_i32_e32 v14, 31, v13
	v_lshlrev_b64 v[19:20], 2, v[13:14]
	v_mov_b32_e32 v24, v12
	v_add_co_u32_e32 v19, vcc, s10, v19
	v_addc_co_u32_e32 v20, vcc, v16, v20, vcc
	global_load_dword v14, v[19:20], off
	v_lshlrev_b64 v[19:20], 3, v[11:12]
	v_add_u32_e32 v13, 32, v13
	v_add_co_u32_e32 v19, vcc, s12, v19
	v_addc_co_u32_e32 v20, vcc, v17, v20, vcc
	global_load_dwordx4 v[19:22], v[19:20], off
	v_add_u32_e32 v11, 64, v11
	s_waitcnt vmcnt(1)
	v_subrev_u32_e32 v23, s2, v14
	v_lshlrev_b64 v[23:24], 3, v[23:24]
	v_add_co_u32_e32 v23, vcc, s14, v23
	v_addc_co_u32_e32 v24, vcc, v18, v24, vcc
	global_load_dwordx2 v[23:24], v[23:24], off
	v_cmp_ge_i32_e32 vcc, v13, v15
	s_or_b64 s[8:9], vcc, s[8:9]
	s_waitcnt vmcnt(0)
	v_fma_f64 v[6:7], v[19:20], v[23:24], v[6:7]
	v_fma_f64 v[8:9], v[21:22], v[23:24], v[8:9]
	s_andn2_b64 exec, exec, s[8:9]
	s_cbranch_execnz .LBB79_9
; %bb.10:
	s_or_b64 exec, exec, s[8:9]
.LBB79_11:
	s_or_b64 exec, exec, s[6:7]
	s_cbranch_execz .LBB79_13
	s_branch .LBB79_18
.LBB79_12:
                                        ; implicit-def: $vgpr6_vgpr7
                                        ; implicit-def: $vgpr8_vgpr9
.LBB79_13:
	v_mov_b32_e32 v6, 0
	v_mov_b32_e32 v8, 0
	;; [unrolled: 1-line block ×4, first 2 shown]
	s_and_saveexec_b64 s[6:7], s[0:1]
	s_cbranch_execz .LBB79_17
; %bb.14:
	v_mov_b32_e32 v6, 0
	v_mov_b32_e32 v8, 0
	v_lshlrev_b32_e32 v12, 1, v10
	v_mov_b32_e32 v7, 0
	s_mov_b64 s[0:1], 0
	v_mov_b32_e32 v14, s11
	v_mov_b32_e32 v13, 0
	;; [unrolled: 1-line block ×5, first 2 shown]
.LBB79_15:                              ; =>This Inner Loop Header: Depth=1
	v_ashrrev_i32_e32 v11, 31, v10
	v_lshlrev_b64 v[18:19], 2, v[10:11]
	v_mov_b32_e32 v23, v13
	v_add_co_u32_e32 v18, vcc, s10, v18
	v_addc_co_u32_e32 v19, vcc, v14, v19, vcc
	global_load_dword v11, v[18:19], off
	v_lshlrev_b64 v[18:19], 3, v[12:13]
	v_add_u32_e32 v10, 32, v10
	v_add_co_u32_e32 v18, vcc, s12, v18
	v_addc_co_u32_e32 v19, vcc, v16, v19, vcc
	global_load_dwordx4 v[18:21], v[18:19], off
	v_add_u32_e32 v12, 64, v12
	s_waitcnt vmcnt(1)
	v_subrev_u32_e32 v22, s2, v11
	v_lshlrev_b64 v[22:23], 3, v[22:23]
	v_add_co_u32_e32 v22, vcc, s14, v22
	v_addc_co_u32_e32 v23, vcc, v17, v23, vcc
	global_load_dwordx2 v[22:23], v[22:23], off
	v_cmp_ge_i32_e32 vcc, v10, v15
	s_or_b64 s[0:1], vcc, s[0:1]
	s_waitcnt vmcnt(0)
	v_fma_f64 v[6:7], v[18:19], v[22:23], v[6:7]
	v_fma_f64 v[8:9], v[20:21], v[22:23], v[8:9]
	s_andn2_b64 exec, exec, s[0:1]
	s_cbranch_execnz .LBB79_15
; %bb.16:
	s_or_b64 exec, exec, s[0:1]
.LBB79_17:
	s_or_b64 exec, exec, s[6:7]
.LBB79_18:
	v_mov_b32_dpp v10, v6 row_shr:1 row_mask:0xf bank_mask:0xf
	v_mov_b32_dpp v11, v7 row_shr:1 row_mask:0xf bank_mask:0xf
	v_add_f64 v[6:7], v[6:7], v[10:11]
	v_mov_b32_dpp v10, v8 row_shr:1 row_mask:0xf bank_mask:0xf
	v_mov_b32_dpp v11, v9 row_shr:1 row_mask:0xf bank_mask:0xf
	v_add_f64 v[8:9], v[8:9], v[10:11]
	v_cmp_eq_u32_e32 vcc, 31, v0
	v_mov_b32_dpp v10, v6 row_shr:2 row_mask:0xf bank_mask:0xf
	v_mov_b32_dpp v11, v7 row_shr:2 row_mask:0xf bank_mask:0xf
	v_add_f64 v[6:7], v[6:7], v[10:11]
	v_mov_b32_dpp v12, v8 row_shr:2 row_mask:0xf bank_mask:0xf
	v_mov_b32_dpp v13, v9 row_shr:2 row_mask:0xf bank_mask:0xf
	v_add_f64 v[8:9], v[8:9], v[12:13]
	;; [unrolled: 3-line block ×6, first 2 shown]
	v_mov_b32_dpp v8, v6 row_bcast:15 row_mask:0xa bank_mask:0xf
	v_mov_b32_dpp v9, v7 row_bcast:15 row_mask:0xa bank_mask:0xf
	;; [unrolled: 1-line block ×4, first 2 shown]
	s_and_b64 exec, exec, vcc
	s_cbranch_execz .LBB79_23
; %bb.19:
	v_add_f64 v[8:9], v[6:7], v[8:9]
	v_add_f64 v[6:7], v[10:11], v[12:13]
	v_cmp_eq_f64_e32 vcc, 0, v[3:4]
	s_load_dwordx2 s[0:1], s[4:5], 0x38
	s_and_saveexec_b64 s[2:3], vcc
	s_xor_b64 s[2:3], exec, s[2:3]
	s_cbranch_execz .LBB79_21
; %bb.20:
	v_mul_f64 v[3:4], v[1:2], v[8:9]
	v_lshlrev_b32_e32 v0, 1, v5
	v_mul_f64 v[5:6], v[1:2], v[6:7]
	v_ashrrev_i32_e32 v1, 31, v0
	v_lshlrev_b64 v[0:1], 3, v[0:1]
	s_waitcnt lgkmcnt(0)
	v_mov_b32_e32 v2, s1
	v_add_co_u32_e32 v0, vcc, s0, v0
	v_addc_co_u32_e32 v1, vcc, v2, v1, vcc
	global_store_dwordx4 v[0:1], v[3:6], off
                                        ; implicit-def: $vgpr5
                                        ; implicit-def: $vgpr1_vgpr2
                                        ; implicit-def: $vgpr8_vgpr9
                                        ; implicit-def: $vgpr3_vgpr4
                                        ; implicit-def: $vgpr6_vgpr7
.LBB79_21:
	s_andn2_saveexec_b64 s[2:3], s[2:3]
	s_cbranch_execz .LBB79_23
; %bb.22:
	v_lshlrev_b32_e32 v10, 1, v5
	v_ashrrev_i32_e32 v11, 31, v10
	v_lshlrev_b64 v[10:11], 3, v[10:11]
	s_waitcnt lgkmcnt(0)
	v_mov_b32_e32 v0, s1
	v_add_co_u32_e32 v14, vcc, s0, v10
	v_addc_co_u32_e32 v15, vcc, v0, v11, vcc
	global_load_dwordx4 v[10:13], v[14:15], off
	v_mul_f64 v[8:9], v[1:2], v[8:9]
	v_mul_f64 v[5:6], v[1:2], v[6:7]
	s_waitcnt vmcnt(0)
	v_fma_f64 v[0:1], v[3:4], v[10:11], v[8:9]
	v_fma_f64 v[2:3], v[3:4], v[12:13], v[5:6]
	global_store_dwordx4 v[14:15], v[0:3], off
.LBB79_23:
	s_endpgm
	.section	.rodata,"a",@progbits
	.p2align	6, 0x0
	.amdhsa_kernel _ZN9rocsparseL19gebsrmvn_2xn_kernelILj128ELj1ELj32EdEEvi20rocsparse_direction_NS_24const_host_device_scalarIT2_EEPKiS6_PKS3_S8_S4_PS3_21rocsparse_index_base_b
		.amdhsa_group_segment_fixed_size 0
		.amdhsa_private_segment_fixed_size 0
		.amdhsa_kernarg_size 72
		.amdhsa_user_sgpr_count 6
		.amdhsa_user_sgpr_private_segment_buffer 1
		.amdhsa_user_sgpr_dispatch_ptr 0
		.amdhsa_user_sgpr_queue_ptr 0
		.amdhsa_user_sgpr_kernarg_segment_ptr 1
		.amdhsa_user_sgpr_dispatch_id 0
		.amdhsa_user_sgpr_flat_scratch_init 0
		.amdhsa_user_sgpr_private_segment_size 0
		.amdhsa_uses_dynamic_stack 0
		.amdhsa_system_sgpr_private_segment_wavefront_offset 0
		.amdhsa_system_sgpr_workgroup_id_x 1
		.amdhsa_system_sgpr_workgroup_id_y 0
		.amdhsa_system_sgpr_workgroup_id_z 0
		.amdhsa_system_sgpr_workgroup_info 0
		.amdhsa_system_vgpr_workitem_id 0
		.amdhsa_next_free_vgpr 25
		.amdhsa_next_free_sgpr 16
		.amdhsa_reserve_vcc 1
		.amdhsa_reserve_flat_scratch 0
		.amdhsa_float_round_mode_32 0
		.amdhsa_float_round_mode_16_64 0
		.amdhsa_float_denorm_mode_32 3
		.amdhsa_float_denorm_mode_16_64 3
		.amdhsa_dx10_clamp 1
		.amdhsa_ieee_mode 1
		.amdhsa_fp16_overflow 0
		.amdhsa_exception_fp_ieee_invalid_op 0
		.amdhsa_exception_fp_denorm_src 0
		.amdhsa_exception_fp_ieee_div_zero 0
		.amdhsa_exception_fp_ieee_overflow 0
		.amdhsa_exception_fp_ieee_underflow 0
		.amdhsa_exception_fp_ieee_inexact 0
		.amdhsa_exception_int_div_zero 0
	.end_amdhsa_kernel
	.section	.text._ZN9rocsparseL19gebsrmvn_2xn_kernelILj128ELj1ELj32EdEEvi20rocsparse_direction_NS_24const_host_device_scalarIT2_EEPKiS6_PKS3_S8_S4_PS3_21rocsparse_index_base_b,"axG",@progbits,_ZN9rocsparseL19gebsrmvn_2xn_kernelILj128ELj1ELj32EdEEvi20rocsparse_direction_NS_24const_host_device_scalarIT2_EEPKiS6_PKS3_S8_S4_PS3_21rocsparse_index_base_b,comdat
.Lfunc_end79:
	.size	_ZN9rocsparseL19gebsrmvn_2xn_kernelILj128ELj1ELj32EdEEvi20rocsparse_direction_NS_24const_host_device_scalarIT2_EEPKiS6_PKS3_S8_S4_PS3_21rocsparse_index_base_b, .Lfunc_end79-_ZN9rocsparseL19gebsrmvn_2xn_kernelILj128ELj1ELj32EdEEvi20rocsparse_direction_NS_24const_host_device_scalarIT2_EEPKiS6_PKS3_S8_S4_PS3_21rocsparse_index_base_b
                                        ; -- End function
	.set _ZN9rocsparseL19gebsrmvn_2xn_kernelILj128ELj1ELj32EdEEvi20rocsparse_direction_NS_24const_host_device_scalarIT2_EEPKiS6_PKS3_S8_S4_PS3_21rocsparse_index_base_b.num_vgpr, 25
	.set _ZN9rocsparseL19gebsrmvn_2xn_kernelILj128ELj1ELj32EdEEvi20rocsparse_direction_NS_24const_host_device_scalarIT2_EEPKiS6_PKS3_S8_S4_PS3_21rocsparse_index_base_b.num_agpr, 0
	.set _ZN9rocsparseL19gebsrmvn_2xn_kernelILj128ELj1ELj32EdEEvi20rocsparse_direction_NS_24const_host_device_scalarIT2_EEPKiS6_PKS3_S8_S4_PS3_21rocsparse_index_base_b.numbered_sgpr, 16
	.set _ZN9rocsparseL19gebsrmvn_2xn_kernelILj128ELj1ELj32EdEEvi20rocsparse_direction_NS_24const_host_device_scalarIT2_EEPKiS6_PKS3_S8_S4_PS3_21rocsparse_index_base_b.num_named_barrier, 0
	.set _ZN9rocsparseL19gebsrmvn_2xn_kernelILj128ELj1ELj32EdEEvi20rocsparse_direction_NS_24const_host_device_scalarIT2_EEPKiS6_PKS3_S8_S4_PS3_21rocsparse_index_base_b.private_seg_size, 0
	.set _ZN9rocsparseL19gebsrmvn_2xn_kernelILj128ELj1ELj32EdEEvi20rocsparse_direction_NS_24const_host_device_scalarIT2_EEPKiS6_PKS3_S8_S4_PS3_21rocsparse_index_base_b.uses_vcc, 1
	.set _ZN9rocsparseL19gebsrmvn_2xn_kernelILj128ELj1ELj32EdEEvi20rocsparse_direction_NS_24const_host_device_scalarIT2_EEPKiS6_PKS3_S8_S4_PS3_21rocsparse_index_base_b.uses_flat_scratch, 0
	.set _ZN9rocsparseL19gebsrmvn_2xn_kernelILj128ELj1ELj32EdEEvi20rocsparse_direction_NS_24const_host_device_scalarIT2_EEPKiS6_PKS3_S8_S4_PS3_21rocsparse_index_base_b.has_dyn_sized_stack, 0
	.set _ZN9rocsparseL19gebsrmvn_2xn_kernelILj128ELj1ELj32EdEEvi20rocsparse_direction_NS_24const_host_device_scalarIT2_EEPKiS6_PKS3_S8_S4_PS3_21rocsparse_index_base_b.has_recursion, 0
	.set _ZN9rocsparseL19gebsrmvn_2xn_kernelILj128ELj1ELj32EdEEvi20rocsparse_direction_NS_24const_host_device_scalarIT2_EEPKiS6_PKS3_S8_S4_PS3_21rocsparse_index_base_b.has_indirect_call, 0
	.section	.AMDGPU.csdata,"",@progbits
; Kernel info:
; codeLenInByte = 1096
; TotalNumSgprs: 20
; NumVgprs: 25
; ScratchSize: 0
; MemoryBound: 0
; FloatMode: 240
; IeeeMode: 1
; LDSByteSize: 0 bytes/workgroup (compile time only)
; SGPRBlocks: 2
; VGPRBlocks: 6
; NumSGPRsForWavesPerEU: 20
; NumVGPRsForWavesPerEU: 25
; Occupancy: 9
; WaveLimiterHint : 1
; COMPUTE_PGM_RSRC2:SCRATCH_EN: 0
; COMPUTE_PGM_RSRC2:USER_SGPR: 6
; COMPUTE_PGM_RSRC2:TRAP_HANDLER: 0
; COMPUTE_PGM_RSRC2:TGID_X_EN: 1
; COMPUTE_PGM_RSRC2:TGID_Y_EN: 0
; COMPUTE_PGM_RSRC2:TGID_Z_EN: 0
; COMPUTE_PGM_RSRC2:TIDIG_COMP_CNT: 0
	.section	.text._ZN9rocsparseL19gebsrmvn_2xn_kernelILj128ELj1ELj64EdEEvi20rocsparse_direction_NS_24const_host_device_scalarIT2_EEPKiS6_PKS3_S8_S4_PS3_21rocsparse_index_base_b,"axG",@progbits,_ZN9rocsparseL19gebsrmvn_2xn_kernelILj128ELj1ELj64EdEEvi20rocsparse_direction_NS_24const_host_device_scalarIT2_EEPKiS6_PKS3_S8_S4_PS3_21rocsparse_index_base_b,comdat
	.globl	_ZN9rocsparseL19gebsrmvn_2xn_kernelILj128ELj1ELj64EdEEvi20rocsparse_direction_NS_24const_host_device_scalarIT2_EEPKiS6_PKS3_S8_S4_PS3_21rocsparse_index_base_b ; -- Begin function _ZN9rocsparseL19gebsrmvn_2xn_kernelILj128ELj1ELj64EdEEvi20rocsparse_direction_NS_24const_host_device_scalarIT2_EEPKiS6_PKS3_S8_S4_PS3_21rocsparse_index_base_b
	.p2align	8
	.type	_ZN9rocsparseL19gebsrmvn_2xn_kernelILj128ELj1ELj64EdEEvi20rocsparse_direction_NS_24const_host_device_scalarIT2_EEPKiS6_PKS3_S8_S4_PS3_21rocsparse_index_base_b,@function
_ZN9rocsparseL19gebsrmvn_2xn_kernelILj128ELj1ELj64EdEEvi20rocsparse_direction_NS_24const_host_device_scalarIT2_EEPKiS6_PKS3_S8_S4_PS3_21rocsparse_index_base_b: ; @_ZN9rocsparseL19gebsrmvn_2xn_kernelILj128ELj1ELj64EdEEvi20rocsparse_direction_NS_24const_host_device_scalarIT2_EEPKiS6_PKS3_S8_S4_PS3_21rocsparse_index_base_b
; %bb.0:
	s_load_dwordx2 s[2:3], s[4:5], 0x40
	s_load_dwordx2 s[10:11], s[4:5], 0x8
	;; [unrolled: 1-line block ×3, first 2 shown]
	s_waitcnt lgkmcnt(0)
	s_bitcmp1_b32 s3, 0
	s_cselect_b64 s[12:13], -1, 0
	v_mov_b32_e32 v1, s10
	s_xor_b64 s[8:9], s[12:13], -1
	s_and_b64 vcc, exec, s[12:13]
	v_mov_b32_e32 v2, s11
	s_cbranch_vccnz .LBB80_2
; %bb.1:
	v_mov_b32_e32 v1, s10
	v_mov_b32_e32 v2, s11
	flat_load_dwordx2 v[1:2], v[1:2]
.LBB80_2:
	v_mov_b32_e32 v4, s1
	s_andn2_b64 vcc, exec, s[8:9]
	v_mov_b32_e32 v3, s0
	s_cbranch_vccnz .LBB80_4
; %bb.3:
	v_mov_b32_e32 v4, s1
	v_mov_b32_e32 v3, s0
	flat_load_dwordx2 v[3:4], v[3:4]
.LBB80_4:
	s_waitcnt vmcnt(0) lgkmcnt(0)
	v_cmp_neq_f64_e32 vcc, 0, v[1:2]
	v_cmp_neq_f64_e64 s[0:1], 1.0, v[3:4]
	s_or_b64 s[0:1], vcc, s[0:1]
	s_and_saveexec_b64 s[8:9], s[0:1]
	s_cbranch_execz .LBB80_23
; %bb.5:
	s_load_dwordx2 s[0:1], s[4:5], 0x0
	v_lshrrev_b32_e32 v5, 6, v0
	v_lshl_or_b32 v5, s6, 1, v5
	s_waitcnt lgkmcnt(0)
	v_cmp_gt_i32_e32 vcc, s0, v5
	s_and_b64 exec, exec, vcc
	s_cbranch_execz .LBB80_23
; %bb.6:
	s_load_dwordx8 s[8:15], s[4:5], 0x10
	v_ashrrev_i32_e32 v6, 31, v5
	v_lshlrev_b64 v[6:7], 2, v[5:6]
	v_and_b32_e32 v0, 63, v0
	s_cmp_lg_u32 s1, 0
	s_waitcnt lgkmcnt(0)
	v_mov_b32_e32 v8, s9
	v_add_co_u32_e32 v6, vcc, s8, v6
	v_addc_co_u32_e32 v7, vcc, v8, v7, vcc
	global_load_dwordx2 v[6:7], v[6:7], off
	s_waitcnt vmcnt(0)
	v_subrev_u32_e32 v6, s2, v6
	v_subrev_u32_e32 v15, s2, v7
	v_add_u32_e32 v10, v6, v0
	v_cmp_lt_i32_e64 s[0:1], v10, v15
	s_cbranch_scc0 .LBB80_12
; %bb.7:
	v_mov_b32_e32 v8, 0
	v_mov_b32_e32 v6, 0
	;; [unrolled: 1-line block ×4, first 2 shown]
	s_and_saveexec_b64 s[6:7], s[0:1]
	s_cbranch_execz .LBB80_11
; %bb.8:
	v_mov_b32_e32 v8, 0
	v_mov_b32_e32 v6, 0
	v_lshlrev_b32_e32 v11, 1, v10
	v_mov_b32_e32 v9, 0
	s_mov_b64 s[8:9], 0
	v_mov_b32_e32 v16, s11
	v_mov_b32_e32 v12, 0
	;; [unrolled: 1-line block ×6, first 2 shown]
.LBB80_9:                               ; =>This Inner Loop Header: Depth=1
	v_ashrrev_i32_e32 v14, 31, v13
	v_lshlrev_b64 v[19:20], 2, v[13:14]
	v_mov_b32_e32 v24, v12
	v_add_co_u32_e32 v19, vcc, s10, v19
	v_addc_co_u32_e32 v20, vcc, v16, v20, vcc
	global_load_dword v14, v[19:20], off
	v_lshlrev_b64 v[19:20], 3, v[11:12]
	v_add_u32_e32 v13, 64, v13
	v_add_co_u32_e32 v19, vcc, s12, v19
	v_addc_co_u32_e32 v20, vcc, v17, v20, vcc
	global_load_dwordx4 v[19:22], v[19:20], off
	v_add_u32_e32 v11, 0x80, v11
	s_waitcnt vmcnt(1)
	v_subrev_u32_e32 v23, s2, v14
	v_lshlrev_b64 v[23:24], 3, v[23:24]
	v_add_co_u32_e32 v23, vcc, s14, v23
	v_addc_co_u32_e32 v24, vcc, v18, v24, vcc
	global_load_dwordx2 v[23:24], v[23:24], off
	v_cmp_ge_i32_e32 vcc, v13, v15
	s_or_b64 s[8:9], vcc, s[8:9]
	s_waitcnt vmcnt(0)
	v_fma_f64 v[8:9], v[19:20], v[23:24], v[8:9]
	v_fma_f64 v[6:7], v[21:22], v[23:24], v[6:7]
	s_andn2_b64 exec, exec, s[8:9]
	s_cbranch_execnz .LBB80_9
; %bb.10:
	s_or_b64 exec, exec, s[8:9]
.LBB80_11:
	s_or_b64 exec, exec, s[6:7]
	s_cbranch_execz .LBB80_13
	s_branch .LBB80_18
.LBB80_12:
                                        ; implicit-def: $vgpr8_vgpr9
                                        ; implicit-def: $vgpr6_vgpr7
.LBB80_13:
	v_mov_b32_e32 v8, 0
	v_mov_b32_e32 v6, 0
	;; [unrolled: 1-line block ×4, first 2 shown]
	s_and_saveexec_b64 s[6:7], s[0:1]
	s_cbranch_execz .LBB80_17
; %bb.14:
	v_mov_b32_e32 v8, 0
	v_mov_b32_e32 v6, 0
	v_lshlrev_b32_e32 v12, 1, v10
	v_mov_b32_e32 v9, 0
	s_mov_b64 s[0:1], 0
	v_mov_b32_e32 v14, s11
	v_mov_b32_e32 v13, 0
	;; [unrolled: 1-line block ×5, first 2 shown]
.LBB80_15:                              ; =>This Inner Loop Header: Depth=1
	v_ashrrev_i32_e32 v11, 31, v10
	v_lshlrev_b64 v[18:19], 2, v[10:11]
	v_mov_b32_e32 v23, v13
	v_add_co_u32_e32 v18, vcc, s10, v18
	v_addc_co_u32_e32 v19, vcc, v14, v19, vcc
	global_load_dword v11, v[18:19], off
	v_lshlrev_b64 v[18:19], 3, v[12:13]
	v_add_u32_e32 v10, 64, v10
	v_add_co_u32_e32 v18, vcc, s12, v18
	v_addc_co_u32_e32 v19, vcc, v16, v19, vcc
	global_load_dwordx4 v[18:21], v[18:19], off
	v_add_u32_e32 v12, 0x80, v12
	s_waitcnt vmcnt(1)
	v_subrev_u32_e32 v22, s2, v11
	v_lshlrev_b64 v[22:23], 3, v[22:23]
	v_add_co_u32_e32 v22, vcc, s14, v22
	v_addc_co_u32_e32 v23, vcc, v17, v23, vcc
	global_load_dwordx2 v[22:23], v[22:23], off
	v_cmp_ge_i32_e32 vcc, v10, v15
	s_or_b64 s[0:1], vcc, s[0:1]
	s_waitcnt vmcnt(0)
	v_fma_f64 v[8:9], v[18:19], v[22:23], v[8:9]
	v_fma_f64 v[6:7], v[20:21], v[22:23], v[6:7]
	s_andn2_b64 exec, exec, s[0:1]
	s_cbranch_execnz .LBB80_15
; %bb.16:
	s_or_b64 exec, exec, s[0:1]
.LBB80_17:
	s_or_b64 exec, exec, s[6:7]
.LBB80_18:
	v_mov_b32_dpp v10, v8 row_shr:1 row_mask:0xf bank_mask:0xf
	v_mov_b32_dpp v11, v9 row_shr:1 row_mask:0xf bank_mask:0xf
	v_add_f64 v[8:9], v[8:9], v[10:11]
	v_mov_b32_dpp v10, v6 row_shr:1 row_mask:0xf bank_mask:0xf
	v_mov_b32_dpp v11, v7 row_shr:1 row_mask:0xf bank_mask:0xf
	v_add_f64 v[6:7], v[6:7], v[10:11]
	v_cmp_eq_u32_e32 vcc, 63, v0
	v_mov_b32_dpp v10, v8 row_shr:2 row_mask:0xf bank_mask:0xf
	v_mov_b32_dpp v11, v9 row_shr:2 row_mask:0xf bank_mask:0xf
	v_add_f64 v[8:9], v[8:9], v[10:11]
	v_mov_b32_dpp v12, v6 row_shr:2 row_mask:0xf bank_mask:0xf
	v_mov_b32_dpp v13, v7 row_shr:2 row_mask:0xf bank_mask:0xf
	v_add_f64 v[6:7], v[6:7], v[12:13]
	;; [unrolled: 3-line block ×6, first 2 shown]
	v_mov_b32_dpp v6, v8 row_bcast:15 row_mask:0xa bank_mask:0xf
	v_mov_b32_dpp v7, v9 row_bcast:15 row_mask:0xa bank_mask:0xf
	v_add_f64 v[6:7], v[8:9], v[6:7]
	v_mov_b32_dpp v12, v10 row_bcast:15 row_mask:0xa bank_mask:0xf
	v_mov_b32_dpp v13, v11 row_bcast:15 row_mask:0xa bank_mask:0xf
	v_add_f64 v[10:11], v[10:11], v[12:13]
	v_mov_b32_dpp v8, v6 row_bcast:31 row_mask:0xc bank_mask:0xf
	v_mov_b32_dpp v9, v7 row_bcast:31 row_mask:0xc bank_mask:0xf
	;; [unrolled: 1-line block ×4, first 2 shown]
	s_and_b64 exec, exec, vcc
	s_cbranch_execz .LBB80_23
; %bb.19:
	v_add_f64 v[8:9], v[6:7], v[8:9]
	v_add_f64 v[6:7], v[10:11], v[12:13]
	v_cmp_eq_f64_e32 vcc, 0, v[3:4]
	s_load_dwordx2 s[0:1], s[4:5], 0x38
	s_and_saveexec_b64 s[2:3], vcc
	s_xor_b64 s[2:3], exec, s[2:3]
	s_cbranch_execz .LBB80_21
; %bb.20:
	v_mul_f64 v[3:4], v[1:2], v[8:9]
	v_lshlrev_b32_e32 v0, 1, v5
	v_mul_f64 v[5:6], v[1:2], v[6:7]
	v_ashrrev_i32_e32 v1, 31, v0
	v_lshlrev_b64 v[0:1], 3, v[0:1]
	s_waitcnt lgkmcnt(0)
	v_mov_b32_e32 v2, s1
	v_add_co_u32_e32 v0, vcc, s0, v0
	v_addc_co_u32_e32 v1, vcc, v2, v1, vcc
	global_store_dwordx4 v[0:1], v[3:6], off
                                        ; implicit-def: $vgpr5
                                        ; implicit-def: $vgpr1_vgpr2
                                        ; implicit-def: $vgpr8_vgpr9
                                        ; implicit-def: $vgpr3_vgpr4
                                        ; implicit-def: $vgpr6_vgpr7
.LBB80_21:
	s_andn2_saveexec_b64 s[2:3], s[2:3]
	s_cbranch_execz .LBB80_23
; %bb.22:
	v_lshlrev_b32_e32 v10, 1, v5
	v_ashrrev_i32_e32 v11, 31, v10
	v_lshlrev_b64 v[10:11], 3, v[10:11]
	s_waitcnt lgkmcnt(0)
	v_mov_b32_e32 v0, s1
	v_add_co_u32_e32 v14, vcc, s0, v10
	v_addc_co_u32_e32 v15, vcc, v0, v11, vcc
	global_load_dwordx4 v[10:13], v[14:15], off
	v_mul_f64 v[8:9], v[1:2], v[8:9]
	v_mul_f64 v[5:6], v[1:2], v[6:7]
	s_waitcnt vmcnt(0)
	v_fma_f64 v[0:1], v[3:4], v[10:11], v[8:9]
	v_fma_f64 v[2:3], v[3:4], v[12:13], v[5:6]
	global_store_dwordx4 v[14:15], v[0:3], off
.LBB80_23:
	s_endpgm
	.section	.rodata,"a",@progbits
	.p2align	6, 0x0
	.amdhsa_kernel _ZN9rocsparseL19gebsrmvn_2xn_kernelILj128ELj1ELj64EdEEvi20rocsparse_direction_NS_24const_host_device_scalarIT2_EEPKiS6_PKS3_S8_S4_PS3_21rocsparse_index_base_b
		.amdhsa_group_segment_fixed_size 0
		.amdhsa_private_segment_fixed_size 0
		.amdhsa_kernarg_size 72
		.amdhsa_user_sgpr_count 6
		.amdhsa_user_sgpr_private_segment_buffer 1
		.amdhsa_user_sgpr_dispatch_ptr 0
		.amdhsa_user_sgpr_queue_ptr 0
		.amdhsa_user_sgpr_kernarg_segment_ptr 1
		.amdhsa_user_sgpr_dispatch_id 0
		.amdhsa_user_sgpr_flat_scratch_init 0
		.amdhsa_user_sgpr_private_segment_size 0
		.amdhsa_uses_dynamic_stack 0
		.amdhsa_system_sgpr_private_segment_wavefront_offset 0
		.amdhsa_system_sgpr_workgroup_id_x 1
		.amdhsa_system_sgpr_workgroup_id_y 0
		.amdhsa_system_sgpr_workgroup_id_z 0
		.amdhsa_system_sgpr_workgroup_info 0
		.amdhsa_system_vgpr_workitem_id 0
		.amdhsa_next_free_vgpr 25
		.amdhsa_next_free_sgpr 16
		.amdhsa_reserve_vcc 1
		.amdhsa_reserve_flat_scratch 0
		.amdhsa_float_round_mode_32 0
		.amdhsa_float_round_mode_16_64 0
		.amdhsa_float_denorm_mode_32 3
		.amdhsa_float_denorm_mode_16_64 3
		.amdhsa_dx10_clamp 1
		.amdhsa_ieee_mode 1
		.amdhsa_fp16_overflow 0
		.amdhsa_exception_fp_ieee_invalid_op 0
		.amdhsa_exception_fp_denorm_src 0
		.amdhsa_exception_fp_ieee_div_zero 0
		.amdhsa_exception_fp_ieee_overflow 0
		.amdhsa_exception_fp_ieee_underflow 0
		.amdhsa_exception_fp_ieee_inexact 0
		.amdhsa_exception_int_div_zero 0
	.end_amdhsa_kernel
	.section	.text._ZN9rocsparseL19gebsrmvn_2xn_kernelILj128ELj1ELj64EdEEvi20rocsparse_direction_NS_24const_host_device_scalarIT2_EEPKiS6_PKS3_S8_S4_PS3_21rocsparse_index_base_b,"axG",@progbits,_ZN9rocsparseL19gebsrmvn_2xn_kernelILj128ELj1ELj64EdEEvi20rocsparse_direction_NS_24const_host_device_scalarIT2_EEPKiS6_PKS3_S8_S4_PS3_21rocsparse_index_base_b,comdat
.Lfunc_end80:
	.size	_ZN9rocsparseL19gebsrmvn_2xn_kernelILj128ELj1ELj64EdEEvi20rocsparse_direction_NS_24const_host_device_scalarIT2_EEPKiS6_PKS3_S8_S4_PS3_21rocsparse_index_base_b, .Lfunc_end80-_ZN9rocsparseL19gebsrmvn_2xn_kernelILj128ELj1ELj64EdEEvi20rocsparse_direction_NS_24const_host_device_scalarIT2_EEPKiS6_PKS3_S8_S4_PS3_21rocsparse_index_base_b
                                        ; -- End function
	.set _ZN9rocsparseL19gebsrmvn_2xn_kernelILj128ELj1ELj64EdEEvi20rocsparse_direction_NS_24const_host_device_scalarIT2_EEPKiS6_PKS3_S8_S4_PS3_21rocsparse_index_base_b.num_vgpr, 25
	.set _ZN9rocsparseL19gebsrmvn_2xn_kernelILj128ELj1ELj64EdEEvi20rocsparse_direction_NS_24const_host_device_scalarIT2_EEPKiS6_PKS3_S8_S4_PS3_21rocsparse_index_base_b.num_agpr, 0
	.set _ZN9rocsparseL19gebsrmvn_2xn_kernelILj128ELj1ELj64EdEEvi20rocsparse_direction_NS_24const_host_device_scalarIT2_EEPKiS6_PKS3_S8_S4_PS3_21rocsparse_index_base_b.numbered_sgpr, 16
	.set _ZN9rocsparseL19gebsrmvn_2xn_kernelILj128ELj1ELj64EdEEvi20rocsparse_direction_NS_24const_host_device_scalarIT2_EEPKiS6_PKS3_S8_S4_PS3_21rocsparse_index_base_b.num_named_barrier, 0
	.set _ZN9rocsparseL19gebsrmvn_2xn_kernelILj128ELj1ELj64EdEEvi20rocsparse_direction_NS_24const_host_device_scalarIT2_EEPKiS6_PKS3_S8_S4_PS3_21rocsparse_index_base_b.private_seg_size, 0
	.set _ZN9rocsparseL19gebsrmvn_2xn_kernelILj128ELj1ELj64EdEEvi20rocsparse_direction_NS_24const_host_device_scalarIT2_EEPKiS6_PKS3_S8_S4_PS3_21rocsparse_index_base_b.uses_vcc, 1
	.set _ZN9rocsparseL19gebsrmvn_2xn_kernelILj128ELj1ELj64EdEEvi20rocsparse_direction_NS_24const_host_device_scalarIT2_EEPKiS6_PKS3_S8_S4_PS3_21rocsparse_index_base_b.uses_flat_scratch, 0
	.set _ZN9rocsparseL19gebsrmvn_2xn_kernelILj128ELj1ELj64EdEEvi20rocsparse_direction_NS_24const_host_device_scalarIT2_EEPKiS6_PKS3_S8_S4_PS3_21rocsparse_index_base_b.has_dyn_sized_stack, 0
	.set _ZN9rocsparseL19gebsrmvn_2xn_kernelILj128ELj1ELj64EdEEvi20rocsparse_direction_NS_24const_host_device_scalarIT2_EEPKiS6_PKS3_S8_S4_PS3_21rocsparse_index_base_b.has_recursion, 0
	.set _ZN9rocsparseL19gebsrmvn_2xn_kernelILj128ELj1ELj64EdEEvi20rocsparse_direction_NS_24const_host_device_scalarIT2_EEPKiS6_PKS3_S8_S4_PS3_21rocsparse_index_base_b.has_indirect_call, 0
	.section	.AMDGPU.csdata,"",@progbits
; Kernel info:
; codeLenInByte = 1152
; TotalNumSgprs: 20
; NumVgprs: 25
; ScratchSize: 0
; MemoryBound: 0
; FloatMode: 240
; IeeeMode: 1
; LDSByteSize: 0 bytes/workgroup (compile time only)
; SGPRBlocks: 2
; VGPRBlocks: 6
; NumSGPRsForWavesPerEU: 20
; NumVGPRsForWavesPerEU: 25
; Occupancy: 9
; WaveLimiterHint : 1
; COMPUTE_PGM_RSRC2:SCRATCH_EN: 0
; COMPUTE_PGM_RSRC2:USER_SGPR: 6
; COMPUTE_PGM_RSRC2:TRAP_HANDLER: 0
; COMPUTE_PGM_RSRC2:TGID_X_EN: 1
; COMPUTE_PGM_RSRC2:TGID_Y_EN: 0
; COMPUTE_PGM_RSRC2:TGID_Z_EN: 0
; COMPUTE_PGM_RSRC2:TIDIG_COMP_CNT: 0
	.section	.text._ZN9rocsparseL19gebsrmvn_2xn_kernelILj128ELj3ELj4EdEEvi20rocsparse_direction_NS_24const_host_device_scalarIT2_EEPKiS6_PKS3_S8_S4_PS3_21rocsparse_index_base_b,"axG",@progbits,_ZN9rocsparseL19gebsrmvn_2xn_kernelILj128ELj3ELj4EdEEvi20rocsparse_direction_NS_24const_host_device_scalarIT2_EEPKiS6_PKS3_S8_S4_PS3_21rocsparse_index_base_b,comdat
	.globl	_ZN9rocsparseL19gebsrmvn_2xn_kernelILj128ELj3ELj4EdEEvi20rocsparse_direction_NS_24const_host_device_scalarIT2_EEPKiS6_PKS3_S8_S4_PS3_21rocsparse_index_base_b ; -- Begin function _ZN9rocsparseL19gebsrmvn_2xn_kernelILj128ELj3ELj4EdEEvi20rocsparse_direction_NS_24const_host_device_scalarIT2_EEPKiS6_PKS3_S8_S4_PS3_21rocsparse_index_base_b
	.p2align	8
	.type	_ZN9rocsparseL19gebsrmvn_2xn_kernelILj128ELj3ELj4EdEEvi20rocsparse_direction_NS_24const_host_device_scalarIT2_EEPKiS6_PKS3_S8_S4_PS3_21rocsparse_index_base_b,@function
_ZN9rocsparseL19gebsrmvn_2xn_kernelILj128ELj3ELj4EdEEvi20rocsparse_direction_NS_24const_host_device_scalarIT2_EEPKiS6_PKS3_S8_S4_PS3_21rocsparse_index_base_b: ; @_ZN9rocsparseL19gebsrmvn_2xn_kernelILj128ELj3ELj4EdEEvi20rocsparse_direction_NS_24const_host_device_scalarIT2_EEPKiS6_PKS3_S8_S4_PS3_21rocsparse_index_base_b
; %bb.0:
	s_load_dwordx2 s[2:3], s[4:5], 0x40
	s_load_dwordx2 s[10:11], s[4:5], 0x8
	;; [unrolled: 1-line block ×3, first 2 shown]
	s_waitcnt lgkmcnt(0)
	s_bitcmp1_b32 s3, 0
	s_cselect_b64 s[12:13], -1, 0
	v_mov_b32_e32 v1, s10
	s_xor_b64 s[8:9], s[12:13], -1
	s_and_b64 vcc, exec, s[12:13]
	v_mov_b32_e32 v2, s11
	s_cbranch_vccnz .LBB81_2
; %bb.1:
	v_mov_b32_e32 v1, s10
	v_mov_b32_e32 v2, s11
	flat_load_dwordx2 v[1:2], v[1:2]
.LBB81_2:
	v_mov_b32_e32 v4, s1
	s_andn2_b64 vcc, exec, s[8:9]
	v_mov_b32_e32 v3, s0
	s_cbranch_vccnz .LBB81_4
; %bb.3:
	v_mov_b32_e32 v4, s1
	v_mov_b32_e32 v3, s0
	flat_load_dwordx2 v[3:4], v[3:4]
.LBB81_4:
	s_waitcnt vmcnt(0) lgkmcnt(0)
	v_cmp_neq_f64_e32 vcc, 0, v[1:2]
	v_cmp_neq_f64_e64 s[0:1], 1.0, v[3:4]
	s_or_b64 s[0:1], vcc, s[0:1]
	s_and_saveexec_b64 s[8:9], s[0:1]
	s_cbranch_execz .LBB81_23
; %bb.5:
	s_load_dwordx2 s[0:1], s[4:5], 0x0
	v_lshrrev_b32_e32 v5, 2, v0
	v_lshl_or_b32 v5, s6, 5, v5
	s_waitcnt lgkmcnt(0)
	v_cmp_gt_i32_e32 vcc, s0, v5
	s_and_b64 exec, exec, vcc
	s_cbranch_execz .LBB81_23
; %bb.6:
	s_load_dwordx8 s[8:15], s[4:5], 0x10
	v_ashrrev_i32_e32 v6, 31, v5
	v_lshlrev_b64 v[6:7], 2, v[5:6]
	v_and_b32_e32 v0, 3, v0
	s_cmp_lg_u32 s1, 0
	s_waitcnt lgkmcnt(0)
	v_mov_b32_e32 v8, s9
	v_add_co_u32_e32 v6, vcc, s8, v6
	v_addc_co_u32_e32 v7, vcc, v8, v7, vcc
	global_load_dwordx2 v[6:7], v[6:7], off
	s_waitcnt vmcnt(0)
	v_subrev_u32_e32 v6, s2, v6
	v_subrev_u32_e32 v16, s2, v7
	v_add_u32_e32 v6, v6, v0
	v_cmp_lt_i32_e64 s[0:1], v6, v16
	s_cbranch_scc0 .LBB81_12
; %bb.7:
	v_mov_b32_e32 v8, 0
	v_mov_b32_e32 v10, 0
	;; [unrolled: 1-line block ×4, first 2 shown]
	s_and_saveexec_b64 s[6:7], s[0:1]
	s_cbranch_execz .LBB81_11
; %bb.8:
	v_mul_lo_u32 v12, v6, 6
	v_mov_b32_e32 v8, 0
	v_mov_b32_e32 v10, 0
	;; [unrolled: 1-line block ×3, first 2 shown]
	s_mov_b64 s[8:9], 0
	v_mov_b32_e32 v7, s11
	v_mov_b32_e32 v13, 0
	;; [unrolled: 1-line block ×6, first 2 shown]
.LBB81_9:                               ; =>This Inner Loop Header: Depth=1
	v_lshlrev_b64 v[19:20], 3, v[12:13]
	v_ashrrev_i32_e32 v15, 31, v14
	v_lshlrev_b64 v[29:30], 2, v[14:15]
	v_add_co_u32_e32 v31, vcc, s12, v19
	v_addc_co_u32_e32 v32, vcc, v17, v20, vcc
	v_add_co_u32_e32 v19, vcc, s10, v29
	v_addc_co_u32_e32 v20, vcc, v7, v30, vcc
	global_load_dword v15, v[19:20], off
	v_add_u32_e32 v21, 2, v12
	v_mov_b32_e32 v22, v13
	v_lshlrev_b64 v[21:22], 3, v[21:22]
	v_add_u32_e32 v26, 4, v12
	v_mov_b32_e32 v27, v13
	v_lshlrev_b64 v[26:27], 3, v[26:27]
	v_add_co_u32_e32 v29, vcc, s12, v21
	v_mov_b32_e32 v24, v13
	v_addc_co_u32_e32 v30, vcc, v17, v22, vcc
	v_add_co_u32_e32 v26, vcc, s12, v26
	v_addc_co_u32_e32 v27, vcc, v17, v27, vcc
	v_mov_b32_e32 v25, v13
	v_mov_b32_e32 v28, v13
	v_add_u32_e32 v14, 4, v14
	v_add_u32_e32 v12, 24, v12
	s_waitcnt vmcnt(0)
	v_subrev_u32_e32 v15, s2, v15
	v_lshl_add_u32 v23, v15, 1, v15
	v_lshlrev_b64 v[19:20], 3, v[23:24]
	v_add_u32_e32 v24, 1, v23
	v_add_co_u32_e32 v33, vcc, s14, v19
	v_addc_co_u32_e32 v34, vcc, v18, v20, vcc
	global_load_dwordx4 v[19:22], v[31:32], off
	global_load_dwordx2 v[35:36], v[33:34], off
	v_lshlrev_b64 v[24:25], 3, v[24:25]
	v_add_co_u32_e32 v24, vcc, s14, v24
	v_addc_co_u32_e32 v25, vcc, v18, v25, vcc
	s_waitcnt vmcnt(0)
	v_fma_f64 v[31:32], v[19:20], v[35:36], v[8:9]
	v_fma_f64 v[33:34], v[21:22], v[35:36], v[10:11]
	global_load_dwordx4 v[8:11], v[29:30], off
	global_load_dwordx4 v[19:22], v[26:27], off
	v_add_u32_e32 v27, 2, v23
	global_load_dwordx2 v[24:25], v[24:25], off
	v_lshlrev_b64 v[26:27], 3, v[27:28]
	v_add_co_u32_e32 v26, vcc, s14, v26
	v_addc_co_u32_e32 v27, vcc, v18, v27, vcc
	global_load_dwordx2 v[26:27], v[26:27], off
	v_cmp_ge_i32_e32 vcc, v14, v16
	s_or_b64 s[8:9], vcc, s[8:9]
	s_waitcnt vmcnt(1)
	v_fma_f64 v[8:9], v[8:9], v[24:25], v[31:32]
	v_fma_f64 v[10:11], v[10:11], v[24:25], v[33:34]
	s_waitcnt vmcnt(0)
	v_fma_f64 v[8:9], v[19:20], v[26:27], v[8:9]
	v_fma_f64 v[10:11], v[21:22], v[26:27], v[10:11]
	s_andn2_b64 exec, exec, s[8:9]
	s_cbranch_execnz .LBB81_9
; %bb.10:
	s_or_b64 exec, exec, s[8:9]
.LBB81_11:
	s_or_b64 exec, exec, s[6:7]
	s_cbranch_execz .LBB81_13
	s_branch .LBB81_18
.LBB81_12:
                                        ; implicit-def: $vgpr8_vgpr9
                                        ; implicit-def: $vgpr10_vgpr11
.LBB81_13:
	v_mov_b32_e32 v8, 0
	v_mov_b32_e32 v10, 0
	;; [unrolled: 1-line block ×4, first 2 shown]
	s_and_saveexec_b64 s[6:7], s[0:1]
	s_cbranch_execz .LBB81_17
; %bb.14:
	v_mad_u64_u32 v[12:13], s[0:1], v6, 6, 5
	v_mov_b32_e32 v8, 0
	v_mov_b32_e32 v10, 0
	v_mov_b32_e32 v9, 0
	s_mov_b64 s[0:1], 0
	v_mov_b32_e32 v17, s11
	v_mov_b32_e32 v15, 0
	;; [unrolled: 1-line block ×5, first 2 shown]
.LBB81_15:                              ; =>This Inner Loop Header: Depth=1
	v_ashrrev_i32_e32 v7, 31, v6
	v_lshlrev_b64 v[22:23], 2, v[6:7]
	v_add_u32_e32 v14, -5, v12
	v_add_co_u32_e32 v22, vcc, s10, v22
	v_addc_co_u32_e32 v23, vcc, v17, v23, vcc
	global_load_dword v7, v[22:23], off
	v_lshlrev_b64 v[24:25], 3, v[14:15]
	v_add_u32_e32 v20, -2, v12
	v_mov_b32_e32 v21, v15
	v_lshlrev_b64 v[20:21], 3, v[20:21]
	v_add_co_u32_e32 v24, vcc, s12, v24
	v_mov_b32_e32 v13, v15
	v_addc_co_u32_e32 v25, vcc, v18, v25, vcc
	v_lshlrev_b64 v[13:14], 3, v[12:13]
	v_add_co_u32_e32 v20, vcc, s12, v20
	v_addc_co_u32_e32 v21, vcc, v18, v21, vcc
	v_add_co_u32_e32 v26, vcc, s12, v13
	v_addc_co_u32_e32 v27, vcc, v18, v14, vcc
	v_mov_b32_e32 v14, v15
	v_add_u32_e32 v6, 4, v6
	s_waitcnt vmcnt(0)
	v_subrev_u32_e32 v7, s2, v7
	v_lshl_add_u32 v13, v7, 1, v7
	v_lshlrev_b64 v[22:23], 3, v[13:14]
	v_add_u32_e32 v14, 1, v13
	v_add_co_u32_e32 v22, vcc, s14, v22
	v_addc_co_u32_e32 v23, vcc, v19, v23, vcc
	global_load_dwordx2 v[30:31], v[20:21], off
	global_load_dwordx2 v[32:33], v[22:23], off
	v_lshlrev_b64 v[28:29], 3, v[14:15]
	global_load_dwordx4 v[20:23], v[24:25], off
	v_add_co_u32_e32 v28, vcc, s14, v28
	v_addc_co_u32_e32 v29, vcc, v19, v29, vcc
	v_add_u32_e32 v14, -1, v12
	s_waitcnt vmcnt(1)
	v_fma_f64 v[10:11], v[30:31], v[32:33], v[10:11]
	s_waitcnt vmcnt(0)
	v_fma_f64 v[7:8], v[20:21], v[32:33], v[8:9]
	global_load_dwordx2 v[20:21], v[28:29], off
	s_waitcnt vmcnt(0)
	v_fma_f64 v[7:8], v[22:23], v[20:21], v[7:8]
	v_lshlrev_b64 v[22:23], 3, v[14:15]
	v_add_u32_e32 v14, -3, v12
	v_lshlrev_b64 v[24:25], 3, v[14:15]
	v_add_co_u32_e32 v22, vcc, s12, v22
	v_add_u32_e32 v14, 2, v13
	v_addc_co_u32_e32 v23, vcc, v18, v23, vcc
	v_add_co_u32_e32 v24, vcc, s12, v24
	v_lshlrev_b64 v[13:14], 3, v[14:15]
	v_addc_co_u32_e32 v25, vcc, v18, v25, vcc
	v_add_co_u32_e32 v13, vcc, s14, v13
	v_addc_co_u32_e32 v14, vcc, v19, v14, vcc
	global_load_dwordx2 v[28:29], v[22:23], off
	global_load_dwordx2 v[30:31], v[26:27], off
	;; [unrolled: 1-line block ×4, first 2 shown]
	v_cmp_ge_i32_e32 vcc, v6, v16
	s_or_b64 s[0:1], vcc, s[0:1]
	v_add_u32_e32 v12, 24, v12
	s_waitcnt vmcnt(3)
	v_fma_f64 v[10:11], v[28:29], v[20:21], v[10:11]
	s_waitcnt vmcnt(0)
	v_fma_f64 v[8:9], v[32:33], v[34:35], v[7:8]
	v_fma_f64 v[10:11], v[30:31], v[34:35], v[10:11]
	s_andn2_b64 exec, exec, s[0:1]
	s_cbranch_execnz .LBB81_15
; %bb.16:
	s_or_b64 exec, exec, s[0:1]
.LBB81_17:
	s_or_b64 exec, exec, s[6:7]
.LBB81_18:
	v_mov_b32_dpp v6, v8 row_shr:1 row_mask:0xf bank_mask:0xf
	v_mov_b32_dpp v7, v9 row_shr:1 row_mask:0xf bank_mask:0xf
	v_add_f64 v[6:7], v[8:9], v[6:7]
	v_mov_b32_dpp v8, v10 row_shr:1 row_mask:0xf bank_mask:0xf
	v_mov_b32_dpp v9, v11 row_shr:1 row_mask:0xf bank_mask:0xf
	v_add_f64 v[10:11], v[10:11], v[8:9]
	v_cmp_eq_u32_e32 vcc, 3, v0
	v_mov_b32_dpp v8, v6 row_shr:2 row_mask:0xf bank_mask:0xf
	v_mov_b32_dpp v9, v7 row_shr:2 row_mask:0xf bank_mask:0xf
	;; [unrolled: 1-line block ×4, first 2 shown]
	s_and_b64 exec, exec, vcc
	s_cbranch_execz .LBB81_23
; %bb.19:
	v_add_f64 v[8:9], v[6:7], v[8:9]
	v_add_f64 v[6:7], v[10:11], v[12:13]
	v_cmp_eq_f64_e32 vcc, 0, v[3:4]
	s_load_dwordx2 s[0:1], s[4:5], 0x38
	s_and_saveexec_b64 s[2:3], vcc
	s_xor_b64 s[2:3], exec, s[2:3]
	s_cbranch_execz .LBB81_21
; %bb.20:
	v_mul_f64 v[3:4], v[1:2], v[8:9]
	v_lshlrev_b32_e32 v0, 1, v5
	v_mul_f64 v[5:6], v[1:2], v[6:7]
	v_ashrrev_i32_e32 v1, 31, v0
	v_lshlrev_b64 v[0:1], 3, v[0:1]
	s_waitcnt lgkmcnt(0)
	v_mov_b32_e32 v2, s1
	v_add_co_u32_e32 v0, vcc, s0, v0
	v_addc_co_u32_e32 v1, vcc, v2, v1, vcc
	global_store_dwordx4 v[0:1], v[3:6], off
                                        ; implicit-def: $vgpr5
                                        ; implicit-def: $vgpr1_vgpr2
                                        ; implicit-def: $vgpr8_vgpr9
                                        ; implicit-def: $vgpr3_vgpr4
                                        ; implicit-def: $vgpr6_vgpr7
.LBB81_21:
	s_andn2_saveexec_b64 s[2:3], s[2:3]
	s_cbranch_execz .LBB81_23
; %bb.22:
	v_lshlrev_b32_e32 v10, 1, v5
	v_ashrrev_i32_e32 v11, 31, v10
	v_lshlrev_b64 v[10:11], 3, v[10:11]
	s_waitcnt lgkmcnt(0)
	v_mov_b32_e32 v0, s1
	v_add_co_u32_e32 v14, vcc, s0, v10
	v_addc_co_u32_e32 v15, vcc, v0, v11, vcc
	global_load_dwordx4 v[10:13], v[14:15], off
	v_mul_f64 v[8:9], v[1:2], v[8:9]
	v_mul_f64 v[5:6], v[1:2], v[6:7]
	s_waitcnt vmcnt(0)
	v_fma_f64 v[0:1], v[3:4], v[10:11], v[8:9]
	v_fma_f64 v[2:3], v[3:4], v[12:13], v[5:6]
	global_store_dwordx4 v[14:15], v[0:3], off
.LBB81_23:
	s_endpgm
	.section	.rodata,"a",@progbits
	.p2align	6, 0x0
	.amdhsa_kernel _ZN9rocsparseL19gebsrmvn_2xn_kernelILj128ELj3ELj4EdEEvi20rocsparse_direction_NS_24const_host_device_scalarIT2_EEPKiS6_PKS3_S8_S4_PS3_21rocsparse_index_base_b
		.amdhsa_group_segment_fixed_size 0
		.amdhsa_private_segment_fixed_size 0
		.amdhsa_kernarg_size 72
		.amdhsa_user_sgpr_count 6
		.amdhsa_user_sgpr_private_segment_buffer 1
		.amdhsa_user_sgpr_dispatch_ptr 0
		.amdhsa_user_sgpr_queue_ptr 0
		.amdhsa_user_sgpr_kernarg_segment_ptr 1
		.amdhsa_user_sgpr_dispatch_id 0
		.amdhsa_user_sgpr_flat_scratch_init 0
		.amdhsa_user_sgpr_private_segment_size 0
		.amdhsa_uses_dynamic_stack 0
		.amdhsa_system_sgpr_private_segment_wavefront_offset 0
		.amdhsa_system_sgpr_workgroup_id_x 1
		.amdhsa_system_sgpr_workgroup_id_y 0
		.amdhsa_system_sgpr_workgroup_id_z 0
		.amdhsa_system_sgpr_workgroup_info 0
		.amdhsa_system_vgpr_workitem_id 0
		.amdhsa_next_free_vgpr 37
		.amdhsa_next_free_sgpr 16
		.amdhsa_reserve_vcc 1
		.amdhsa_reserve_flat_scratch 0
		.amdhsa_float_round_mode_32 0
		.amdhsa_float_round_mode_16_64 0
		.amdhsa_float_denorm_mode_32 3
		.amdhsa_float_denorm_mode_16_64 3
		.amdhsa_dx10_clamp 1
		.amdhsa_ieee_mode 1
		.amdhsa_fp16_overflow 0
		.amdhsa_exception_fp_ieee_invalid_op 0
		.amdhsa_exception_fp_denorm_src 0
		.amdhsa_exception_fp_ieee_div_zero 0
		.amdhsa_exception_fp_ieee_overflow 0
		.amdhsa_exception_fp_ieee_underflow 0
		.amdhsa_exception_fp_ieee_inexact 0
		.amdhsa_exception_int_div_zero 0
	.end_amdhsa_kernel
	.section	.text._ZN9rocsparseL19gebsrmvn_2xn_kernelILj128ELj3ELj4EdEEvi20rocsparse_direction_NS_24const_host_device_scalarIT2_EEPKiS6_PKS3_S8_S4_PS3_21rocsparse_index_base_b,"axG",@progbits,_ZN9rocsparseL19gebsrmvn_2xn_kernelILj128ELj3ELj4EdEEvi20rocsparse_direction_NS_24const_host_device_scalarIT2_EEPKiS6_PKS3_S8_S4_PS3_21rocsparse_index_base_b,comdat
.Lfunc_end81:
	.size	_ZN9rocsparseL19gebsrmvn_2xn_kernelILj128ELj3ELj4EdEEvi20rocsparse_direction_NS_24const_host_device_scalarIT2_EEPKiS6_PKS3_S8_S4_PS3_21rocsparse_index_base_b, .Lfunc_end81-_ZN9rocsparseL19gebsrmvn_2xn_kernelILj128ELj3ELj4EdEEvi20rocsparse_direction_NS_24const_host_device_scalarIT2_EEPKiS6_PKS3_S8_S4_PS3_21rocsparse_index_base_b
                                        ; -- End function
	.set _ZN9rocsparseL19gebsrmvn_2xn_kernelILj128ELj3ELj4EdEEvi20rocsparse_direction_NS_24const_host_device_scalarIT2_EEPKiS6_PKS3_S8_S4_PS3_21rocsparse_index_base_b.num_vgpr, 37
	.set _ZN9rocsparseL19gebsrmvn_2xn_kernelILj128ELj3ELj4EdEEvi20rocsparse_direction_NS_24const_host_device_scalarIT2_EEPKiS6_PKS3_S8_S4_PS3_21rocsparse_index_base_b.num_agpr, 0
	.set _ZN9rocsparseL19gebsrmvn_2xn_kernelILj128ELj3ELj4EdEEvi20rocsparse_direction_NS_24const_host_device_scalarIT2_EEPKiS6_PKS3_S8_S4_PS3_21rocsparse_index_base_b.numbered_sgpr, 16
	.set _ZN9rocsparseL19gebsrmvn_2xn_kernelILj128ELj3ELj4EdEEvi20rocsparse_direction_NS_24const_host_device_scalarIT2_EEPKiS6_PKS3_S8_S4_PS3_21rocsparse_index_base_b.num_named_barrier, 0
	.set _ZN9rocsparseL19gebsrmvn_2xn_kernelILj128ELj3ELj4EdEEvi20rocsparse_direction_NS_24const_host_device_scalarIT2_EEPKiS6_PKS3_S8_S4_PS3_21rocsparse_index_base_b.private_seg_size, 0
	.set _ZN9rocsparseL19gebsrmvn_2xn_kernelILj128ELj3ELj4EdEEvi20rocsparse_direction_NS_24const_host_device_scalarIT2_EEPKiS6_PKS3_S8_S4_PS3_21rocsparse_index_base_b.uses_vcc, 1
	.set _ZN9rocsparseL19gebsrmvn_2xn_kernelILj128ELj3ELj4EdEEvi20rocsparse_direction_NS_24const_host_device_scalarIT2_EEPKiS6_PKS3_S8_S4_PS3_21rocsparse_index_base_b.uses_flat_scratch, 0
	.set _ZN9rocsparseL19gebsrmvn_2xn_kernelILj128ELj3ELj4EdEEvi20rocsparse_direction_NS_24const_host_device_scalarIT2_EEPKiS6_PKS3_S8_S4_PS3_21rocsparse_index_base_b.has_dyn_sized_stack, 0
	.set _ZN9rocsparseL19gebsrmvn_2xn_kernelILj128ELj3ELj4EdEEvi20rocsparse_direction_NS_24const_host_device_scalarIT2_EEPKiS6_PKS3_S8_S4_PS3_21rocsparse_index_base_b.has_recursion, 0
	.set _ZN9rocsparseL19gebsrmvn_2xn_kernelILj128ELj3ELj4EdEEvi20rocsparse_direction_NS_24const_host_device_scalarIT2_EEPKiS6_PKS3_S8_S4_PS3_21rocsparse_index_base_b.has_indirect_call, 0
	.section	.AMDGPU.csdata,"",@progbits
; Kernel info:
; codeLenInByte = 1368
; TotalNumSgprs: 20
; NumVgprs: 37
; ScratchSize: 0
; MemoryBound: 0
; FloatMode: 240
; IeeeMode: 1
; LDSByteSize: 0 bytes/workgroup (compile time only)
; SGPRBlocks: 2
; VGPRBlocks: 9
; NumSGPRsForWavesPerEU: 20
; NumVGPRsForWavesPerEU: 37
; Occupancy: 6
; WaveLimiterHint : 1
; COMPUTE_PGM_RSRC2:SCRATCH_EN: 0
; COMPUTE_PGM_RSRC2:USER_SGPR: 6
; COMPUTE_PGM_RSRC2:TRAP_HANDLER: 0
; COMPUTE_PGM_RSRC2:TGID_X_EN: 1
; COMPUTE_PGM_RSRC2:TGID_Y_EN: 0
; COMPUTE_PGM_RSRC2:TGID_Z_EN: 0
; COMPUTE_PGM_RSRC2:TIDIG_COMP_CNT: 0
	.section	.text._ZN9rocsparseL19gebsrmvn_2xn_kernelILj128ELj3ELj8EdEEvi20rocsparse_direction_NS_24const_host_device_scalarIT2_EEPKiS6_PKS3_S8_S4_PS3_21rocsparse_index_base_b,"axG",@progbits,_ZN9rocsparseL19gebsrmvn_2xn_kernelILj128ELj3ELj8EdEEvi20rocsparse_direction_NS_24const_host_device_scalarIT2_EEPKiS6_PKS3_S8_S4_PS3_21rocsparse_index_base_b,comdat
	.globl	_ZN9rocsparseL19gebsrmvn_2xn_kernelILj128ELj3ELj8EdEEvi20rocsparse_direction_NS_24const_host_device_scalarIT2_EEPKiS6_PKS3_S8_S4_PS3_21rocsparse_index_base_b ; -- Begin function _ZN9rocsparseL19gebsrmvn_2xn_kernelILj128ELj3ELj8EdEEvi20rocsparse_direction_NS_24const_host_device_scalarIT2_EEPKiS6_PKS3_S8_S4_PS3_21rocsparse_index_base_b
	.p2align	8
	.type	_ZN9rocsparseL19gebsrmvn_2xn_kernelILj128ELj3ELj8EdEEvi20rocsparse_direction_NS_24const_host_device_scalarIT2_EEPKiS6_PKS3_S8_S4_PS3_21rocsparse_index_base_b,@function
_ZN9rocsparseL19gebsrmvn_2xn_kernelILj128ELj3ELj8EdEEvi20rocsparse_direction_NS_24const_host_device_scalarIT2_EEPKiS6_PKS3_S8_S4_PS3_21rocsparse_index_base_b: ; @_ZN9rocsparseL19gebsrmvn_2xn_kernelILj128ELj3ELj8EdEEvi20rocsparse_direction_NS_24const_host_device_scalarIT2_EEPKiS6_PKS3_S8_S4_PS3_21rocsparse_index_base_b
; %bb.0:
	s_load_dwordx2 s[2:3], s[4:5], 0x40
	s_load_dwordx2 s[10:11], s[4:5], 0x8
	;; [unrolled: 1-line block ×3, first 2 shown]
	s_waitcnt lgkmcnt(0)
	s_bitcmp1_b32 s3, 0
	s_cselect_b64 s[12:13], -1, 0
	v_mov_b32_e32 v1, s10
	s_xor_b64 s[8:9], s[12:13], -1
	s_and_b64 vcc, exec, s[12:13]
	v_mov_b32_e32 v2, s11
	s_cbranch_vccnz .LBB82_2
; %bb.1:
	v_mov_b32_e32 v1, s10
	v_mov_b32_e32 v2, s11
	flat_load_dwordx2 v[1:2], v[1:2]
.LBB82_2:
	v_mov_b32_e32 v4, s1
	s_andn2_b64 vcc, exec, s[8:9]
	v_mov_b32_e32 v3, s0
	s_cbranch_vccnz .LBB82_4
; %bb.3:
	v_mov_b32_e32 v4, s1
	v_mov_b32_e32 v3, s0
	flat_load_dwordx2 v[3:4], v[3:4]
.LBB82_4:
	s_waitcnt vmcnt(0) lgkmcnt(0)
	v_cmp_neq_f64_e32 vcc, 0, v[1:2]
	v_cmp_neq_f64_e64 s[0:1], 1.0, v[3:4]
	s_or_b64 s[0:1], vcc, s[0:1]
	s_and_saveexec_b64 s[8:9], s[0:1]
	s_cbranch_execz .LBB82_23
; %bb.5:
	s_load_dwordx2 s[0:1], s[4:5], 0x0
	v_lshrrev_b32_e32 v5, 3, v0
	v_lshl_or_b32 v5, s6, 4, v5
	s_waitcnt lgkmcnt(0)
	v_cmp_gt_i32_e32 vcc, s0, v5
	s_and_b64 exec, exec, vcc
	s_cbranch_execz .LBB82_23
; %bb.6:
	s_load_dwordx8 s[8:15], s[4:5], 0x10
	v_ashrrev_i32_e32 v6, 31, v5
	v_lshlrev_b64 v[6:7], 2, v[5:6]
	v_and_b32_e32 v0, 7, v0
	s_cmp_lg_u32 s1, 0
	s_waitcnt lgkmcnt(0)
	v_mov_b32_e32 v8, s9
	v_add_co_u32_e32 v6, vcc, s8, v6
	v_addc_co_u32_e32 v7, vcc, v8, v7, vcc
	global_load_dwordx2 v[6:7], v[6:7], off
	s_waitcnt vmcnt(0)
	v_subrev_u32_e32 v6, s2, v6
	v_subrev_u32_e32 v16, s2, v7
	v_add_u32_e32 v6, v6, v0
	v_cmp_lt_i32_e64 s[0:1], v6, v16
	s_cbranch_scc0 .LBB82_12
; %bb.7:
	v_mov_b32_e32 v8, 0
	v_mov_b32_e32 v10, 0
	;; [unrolled: 1-line block ×4, first 2 shown]
	s_and_saveexec_b64 s[6:7], s[0:1]
	s_cbranch_execz .LBB82_11
; %bb.8:
	v_mul_lo_u32 v12, v6, 6
	v_mov_b32_e32 v8, 0
	v_mov_b32_e32 v10, 0
	;; [unrolled: 1-line block ×3, first 2 shown]
	s_mov_b64 s[8:9], 0
	v_mov_b32_e32 v7, s11
	v_mov_b32_e32 v13, 0
	;; [unrolled: 1-line block ×6, first 2 shown]
.LBB82_9:                               ; =>This Inner Loop Header: Depth=1
	v_lshlrev_b64 v[19:20], 3, v[12:13]
	v_ashrrev_i32_e32 v15, 31, v14
	v_lshlrev_b64 v[29:30], 2, v[14:15]
	v_add_co_u32_e32 v31, vcc, s12, v19
	v_addc_co_u32_e32 v32, vcc, v17, v20, vcc
	v_add_co_u32_e32 v19, vcc, s10, v29
	v_addc_co_u32_e32 v20, vcc, v7, v30, vcc
	global_load_dword v15, v[19:20], off
	v_add_u32_e32 v21, 2, v12
	v_mov_b32_e32 v22, v13
	v_lshlrev_b64 v[21:22], 3, v[21:22]
	v_add_u32_e32 v26, 4, v12
	v_mov_b32_e32 v27, v13
	v_lshlrev_b64 v[26:27], 3, v[26:27]
	v_add_co_u32_e32 v29, vcc, s12, v21
	v_mov_b32_e32 v24, v13
	v_addc_co_u32_e32 v30, vcc, v17, v22, vcc
	v_add_co_u32_e32 v26, vcc, s12, v26
	v_addc_co_u32_e32 v27, vcc, v17, v27, vcc
	v_mov_b32_e32 v25, v13
	v_mov_b32_e32 v28, v13
	v_add_u32_e32 v14, 8, v14
	v_add_u32_e32 v12, 48, v12
	s_waitcnt vmcnt(0)
	v_subrev_u32_e32 v15, s2, v15
	v_lshl_add_u32 v23, v15, 1, v15
	v_lshlrev_b64 v[19:20], 3, v[23:24]
	v_add_u32_e32 v24, 1, v23
	v_add_co_u32_e32 v33, vcc, s14, v19
	v_addc_co_u32_e32 v34, vcc, v18, v20, vcc
	global_load_dwordx4 v[19:22], v[31:32], off
	global_load_dwordx2 v[35:36], v[33:34], off
	v_lshlrev_b64 v[24:25], 3, v[24:25]
	v_add_co_u32_e32 v24, vcc, s14, v24
	v_addc_co_u32_e32 v25, vcc, v18, v25, vcc
	s_waitcnt vmcnt(0)
	v_fma_f64 v[31:32], v[19:20], v[35:36], v[8:9]
	v_fma_f64 v[33:34], v[21:22], v[35:36], v[10:11]
	global_load_dwordx4 v[8:11], v[29:30], off
	global_load_dwordx4 v[19:22], v[26:27], off
	v_add_u32_e32 v27, 2, v23
	global_load_dwordx2 v[24:25], v[24:25], off
	v_lshlrev_b64 v[26:27], 3, v[27:28]
	v_add_co_u32_e32 v26, vcc, s14, v26
	v_addc_co_u32_e32 v27, vcc, v18, v27, vcc
	global_load_dwordx2 v[26:27], v[26:27], off
	v_cmp_ge_i32_e32 vcc, v14, v16
	s_or_b64 s[8:9], vcc, s[8:9]
	s_waitcnt vmcnt(1)
	v_fma_f64 v[8:9], v[8:9], v[24:25], v[31:32]
	v_fma_f64 v[10:11], v[10:11], v[24:25], v[33:34]
	s_waitcnt vmcnt(0)
	v_fma_f64 v[8:9], v[19:20], v[26:27], v[8:9]
	v_fma_f64 v[10:11], v[21:22], v[26:27], v[10:11]
	s_andn2_b64 exec, exec, s[8:9]
	s_cbranch_execnz .LBB82_9
; %bb.10:
	s_or_b64 exec, exec, s[8:9]
.LBB82_11:
	s_or_b64 exec, exec, s[6:7]
	s_cbranch_execz .LBB82_13
	s_branch .LBB82_18
.LBB82_12:
                                        ; implicit-def: $vgpr8_vgpr9
                                        ; implicit-def: $vgpr10_vgpr11
.LBB82_13:
	v_mov_b32_e32 v8, 0
	v_mov_b32_e32 v10, 0
	;; [unrolled: 1-line block ×4, first 2 shown]
	s_and_saveexec_b64 s[6:7], s[0:1]
	s_cbranch_execz .LBB82_17
; %bb.14:
	v_mad_u64_u32 v[12:13], s[0:1], v6, 6, 5
	v_mov_b32_e32 v8, 0
	v_mov_b32_e32 v10, 0
	;; [unrolled: 1-line block ×3, first 2 shown]
	s_mov_b64 s[0:1], 0
	v_mov_b32_e32 v17, s11
	v_mov_b32_e32 v15, 0
	;; [unrolled: 1-line block ×5, first 2 shown]
.LBB82_15:                              ; =>This Inner Loop Header: Depth=1
	v_ashrrev_i32_e32 v7, 31, v6
	v_lshlrev_b64 v[22:23], 2, v[6:7]
	v_add_u32_e32 v14, -5, v12
	v_add_co_u32_e32 v22, vcc, s10, v22
	v_addc_co_u32_e32 v23, vcc, v17, v23, vcc
	global_load_dword v7, v[22:23], off
	v_lshlrev_b64 v[24:25], 3, v[14:15]
	v_add_u32_e32 v20, -2, v12
	v_mov_b32_e32 v21, v15
	v_lshlrev_b64 v[20:21], 3, v[20:21]
	v_add_co_u32_e32 v24, vcc, s12, v24
	v_mov_b32_e32 v13, v15
	v_addc_co_u32_e32 v25, vcc, v18, v25, vcc
	v_lshlrev_b64 v[13:14], 3, v[12:13]
	v_add_co_u32_e32 v20, vcc, s12, v20
	v_addc_co_u32_e32 v21, vcc, v18, v21, vcc
	v_add_co_u32_e32 v26, vcc, s12, v13
	v_addc_co_u32_e32 v27, vcc, v18, v14, vcc
	v_mov_b32_e32 v14, v15
	v_add_u32_e32 v6, 8, v6
	s_waitcnt vmcnt(0)
	v_subrev_u32_e32 v7, s2, v7
	v_lshl_add_u32 v13, v7, 1, v7
	v_lshlrev_b64 v[22:23], 3, v[13:14]
	v_add_u32_e32 v14, 1, v13
	v_add_co_u32_e32 v22, vcc, s14, v22
	v_addc_co_u32_e32 v23, vcc, v19, v23, vcc
	global_load_dwordx2 v[30:31], v[20:21], off
	global_load_dwordx2 v[32:33], v[22:23], off
	v_lshlrev_b64 v[28:29], 3, v[14:15]
	global_load_dwordx4 v[20:23], v[24:25], off
	v_add_co_u32_e32 v28, vcc, s14, v28
	v_addc_co_u32_e32 v29, vcc, v19, v29, vcc
	v_add_u32_e32 v14, -1, v12
	s_waitcnt vmcnt(1)
	v_fma_f64 v[10:11], v[30:31], v[32:33], v[10:11]
	s_waitcnt vmcnt(0)
	v_fma_f64 v[7:8], v[20:21], v[32:33], v[8:9]
	global_load_dwordx2 v[20:21], v[28:29], off
	s_waitcnt vmcnt(0)
	v_fma_f64 v[7:8], v[22:23], v[20:21], v[7:8]
	v_lshlrev_b64 v[22:23], 3, v[14:15]
	v_add_u32_e32 v14, -3, v12
	v_lshlrev_b64 v[24:25], 3, v[14:15]
	v_add_co_u32_e32 v22, vcc, s12, v22
	v_add_u32_e32 v14, 2, v13
	v_addc_co_u32_e32 v23, vcc, v18, v23, vcc
	v_add_co_u32_e32 v24, vcc, s12, v24
	v_lshlrev_b64 v[13:14], 3, v[14:15]
	v_addc_co_u32_e32 v25, vcc, v18, v25, vcc
	v_add_co_u32_e32 v13, vcc, s14, v13
	v_addc_co_u32_e32 v14, vcc, v19, v14, vcc
	global_load_dwordx2 v[28:29], v[22:23], off
	global_load_dwordx2 v[30:31], v[26:27], off
	;; [unrolled: 1-line block ×4, first 2 shown]
	v_cmp_ge_i32_e32 vcc, v6, v16
	s_or_b64 s[0:1], vcc, s[0:1]
	v_add_u32_e32 v12, 48, v12
	s_waitcnt vmcnt(3)
	v_fma_f64 v[10:11], v[28:29], v[20:21], v[10:11]
	s_waitcnt vmcnt(0)
	v_fma_f64 v[8:9], v[32:33], v[34:35], v[7:8]
	v_fma_f64 v[10:11], v[30:31], v[34:35], v[10:11]
	s_andn2_b64 exec, exec, s[0:1]
	s_cbranch_execnz .LBB82_15
; %bb.16:
	s_or_b64 exec, exec, s[0:1]
.LBB82_17:
	s_or_b64 exec, exec, s[6:7]
.LBB82_18:
	v_mov_b32_dpp v6, v8 row_shr:1 row_mask:0xf bank_mask:0xf
	v_mov_b32_dpp v7, v9 row_shr:1 row_mask:0xf bank_mask:0xf
	v_add_f64 v[6:7], v[8:9], v[6:7]
	v_mov_b32_dpp v8, v10 row_shr:1 row_mask:0xf bank_mask:0xf
	v_mov_b32_dpp v9, v11 row_shr:1 row_mask:0xf bank_mask:0xf
	v_add_f64 v[8:9], v[10:11], v[8:9]
	v_cmp_eq_u32_e32 vcc, 7, v0
	v_mov_b32_dpp v10, v6 row_shr:2 row_mask:0xf bank_mask:0xf
	v_mov_b32_dpp v11, v7 row_shr:2 row_mask:0xf bank_mask:0xf
	v_add_f64 v[6:7], v[6:7], v[10:11]
	v_mov_b32_dpp v12, v8 row_shr:2 row_mask:0xf bank_mask:0xf
	v_mov_b32_dpp v13, v9 row_shr:2 row_mask:0xf bank_mask:0xf
	v_add_f64 v[10:11], v[8:9], v[12:13]
	v_mov_b32_dpp v8, v6 row_shr:4 row_mask:0xf bank_mask:0xe
	v_mov_b32_dpp v9, v7 row_shr:4 row_mask:0xf bank_mask:0xe
	;; [unrolled: 1-line block ×4, first 2 shown]
	s_and_b64 exec, exec, vcc
	s_cbranch_execz .LBB82_23
; %bb.19:
	v_add_f64 v[8:9], v[6:7], v[8:9]
	v_add_f64 v[6:7], v[10:11], v[12:13]
	v_cmp_eq_f64_e32 vcc, 0, v[3:4]
	s_load_dwordx2 s[0:1], s[4:5], 0x38
	s_and_saveexec_b64 s[2:3], vcc
	s_xor_b64 s[2:3], exec, s[2:3]
	s_cbranch_execz .LBB82_21
; %bb.20:
	v_mul_f64 v[3:4], v[1:2], v[8:9]
	v_lshlrev_b32_e32 v0, 1, v5
	v_mul_f64 v[5:6], v[1:2], v[6:7]
	v_ashrrev_i32_e32 v1, 31, v0
	v_lshlrev_b64 v[0:1], 3, v[0:1]
	s_waitcnt lgkmcnt(0)
	v_mov_b32_e32 v2, s1
	v_add_co_u32_e32 v0, vcc, s0, v0
	v_addc_co_u32_e32 v1, vcc, v2, v1, vcc
	global_store_dwordx4 v[0:1], v[3:6], off
                                        ; implicit-def: $vgpr5
                                        ; implicit-def: $vgpr1_vgpr2
                                        ; implicit-def: $vgpr8_vgpr9
                                        ; implicit-def: $vgpr3_vgpr4
                                        ; implicit-def: $vgpr6_vgpr7
.LBB82_21:
	s_andn2_saveexec_b64 s[2:3], s[2:3]
	s_cbranch_execz .LBB82_23
; %bb.22:
	v_lshlrev_b32_e32 v10, 1, v5
	v_ashrrev_i32_e32 v11, 31, v10
	v_lshlrev_b64 v[10:11], 3, v[10:11]
	s_waitcnt lgkmcnt(0)
	v_mov_b32_e32 v0, s1
	v_add_co_u32_e32 v14, vcc, s0, v10
	v_addc_co_u32_e32 v15, vcc, v0, v11, vcc
	global_load_dwordx4 v[10:13], v[14:15], off
	v_mul_f64 v[8:9], v[1:2], v[8:9]
	v_mul_f64 v[5:6], v[1:2], v[6:7]
	s_waitcnt vmcnt(0)
	v_fma_f64 v[0:1], v[3:4], v[10:11], v[8:9]
	v_fma_f64 v[2:3], v[3:4], v[12:13], v[5:6]
	global_store_dwordx4 v[14:15], v[0:3], off
.LBB82_23:
	s_endpgm
	.section	.rodata,"a",@progbits
	.p2align	6, 0x0
	.amdhsa_kernel _ZN9rocsparseL19gebsrmvn_2xn_kernelILj128ELj3ELj8EdEEvi20rocsparse_direction_NS_24const_host_device_scalarIT2_EEPKiS6_PKS3_S8_S4_PS3_21rocsparse_index_base_b
		.amdhsa_group_segment_fixed_size 0
		.amdhsa_private_segment_fixed_size 0
		.amdhsa_kernarg_size 72
		.amdhsa_user_sgpr_count 6
		.amdhsa_user_sgpr_private_segment_buffer 1
		.amdhsa_user_sgpr_dispatch_ptr 0
		.amdhsa_user_sgpr_queue_ptr 0
		.amdhsa_user_sgpr_kernarg_segment_ptr 1
		.amdhsa_user_sgpr_dispatch_id 0
		.amdhsa_user_sgpr_flat_scratch_init 0
		.amdhsa_user_sgpr_private_segment_size 0
		.amdhsa_uses_dynamic_stack 0
		.amdhsa_system_sgpr_private_segment_wavefront_offset 0
		.amdhsa_system_sgpr_workgroup_id_x 1
		.amdhsa_system_sgpr_workgroup_id_y 0
		.amdhsa_system_sgpr_workgroup_id_z 0
		.amdhsa_system_sgpr_workgroup_info 0
		.amdhsa_system_vgpr_workitem_id 0
		.amdhsa_next_free_vgpr 37
		.amdhsa_next_free_sgpr 16
		.amdhsa_reserve_vcc 1
		.amdhsa_reserve_flat_scratch 0
		.amdhsa_float_round_mode_32 0
		.amdhsa_float_round_mode_16_64 0
		.amdhsa_float_denorm_mode_32 3
		.amdhsa_float_denorm_mode_16_64 3
		.amdhsa_dx10_clamp 1
		.amdhsa_ieee_mode 1
		.amdhsa_fp16_overflow 0
		.amdhsa_exception_fp_ieee_invalid_op 0
		.amdhsa_exception_fp_denorm_src 0
		.amdhsa_exception_fp_ieee_div_zero 0
		.amdhsa_exception_fp_ieee_overflow 0
		.amdhsa_exception_fp_ieee_underflow 0
		.amdhsa_exception_fp_ieee_inexact 0
		.amdhsa_exception_int_div_zero 0
	.end_amdhsa_kernel
	.section	.text._ZN9rocsparseL19gebsrmvn_2xn_kernelILj128ELj3ELj8EdEEvi20rocsparse_direction_NS_24const_host_device_scalarIT2_EEPKiS6_PKS3_S8_S4_PS3_21rocsparse_index_base_b,"axG",@progbits,_ZN9rocsparseL19gebsrmvn_2xn_kernelILj128ELj3ELj8EdEEvi20rocsparse_direction_NS_24const_host_device_scalarIT2_EEPKiS6_PKS3_S8_S4_PS3_21rocsparse_index_base_b,comdat
.Lfunc_end82:
	.size	_ZN9rocsparseL19gebsrmvn_2xn_kernelILj128ELj3ELj8EdEEvi20rocsparse_direction_NS_24const_host_device_scalarIT2_EEPKiS6_PKS3_S8_S4_PS3_21rocsparse_index_base_b, .Lfunc_end82-_ZN9rocsparseL19gebsrmvn_2xn_kernelILj128ELj3ELj8EdEEvi20rocsparse_direction_NS_24const_host_device_scalarIT2_EEPKiS6_PKS3_S8_S4_PS3_21rocsparse_index_base_b
                                        ; -- End function
	.set _ZN9rocsparseL19gebsrmvn_2xn_kernelILj128ELj3ELj8EdEEvi20rocsparse_direction_NS_24const_host_device_scalarIT2_EEPKiS6_PKS3_S8_S4_PS3_21rocsparse_index_base_b.num_vgpr, 37
	.set _ZN9rocsparseL19gebsrmvn_2xn_kernelILj128ELj3ELj8EdEEvi20rocsparse_direction_NS_24const_host_device_scalarIT2_EEPKiS6_PKS3_S8_S4_PS3_21rocsparse_index_base_b.num_agpr, 0
	.set _ZN9rocsparseL19gebsrmvn_2xn_kernelILj128ELj3ELj8EdEEvi20rocsparse_direction_NS_24const_host_device_scalarIT2_EEPKiS6_PKS3_S8_S4_PS3_21rocsparse_index_base_b.numbered_sgpr, 16
	.set _ZN9rocsparseL19gebsrmvn_2xn_kernelILj128ELj3ELj8EdEEvi20rocsparse_direction_NS_24const_host_device_scalarIT2_EEPKiS6_PKS3_S8_S4_PS3_21rocsparse_index_base_b.num_named_barrier, 0
	.set _ZN9rocsparseL19gebsrmvn_2xn_kernelILj128ELj3ELj8EdEEvi20rocsparse_direction_NS_24const_host_device_scalarIT2_EEPKiS6_PKS3_S8_S4_PS3_21rocsparse_index_base_b.private_seg_size, 0
	.set _ZN9rocsparseL19gebsrmvn_2xn_kernelILj128ELj3ELj8EdEEvi20rocsparse_direction_NS_24const_host_device_scalarIT2_EEPKiS6_PKS3_S8_S4_PS3_21rocsparse_index_base_b.uses_vcc, 1
	.set _ZN9rocsparseL19gebsrmvn_2xn_kernelILj128ELj3ELj8EdEEvi20rocsparse_direction_NS_24const_host_device_scalarIT2_EEPKiS6_PKS3_S8_S4_PS3_21rocsparse_index_base_b.uses_flat_scratch, 0
	.set _ZN9rocsparseL19gebsrmvn_2xn_kernelILj128ELj3ELj8EdEEvi20rocsparse_direction_NS_24const_host_device_scalarIT2_EEPKiS6_PKS3_S8_S4_PS3_21rocsparse_index_base_b.has_dyn_sized_stack, 0
	.set _ZN9rocsparseL19gebsrmvn_2xn_kernelILj128ELj3ELj8EdEEvi20rocsparse_direction_NS_24const_host_device_scalarIT2_EEPKiS6_PKS3_S8_S4_PS3_21rocsparse_index_base_b.has_recursion, 0
	.set _ZN9rocsparseL19gebsrmvn_2xn_kernelILj128ELj3ELj8EdEEvi20rocsparse_direction_NS_24const_host_device_scalarIT2_EEPKiS6_PKS3_S8_S4_PS3_21rocsparse_index_base_b.has_indirect_call, 0
	.section	.AMDGPU.csdata,"",@progbits
; Kernel info:
; codeLenInByte = 1416
; TotalNumSgprs: 20
; NumVgprs: 37
; ScratchSize: 0
; MemoryBound: 0
; FloatMode: 240
; IeeeMode: 1
; LDSByteSize: 0 bytes/workgroup (compile time only)
; SGPRBlocks: 2
; VGPRBlocks: 9
; NumSGPRsForWavesPerEU: 20
; NumVGPRsForWavesPerEU: 37
; Occupancy: 6
; WaveLimiterHint : 1
; COMPUTE_PGM_RSRC2:SCRATCH_EN: 0
; COMPUTE_PGM_RSRC2:USER_SGPR: 6
; COMPUTE_PGM_RSRC2:TRAP_HANDLER: 0
; COMPUTE_PGM_RSRC2:TGID_X_EN: 1
; COMPUTE_PGM_RSRC2:TGID_Y_EN: 0
; COMPUTE_PGM_RSRC2:TGID_Z_EN: 0
; COMPUTE_PGM_RSRC2:TIDIG_COMP_CNT: 0
	.section	.text._ZN9rocsparseL19gebsrmvn_2xn_kernelILj128ELj3ELj16EdEEvi20rocsparse_direction_NS_24const_host_device_scalarIT2_EEPKiS6_PKS3_S8_S4_PS3_21rocsparse_index_base_b,"axG",@progbits,_ZN9rocsparseL19gebsrmvn_2xn_kernelILj128ELj3ELj16EdEEvi20rocsparse_direction_NS_24const_host_device_scalarIT2_EEPKiS6_PKS3_S8_S4_PS3_21rocsparse_index_base_b,comdat
	.globl	_ZN9rocsparseL19gebsrmvn_2xn_kernelILj128ELj3ELj16EdEEvi20rocsparse_direction_NS_24const_host_device_scalarIT2_EEPKiS6_PKS3_S8_S4_PS3_21rocsparse_index_base_b ; -- Begin function _ZN9rocsparseL19gebsrmvn_2xn_kernelILj128ELj3ELj16EdEEvi20rocsparse_direction_NS_24const_host_device_scalarIT2_EEPKiS6_PKS3_S8_S4_PS3_21rocsparse_index_base_b
	.p2align	8
	.type	_ZN9rocsparseL19gebsrmvn_2xn_kernelILj128ELj3ELj16EdEEvi20rocsparse_direction_NS_24const_host_device_scalarIT2_EEPKiS6_PKS3_S8_S4_PS3_21rocsparse_index_base_b,@function
_ZN9rocsparseL19gebsrmvn_2xn_kernelILj128ELj3ELj16EdEEvi20rocsparse_direction_NS_24const_host_device_scalarIT2_EEPKiS6_PKS3_S8_S4_PS3_21rocsparse_index_base_b: ; @_ZN9rocsparseL19gebsrmvn_2xn_kernelILj128ELj3ELj16EdEEvi20rocsparse_direction_NS_24const_host_device_scalarIT2_EEPKiS6_PKS3_S8_S4_PS3_21rocsparse_index_base_b
; %bb.0:
	s_load_dwordx2 s[2:3], s[4:5], 0x40
	s_load_dwordx2 s[10:11], s[4:5], 0x8
	;; [unrolled: 1-line block ×3, first 2 shown]
	s_waitcnt lgkmcnt(0)
	s_bitcmp1_b32 s3, 0
	s_cselect_b64 s[12:13], -1, 0
	v_mov_b32_e32 v1, s10
	s_xor_b64 s[8:9], s[12:13], -1
	s_and_b64 vcc, exec, s[12:13]
	v_mov_b32_e32 v2, s11
	s_cbranch_vccnz .LBB83_2
; %bb.1:
	v_mov_b32_e32 v1, s10
	v_mov_b32_e32 v2, s11
	flat_load_dwordx2 v[1:2], v[1:2]
.LBB83_2:
	v_mov_b32_e32 v4, s1
	s_andn2_b64 vcc, exec, s[8:9]
	v_mov_b32_e32 v3, s0
	s_cbranch_vccnz .LBB83_4
; %bb.3:
	v_mov_b32_e32 v4, s1
	v_mov_b32_e32 v3, s0
	flat_load_dwordx2 v[3:4], v[3:4]
.LBB83_4:
	s_waitcnt vmcnt(0) lgkmcnt(0)
	v_cmp_neq_f64_e32 vcc, 0, v[1:2]
	v_cmp_neq_f64_e64 s[0:1], 1.0, v[3:4]
	s_or_b64 s[0:1], vcc, s[0:1]
	s_and_saveexec_b64 s[8:9], s[0:1]
	s_cbranch_execz .LBB83_23
; %bb.5:
	s_load_dwordx2 s[0:1], s[4:5], 0x0
	v_lshrrev_b32_e32 v5, 4, v0
	v_lshl_or_b32 v5, s6, 3, v5
	s_waitcnt lgkmcnt(0)
	v_cmp_gt_i32_e32 vcc, s0, v5
	s_and_b64 exec, exec, vcc
	s_cbranch_execz .LBB83_23
; %bb.6:
	s_load_dwordx8 s[8:15], s[4:5], 0x10
	v_ashrrev_i32_e32 v6, 31, v5
	v_lshlrev_b64 v[6:7], 2, v[5:6]
	v_and_b32_e32 v0, 15, v0
	s_cmp_lg_u32 s1, 0
	s_waitcnt lgkmcnt(0)
	v_mov_b32_e32 v8, s9
	v_add_co_u32_e32 v6, vcc, s8, v6
	v_addc_co_u32_e32 v7, vcc, v8, v7, vcc
	global_load_dwordx2 v[6:7], v[6:7], off
	s_waitcnt vmcnt(0)
	v_subrev_u32_e32 v6, s2, v6
	v_subrev_u32_e32 v16, s2, v7
	v_add_u32_e32 v6, v6, v0
	v_cmp_lt_i32_e64 s[0:1], v6, v16
	s_cbranch_scc0 .LBB83_12
; %bb.7:
	v_mov_b32_e32 v8, 0
	v_mov_b32_e32 v10, 0
	;; [unrolled: 1-line block ×4, first 2 shown]
	s_and_saveexec_b64 s[6:7], s[0:1]
	s_cbranch_execz .LBB83_11
; %bb.8:
	v_mul_lo_u32 v12, v6, 6
	v_mov_b32_e32 v8, 0
	v_mov_b32_e32 v10, 0
	;; [unrolled: 1-line block ×3, first 2 shown]
	s_mov_b64 s[8:9], 0
	v_mov_b32_e32 v7, s11
	v_mov_b32_e32 v13, 0
	;; [unrolled: 1-line block ×6, first 2 shown]
.LBB83_9:                               ; =>This Inner Loop Header: Depth=1
	v_lshlrev_b64 v[19:20], 3, v[12:13]
	v_ashrrev_i32_e32 v15, 31, v14
	v_lshlrev_b64 v[29:30], 2, v[14:15]
	v_add_co_u32_e32 v31, vcc, s12, v19
	v_addc_co_u32_e32 v32, vcc, v17, v20, vcc
	v_add_co_u32_e32 v19, vcc, s10, v29
	v_addc_co_u32_e32 v20, vcc, v7, v30, vcc
	global_load_dword v15, v[19:20], off
	v_add_u32_e32 v21, 2, v12
	v_mov_b32_e32 v22, v13
	v_lshlrev_b64 v[21:22], 3, v[21:22]
	v_add_u32_e32 v26, 4, v12
	v_mov_b32_e32 v27, v13
	v_lshlrev_b64 v[26:27], 3, v[26:27]
	v_add_co_u32_e32 v29, vcc, s12, v21
	v_mov_b32_e32 v24, v13
	v_addc_co_u32_e32 v30, vcc, v17, v22, vcc
	v_add_co_u32_e32 v26, vcc, s12, v26
	v_addc_co_u32_e32 v27, vcc, v17, v27, vcc
	v_mov_b32_e32 v25, v13
	v_mov_b32_e32 v28, v13
	v_add_u32_e32 v14, 16, v14
	v_add_u32_e32 v12, 0x60, v12
	s_waitcnt vmcnt(0)
	v_subrev_u32_e32 v15, s2, v15
	v_lshl_add_u32 v23, v15, 1, v15
	v_lshlrev_b64 v[19:20], 3, v[23:24]
	v_add_u32_e32 v24, 1, v23
	v_add_co_u32_e32 v33, vcc, s14, v19
	v_addc_co_u32_e32 v34, vcc, v18, v20, vcc
	global_load_dwordx4 v[19:22], v[31:32], off
	global_load_dwordx2 v[35:36], v[33:34], off
	v_lshlrev_b64 v[24:25], 3, v[24:25]
	v_add_co_u32_e32 v24, vcc, s14, v24
	v_addc_co_u32_e32 v25, vcc, v18, v25, vcc
	s_waitcnt vmcnt(0)
	v_fma_f64 v[31:32], v[19:20], v[35:36], v[8:9]
	v_fma_f64 v[33:34], v[21:22], v[35:36], v[10:11]
	global_load_dwordx4 v[8:11], v[29:30], off
	global_load_dwordx4 v[19:22], v[26:27], off
	v_add_u32_e32 v27, 2, v23
	global_load_dwordx2 v[24:25], v[24:25], off
	v_lshlrev_b64 v[26:27], 3, v[27:28]
	v_add_co_u32_e32 v26, vcc, s14, v26
	v_addc_co_u32_e32 v27, vcc, v18, v27, vcc
	global_load_dwordx2 v[26:27], v[26:27], off
	v_cmp_ge_i32_e32 vcc, v14, v16
	s_or_b64 s[8:9], vcc, s[8:9]
	s_waitcnt vmcnt(1)
	v_fma_f64 v[8:9], v[8:9], v[24:25], v[31:32]
	v_fma_f64 v[10:11], v[10:11], v[24:25], v[33:34]
	s_waitcnt vmcnt(0)
	v_fma_f64 v[8:9], v[19:20], v[26:27], v[8:9]
	v_fma_f64 v[10:11], v[21:22], v[26:27], v[10:11]
	s_andn2_b64 exec, exec, s[8:9]
	s_cbranch_execnz .LBB83_9
; %bb.10:
	s_or_b64 exec, exec, s[8:9]
.LBB83_11:
	s_or_b64 exec, exec, s[6:7]
	s_cbranch_execz .LBB83_13
	s_branch .LBB83_18
.LBB83_12:
                                        ; implicit-def: $vgpr8_vgpr9
                                        ; implicit-def: $vgpr10_vgpr11
.LBB83_13:
	v_mov_b32_e32 v8, 0
	v_mov_b32_e32 v10, 0
	;; [unrolled: 1-line block ×4, first 2 shown]
	s_and_saveexec_b64 s[6:7], s[0:1]
	s_cbranch_execz .LBB83_17
; %bb.14:
	v_mad_u64_u32 v[12:13], s[0:1], v6, 6, 5
	v_mov_b32_e32 v8, 0
	v_mov_b32_e32 v10, 0
	;; [unrolled: 1-line block ×3, first 2 shown]
	s_mov_b64 s[0:1], 0
	v_mov_b32_e32 v17, s11
	v_mov_b32_e32 v15, 0
	;; [unrolled: 1-line block ×5, first 2 shown]
.LBB83_15:                              ; =>This Inner Loop Header: Depth=1
	v_ashrrev_i32_e32 v7, 31, v6
	v_lshlrev_b64 v[22:23], 2, v[6:7]
	v_add_u32_e32 v14, -5, v12
	v_add_co_u32_e32 v22, vcc, s10, v22
	v_addc_co_u32_e32 v23, vcc, v17, v23, vcc
	global_load_dword v7, v[22:23], off
	v_lshlrev_b64 v[24:25], 3, v[14:15]
	v_add_u32_e32 v20, -2, v12
	v_mov_b32_e32 v21, v15
	v_lshlrev_b64 v[20:21], 3, v[20:21]
	v_add_co_u32_e32 v24, vcc, s12, v24
	v_mov_b32_e32 v13, v15
	v_addc_co_u32_e32 v25, vcc, v18, v25, vcc
	v_lshlrev_b64 v[13:14], 3, v[12:13]
	v_add_co_u32_e32 v20, vcc, s12, v20
	v_addc_co_u32_e32 v21, vcc, v18, v21, vcc
	v_add_co_u32_e32 v26, vcc, s12, v13
	v_addc_co_u32_e32 v27, vcc, v18, v14, vcc
	v_mov_b32_e32 v14, v15
	v_add_u32_e32 v6, 16, v6
	s_waitcnt vmcnt(0)
	v_subrev_u32_e32 v7, s2, v7
	v_lshl_add_u32 v13, v7, 1, v7
	v_lshlrev_b64 v[22:23], 3, v[13:14]
	v_add_u32_e32 v14, 1, v13
	v_add_co_u32_e32 v22, vcc, s14, v22
	v_addc_co_u32_e32 v23, vcc, v19, v23, vcc
	global_load_dwordx2 v[30:31], v[20:21], off
	global_load_dwordx2 v[32:33], v[22:23], off
	v_lshlrev_b64 v[28:29], 3, v[14:15]
	global_load_dwordx4 v[20:23], v[24:25], off
	v_add_co_u32_e32 v28, vcc, s14, v28
	v_addc_co_u32_e32 v29, vcc, v19, v29, vcc
	v_add_u32_e32 v14, -1, v12
	s_waitcnt vmcnt(1)
	v_fma_f64 v[10:11], v[30:31], v[32:33], v[10:11]
	s_waitcnt vmcnt(0)
	v_fma_f64 v[7:8], v[20:21], v[32:33], v[8:9]
	global_load_dwordx2 v[20:21], v[28:29], off
	s_waitcnt vmcnt(0)
	v_fma_f64 v[7:8], v[22:23], v[20:21], v[7:8]
	v_lshlrev_b64 v[22:23], 3, v[14:15]
	v_add_u32_e32 v14, -3, v12
	v_lshlrev_b64 v[24:25], 3, v[14:15]
	v_add_co_u32_e32 v22, vcc, s12, v22
	v_add_u32_e32 v14, 2, v13
	v_addc_co_u32_e32 v23, vcc, v18, v23, vcc
	v_add_co_u32_e32 v24, vcc, s12, v24
	v_lshlrev_b64 v[13:14], 3, v[14:15]
	v_addc_co_u32_e32 v25, vcc, v18, v25, vcc
	v_add_co_u32_e32 v13, vcc, s14, v13
	v_addc_co_u32_e32 v14, vcc, v19, v14, vcc
	global_load_dwordx2 v[28:29], v[22:23], off
	global_load_dwordx2 v[30:31], v[26:27], off
	;; [unrolled: 1-line block ×4, first 2 shown]
	v_cmp_ge_i32_e32 vcc, v6, v16
	s_or_b64 s[0:1], vcc, s[0:1]
	v_add_u32_e32 v12, 0x60, v12
	s_waitcnt vmcnt(3)
	v_fma_f64 v[10:11], v[28:29], v[20:21], v[10:11]
	s_waitcnt vmcnt(0)
	v_fma_f64 v[8:9], v[32:33], v[34:35], v[7:8]
	v_fma_f64 v[10:11], v[30:31], v[34:35], v[10:11]
	s_andn2_b64 exec, exec, s[0:1]
	s_cbranch_execnz .LBB83_15
; %bb.16:
	s_or_b64 exec, exec, s[0:1]
.LBB83_17:
	s_or_b64 exec, exec, s[6:7]
.LBB83_18:
	v_mov_b32_dpp v6, v8 row_shr:1 row_mask:0xf bank_mask:0xf
	v_mov_b32_dpp v7, v9 row_shr:1 row_mask:0xf bank_mask:0xf
	v_add_f64 v[6:7], v[8:9], v[6:7]
	v_mov_b32_dpp v8, v10 row_shr:1 row_mask:0xf bank_mask:0xf
	v_mov_b32_dpp v9, v11 row_shr:1 row_mask:0xf bank_mask:0xf
	v_add_f64 v[8:9], v[10:11], v[8:9]
	v_cmp_eq_u32_e32 vcc, 15, v0
	v_mov_b32_dpp v10, v6 row_shr:2 row_mask:0xf bank_mask:0xf
	v_mov_b32_dpp v11, v7 row_shr:2 row_mask:0xf bank_mask:0xf
	v_add_f64 v[6:7], v[6:7], v[10:11]
	v_mov_b32_dpp v12, v8 row_shr:2 row_mask:0xf bank_mask:0xf
	v_mov_b32_dpp v13, v9 row_shr:2 row_mask:0xf bank_mask:0xf
	v_add_f64 v[8:9], v[8:9], v[12:13]
	;; [unrolled: 3-line block ×4, first 2 shown]
	v_mov_b32_dpp v8, v6 row_shr:8 row_mask:0xf bank_mask:0xc
	v_mov_b32_dpp v9, v7 row_shr:8 row_mask:0xf bank_mask:0xc
	;; [unrolled: 1-line block ×4, first 2 shown]
	s_and_b64 exec, exec, vcc
	s_cbranch_execz .LBB83_23
; %bb.19:
	v_add_f64 v[8:9], v[6:7], v[8:9]
	v_add_f64 v[6:7], v[10:11], v[12:13]
	v_cmp_eq_f64_e32 vcc, 0, v[3:4]
	s_load_dwordx2 s[0:1], s[4:5], 0x38
	s_and_saveexec_b64 s[2:3], vcc
	s_xor_b64 s[2:3], exec, s[2:3]
	s_cbranch_execz .LBB83_21
; %bb.20:
	v_mul_f64 v[3:4], v[1:2], v[8:9]
	v_lshlrev_b32_e32 v0, 1, v5
	v_mul_f64 v[5:6], v[1:2], v[6:7]
	v_ashrrev_i32_e32 v1, 31, v0
	v_lshlrev_b64 v[0:1], 3, v[0:1]
	s_waitcnt lgkmcnt(0)
	v_mov_b32_e32 v2, s1
	v_add_co_u32_e32 v0, vcc, s0, v0
	v_addc_co_u32_e32 v1, vcc, v2, v1, vcc
	global_store_dwordx4 v[0:1], v[3:6], off
                                        ; implicit-def: $vgpr5
                                        ; implicit-def: $vgpr1_vgpr2
                                        ; implicit-def: $vgpr8_vgpr9
                                        ; implicit-def: $vgpr3_vgpr4
                                        ; implicit-def: $vgpr6_vgpr7
.LBB83_21:
	s_andn2_saveexec_b64 s[2:3], s[2:3]
	s_cbranch_execz .LBB83_23
; %bb.22:
	v_lshlrev_b32_e32 v10, 1, v5
	v_ashrrev_i32_e32 v11, 31, v10
	v_lshlrev_b64 v[10:11], 3, v[10:11]
	s_waitcnt lgkmcnt(0)
	v_mov_b32_e32 v0, s1
	v_add_co_u32_e32 v14, vcc, s0, v10
	v_addc_co_u32_e32 v15, vcc, v0, v11, vcc
	global_load_dwordx4 v[10:13], v[14:15], off
	v_mul_f64 v[8:9], v[1:2], v[8:9]
	v_mul_f64 v[5:6], v[1:2], v[6:7]
	s_waitcnt vmcnt(0)
	v_fma_f64 v[0:1], v[3:4], v[10:11], v[8:9]
	v_fma_f64 v[2:3], v[3:4], v[12:13], v[5:6]
	global_store_dwordx4 v[14:15], v[0:3], off
.LBB83_23:
	s_endpgm
	.section	.rodata,"a",@progbits
	.p2align	6, 0x0
	.amdhsa_kernel _ZN9rocsparseL19gebsrmvn_2xn_kernelILj128ELj3ELj16EdEEvi20rocsparse_direction_NS_24const_host_device_scalarIT2_EEPKiS6_PKS3_S8_S4_PS3_21rocsparse_index_base_b
		.amdhsa_group_segment_fixed_size 0
		.amdhsa_private_segment_fixed_size 0
		.amdhsa_kernarg_size 72
		.amdhsa_user_sgpr_count 6
		.amdhsa_user_sgpr_private_segment_buffer 1
		.amdhsa_user_sgpr_dispatch_ptr 0
		.amdhsa_user_sgpr_queue_ptr 0
		.amdhsa_user_sgpr_kernarg_segment_ptr 1
		.amdhsa_user_sgpr_dispatch_id 0
		.amdhsa_user_sgpr_flat_scratch_init 0
		.amdhsa_user_sgpr_private_segment_size 0
		.amdhsa_uses_dynamic_stack 0
		.amdhsa_system_sgpr_private_segment_wavefront_offset 0
		.amdhsa_system_sgpr_workgroup_id_x 1
		.amdhsa_system_sgpr_workgroup_id_y 0
		.amdhsa_system_sgpr_workgroup_id_z 0
		.amdhsa_system_sgpr_workgroup_info 0
		.amdhsa_system_vgpr_workitem_id 0
		.amdhsa_next_free_vgpr 37
		.amdhsa_next_free_sgpr 16
		.amdhsa_reserve_vcc 1
		.amdhsa_reserve_flat_scratch 0
		.amdhsa_float_round_mode_32 0
		.amdhsa_float_round_mode_16_64 0
		.amdhsa_float_denorm_mode_32 3
		.amdhsa_float_denorm_mode_16_64 3
		.amdhsa_dx10_clamp 1
		.amdhsa_ieee_mode 1
		.amdhsa_fp16_overflow 0
		.amdhsa_exception_fp_ieee_invalid_op 0
		.amdhsa_exception_fp_denorm_src 0
		.amdhsa_exception_fp_ieee_div_zero 0
		.amdhsa_exception_fp_ieee_overflow 0
		.amdhsa_exception_fp_ieee_underflow 0
		.amdhsa_exception_fp_ieee_inexact 0
		.amdhsa_exception_int_div_zero 0
	.end_amdhsa_kernel
	.section	.text._ZN9rocsparseL19gebsrmvn_2xn_kernelILj128ELj3ELj16EdEEvi20rocsparse_direction_NS_24const_host_device_scalarIT2_EEPKiS6_PKS3_S8_S4_PS3_21rocsparse_index_base_b,"axG",@progbits,_ZN9rocsparseL19gebsrmvn_2xn_kernelILj128ELj3ELj16EdEEvi20rocsparse_direction_NS_24const_host_device_scalarIT2_EEPKiS6_PKS3_S8_S4_PS3_21rocsparse_index_base_b,comdat
.Lfunc_end83:
	.size	_ZN9rocsparseL19gebsrmvn_2xn_kernelILj128ELj3ELj16EdEEvi20rocsparse_direction_NS_24const_host_device_scalarIT2_EEPKiS6_PKS3_S8_S4_PS3_21rocsparse_index_base_b, .Lfunc_end83-_ZN9rocsparseL19gebsrmvn_2xn_kernelILj128ELj3ELj16EdEEvi20rocsparse_direction_NS_24const_host_device_scalarIT2_EEPKiS6_PKS3_S8_S4_PS3_21rocsparse_index_base_b
                                        ; -- End function
	.set _ZN9rocsparseL19gebsrmvn_2xn_kernelILj128ELj3ELj16EdEEvi20rocsparse_direction_NS_24const_host_device_scalarIT2_EEPKiS6_PKS3_S8_S4_PS3_21rocsparse_index_base_b.num_vgpr, 37
	.set _ZN9rocsparseL19gebsrmvn_2xn_kernelILj128ELj3ELj16EdEEvi20rocsparse_direction_NS_24const_host_device_scalarIT2_EEPKiS6_PKS3_S8_S4_PS3_21rocsparse_index_base_b.num_agpr, 0
	.set _ZN9rocsparseL19gebsrmvn_2xn_kernelILj128ELj3ELj16EdEEvi20rocsparse_direction_NS_24const_host_device_scalarIT2_EEPKiS6_PKS3_S8_S4_PS3_21rocsparse_index_base_b.numbered_sgpr, 16
	.set _ZN9rocsparseL19gebsrmvn_2xn_kernelILj128ELj3ELj16EdEEvi20rocsparse_direction_NS_24const_host_device_scalarIT2_EEPKiS6_PKS3_S8_S4_PS3_21rocsparse_index_base_b.num_named_barrier, 0
	.set _ZN9rocsparseL19gebsrmvn_2xn_kernelILj128ELj3ELj16EdEEvi20rocsparse_direction_NS_24const_host_device_scalarIT2_EEPKiS6_PKS3_S8_S4_PS3_21rocsparse_index_base_b.private_seg_size, 0
	.set _ZN9rocsparseL19gebsrmvn_2xn_kernelILj128ELj3ELj16EdEEvi20rocsparse_direction_NS_24const_host_device_scalarIT2_EEPKiS6_PKS3_S8_S4_PS3_21rocsparse_index_base_b.uses_vcc, 1
	.set _ZN9rocsparseL19gebsrmvn_2xn_kernelILj128ELj3ELj16EdEEvi20rocsparse_direction_NS_24const_host_device_scalarIT2_EEPKiS6_PKS3_S8_S4_PS3_21rocsparse_index_base_b.uses_flat_scratch, 0
	.set _ZN9rocsparseL19gebsrmvn_2xn_kernelILj128ELj3ELj16EdEEvi20rocsparse_direction_NS_24const_host_device_scalarIT2_EEPKiS6_PKS3_S8_S4_PS3_21rocsparse_index_base_b.has_dyn_sized_stack, 0
	.set _ZN9rocsparseL19gebsrmvn_2xn_kernelILj128ELj3ELj16EdEEvi20rocsparse_direction_NS_24const_host_device_scalarIT2_EEPKiS6_PKS3_S8_S4_PS3_21rocsparse_index_base_b.has_recursion, 0
	.set _ZN9rocsparseL19gebsrmvn_2xn_kernelILj128ELj3ELj16EdEEvi20rocsparse_direction_NS_24const_host_device_scalarIT2_EEPKiS6_PKS3_S8_S4_PS3_21rocsparse_index_base_b.has_indirect_call, 0
	.section	.AMDGPU.csdata,"",@progbits
; Kernel info:
; codeLenInByte = 1472
; TotalNumSgprs: 20
; NumVgprs: 37
; ScratchSize: 0
; MemoryBound: 0
; FloatMode: 240
; IeeeMode: 1
; LDSByteSize: 0 bytes/workgroup (compile time only)
; SGPRBlocks: 2
; VGPRBlocks: 9
; NumSGPRsForWavesPerEU: 20
; NumVGPRsForWavesPerEU: 37
; Occupancy: 6
; WaveLimiterHint : 1
; COMPUTE_PGM_RSRC2:SCRATCH_EN: 0
; COMPUTE_PGM_RSRC2:USER_SGPR: 6
; COMPUTE_PGM_RSRC2:TRAP_HANDLER: 0
; COMPUTE_PGM_RSRC2:TGID_X_EN: 1
; COMPUTE_PGM_RSRC2:TGID_Y_EN: 0
; COMPUTE_PGM_RSRC2:TGID_Z_EN: 0
; COMPUTE_PGM_RSRC2:TIDIG_COMP_CNT: 0
	.section	.text._ZN9rocsparseL19gebsrmvn_2xn_kernelILj128ELj3ELj32EdEEvi20rocsparse_direction_NS_24const_host_device_scalarIT2_EEPKiS6_PKS3_S8_S4_PS3_21rocsparse_index_base_b,"axG",@progbits,_ZN9rocsparseL19gebsrmvn_2xn_kernelILj128ELj3ELj32EdEEvi20rocsparse_direction_NS_24const_host_device_scalarIT2_EEPKiS6_PKS3_S8_S4_PS3_21rocsparse_index_base_b,comdat
	.globl	_ZN9rocsparseL19gebsrmvn_2xn_kernelILj128ELj3ELj32EdEEvi20rocsparse_direction_NS_24const_host_device_scalarIT2_EEPKiS6_PKS3_S8_S4_PS3_21rocsparse_index_base_b ; -- Begin function _ZN9rocsparseL19gebsrmvn_2xn_kernelILj128ELj3ELj32EdEEvi20rocsparse_direction_NS_24const_host_device_scalarIT2_EEPKiS6_PKS3_S8_S4_PS3_21rocsparse_index_base_b
	.p2align	8
	.type	_ZN9rocsparseL19gebsrmvn_2xn_kernelILj128ELj3ELj32EdEEvi20rocsparse_direction_NS_24const_host_device_scalarIT2_EEPKiS6_PKS3_S8_S4_PS3_21rocsparse_index_base_b,@function
_ZN9rocsparseL19gebsrmvn_2xn_kernelILj128ELj3ELj32EdEEvi20rocsparse_direction_NS_24const_host_device_scalarIT2_EEPKiS6_PKS3_S8_S4_PS3_21rocsparse_index_base_b: ; @_ZN9rocsparseL19gebsrmvn_2xn_kernelILj128ELj3ELj32EdEEvi20rocsparse_direction_NS_24const_host_device_scalarIT2_EEPKiS6_PKS3_S8_S4_PS3_21rocsparse_index_base_b
; %bb.0:
	s_load_dwordx2 s[2:3], s[4:5], 0x40
	s_load_dwordx2 s[10:11], s[4:5], 0x8
	;; [unrolled: 1-line block ×3, first 2 shown]
	s_waitcnt lgkmcnt(0)
	s_bitcmp1_b32 s3, 0
	s_cselect_b64 s[12:13], -1, 0
	v_mov_b32_e32 v1, s10
	s_xor_b64 s[8:9], s[12:13], -1
	s_and_b64 vcc, exec, s[12:13]
	v_mov_b32_e32 v2, s11
	s_cbranch_vccnz .LBB84_2
; %bb.1:
	v_mov_b32_e32 v1, s10
	v_mov_b32_e32 v2, s11
	flat_load_dwordx2 v[1:2], v[1:2]
.LBB84_2:
	v_mov_b32_e32 v4, s1
	s_andn2_b64 vcc, exec, s[8:9]
	v_mov_b32_e32 v3, s0
	s_cbranch_vccnz .LBB84_4
; %bb.3:
	v_mov_b32_e32 v4, s1
	v_mov_b32_e32 v3, s0
	flat_load_dwordx2 v[3:4], v[3:4]
.LBB84_4:
	s_waitcnt vmcnt(0) lgkmcnt(0)
	v_cmp_neq_f64_e32 vcc, 0, v[1:2]
	v_cmp_neq_f64_e64 s[0:1], 1.0, v[3:4]
	s_or_b64 s[0:1], vcc, s[0:1]
	s_and_saveexec_b64 s[8:9], s[0:1]
	s_cbranch_execz .LBB84_23
; %bb.5:
	s_load_dwordx2 s[0:1], s[4:5], 0x0
	v_lshrrev_b32_e32 v5, 5, v0
	v_lshl_or_b32 v5, s6, 2, v5
	s_waitcnt lgkmcnt(0)
	v_cmp_gt_i32_e32 vcc, s0, v5
	s_and_b64 exec, exec, vcc
	s_cbranch_execz .LBB84_23
; %bb.6:
	s_load_dwordx8 s[8:15], s[4:5], 0x10
	v_ashrrev_i32_e32 v6, 31, v5
	v_lshlrev_b64 v[6:7], 2, v[5:6]
	v_and_b32_e32 v0, 31, v0
	s_cmp_lg_u32 s1, 0
	s_waitcnt lgkmcnt(0)
	v_mov_b32_e32 v8, s9
	v_add_co_u32_e32 v6, vcc, s8, v6
	v_addc_co_u32_e32 v7, vcc, v8, v7, vcc
	global_load_dwordx2 v[6:7], v[6:7], off
	s_waitcnt vmcnt(0)
	v_subrev_u32_e32 v6, s2, v6
	v_subrev_u32_e32 v16, s2, v7
	v_add_u32_e32 v6, v6, v0
	v_cmp_lt_i32_e64 s[0:1], v6, v16
	s_cbranch_scc0 .LBB84_12
; %bb.7:
	v_mov_b32_e32 v8, 0
	v_mov_b32_e32 v10, 0
	;; [unrolled: 1-line block ×4, first 2 shown]
	s_and_saveexec_b64 s[6:7], s[0:1]
	s_cbranch_execz .LBB84_11
; %bb.8:
	v_mul_lo_u32 v12, v6, 6
	v_mov_b32_e32 v8, 0
	v_mov_b32_e32 v10, 0
	;; [unrolled: 1-line block ×3, first 2 shown]
	s_mov_b64 s[8:9], 0
	v_mov_b32_e32 v7, s11
	v_mov_b32_e32 v13, 0
	;; [unrolled: 1-line block ×6, first 2 shown]
.LBB84_9:                               ; =>This Inner Loop Header: Depth=1
	v_lshlrev_b64 v[19:20], 3, v[12:13]
	v_ashrrev_i32_e32 v15, 31, v14
	v_lshlrev_b64 v[29:30], 2, v[14:15]
	v_add_co_u32_e32 v31, vcc, s12, v19
	v_addc_co_u32_e32 v32, vcc, v17, v20, vcc
	v_add_co_u32_e32 v19, vcc, s10, v29
	v_addc_co_u32_e32 v20, vcc, v7, v30, vcc
	global_load_dword v15, v[19:20], off
	v_add_u32_e32 v21, 2, v12
	v_mov_b32_e32 v22, v13
	v_lshlrev_b64 v[21:22], 3, v[21:22]
	v_add_u32_e32 v26, 4, v12
	v_mov_b32_e32 v27, v13
	v_lshlrev_b64 v[26:27], 3, v[26:27]
	v_add_co_u32_e32 v29, vcc, s12, v21
	v_mov_b32_e32 v24, v13
	v_addc_co_u32_e32 v30, vcc, v17, v22, vcc
	v_add_co_u32_e32 v26, vcc, s12, v26
	v_addc_co_u32_e32 v27, vcc, v17, v27, vcc
	v_mov_b32_e32 v25, v13
	v_mov_b32_e32 v28, v13
	v_add_u32_e32 v14, 32, v14
	v_add_u32_e32 v12, 0xc0, v12
	s_waitcnt vmcnt(0)
	v_subrev_u32_e32 v15, s2, v15
	v_lshl_add_u32 v23, v15, 1, v15
	v_lshlrev_b64 v[19:20], 3, v[23:24]
	v_add_u32_e32 v24, 1, v23
	v_add_co_u32_e32 v33, vcc, s14, v19
	v_addc_co_u32_e32 v34, vcc, v18, v20, vcc
	global_load_dwordx4 v[19:22], v[31:32], off
	global_load_dwordx2 v[35:36], v[33:34], off
	v_lshlrev_b64 v[24:25], 3, v[24:25]
	v_add_co_u32_e32 v24, vcc, s14, v24
	v_addc_co_u32_e32 v25, vcc, v18, v25, vcc
	s_waitcnt vmcnt(0)
	v_fma_f64 v[31:32], v[19:20], v[35:36], v[8:9]
	v_fma_f64 v[33:34], v[21:22], v[35:36], v[10:11]
	global_load_dwordx4 v[8:11], v[29:30], off
	global_load_dwordx4 v[19:22], v[26:27], off
	v_add_u32_e32 v27, 2, v23
	global_load_dwordx2 v[24:25], v[24:25], off
	v_lshlrev_b64 v[26:27], 3, v[27:28]
	v_add_co_u32_e32 v26, vcc, s14, v26
	v_addc_co_u32_e32 v27, vcc, v18, v27, vcc
	global_load_dwordx2 v[26:27], v[26:27], off
	v_cmp_ge_i32_e32 vcc, v14, v16
	s_or_b64 s[8:9], vcc, s[8:9]
	s_waitcnt vmcnt(1)
	v_fma_f64 v[8:9], v[8:9], v[24:25], v[31:32]
	v_fma_f64 v[10:11], v[10:11], v[24:25], v[33:34]
	s_waitcnt vmcnt(0)
	v_fma_f64 v[8:9], v[19:20], v[26:27], v[8:9]
	v_fma_f64 v[10:11], v[21:22], v[26:27], v[10:11]
	s_andn2_b64 exec, exec, s[8:9]
	s_cbranch_execnz .LBB84_9
; %bb.10:
	s_or_b64 exec, exec, s[8:9]
.LBB84_11:
	s_or_b64 exec, exec, s[6:7]
	s_cbranch_execz .LBB84_13
	s_branch .LBB84_18
.LBB84_12:
                                        ; implicit-def: $vgpr8_vgpr9
                                        ; implicit-def: $vgpr10_vgpr11
.LBB84_13:
	v_mov_b32_e32 v8, 0
	v_mov_b32_e32 v10, 0
	;; [unrolled: 1-line block ×4, first 2 shown]
	s_and_saveexec_b64 s[6:7], s[0:1]
	s_cbranch_execz .LBB84_17
; %bb.14:
	v_mad_u64_u32 v[12:13], s[0:1], v6, 6, 5
	v_mov_b32_e32 v8, 0
	v_mov_b32_e32 v10, 0
	;; [unrolled: 1-line block ×3, first 2 shown]
	s_mov_b64 s[0:1], 0
	v_mov_b32_e32 v17, s11
	v_mov_b32_e32 v15, 0
	;; [unrolled: 1-line block ×5, first 2 shown]
.LBB84_15:                              ; =>This Inner Loop Header: Depth=1
	v_ashrrev_i32_e32 v7, 31, v6
	v_lshlrev_b64 v[22:23], 2, v[6:7]
	v_add_u32_e32 v14, -5, v12
	v_add_co_u32_e32 v22, vcc, s10, v22
	v_addc_co_u32_e32 v23, vcc, v17, v23, vcc
	global_load_dword v7, v[22:23], off
	v_lshlrev_b64 v[24:25], 3, v[14:15]
	v_add_u32_e32 v20, -2, v12
	v_mov_b32_e32 v21, v15
	v_lshlrev_b64 v[20:21], 3, v[20:21]
	v_add_co_u32_e32 v24, vcc, s12, v24
	v_mov_b32_e32 v13, v15
	v_addc_co_u32_e32 v25, vcc, v18, v25, vcc
	v_lshlrev_b64 v[13:14], 3, v[12:13]
	v_add_co_u32_e32 v20, vcc, s12, v20
	v_addc_co_u32_e32 v21, vcc, v18, v21, vcc
	v_add_co_u32_e32 v26, vcc, s12, v13
	v_addc_co_u32_e32 v27, vcc, v18, v14, vcc
	v_mov_b32_e32 v14, v15
	v_add_u32_e32 v6, 32, v6
	s_waitcnt vmcnt(0)
	v_subrev_u32_e32 v7, s2, v7
	v_lshl_add_u32 v13, v7, 1, v7
	v_lshlrev_b64 v[22:23], 3, v[13:14]
	v_add_u32_e32 v14, 1, v13
	v_add_co_u32_e32 v22, vcc, s14, v22
	v_addc_co_u32_e32 v23, vcc, v19, v23, vcc
	global_load_dwordx2 v[30:31], v[20:21], off
	global_load_dwordx2 v[32:33], v[22:23], off
	v_lshlrev_b64 v[28:29], 3, v[14:15]
	global_load_dwordx4 v[20:23], v[24:25], off
	v_add_co_u32_e32 v28, vcc, s14, v28
	v_addc_co_u32_e32 v29, vcc, v19, v29, vcc
	v_add_u32_e32 v14, -1, v12
	s_waitcnt vmcnt(1)
	v_fma_f64 v[10:11], v[30:31], v[32:33], v[10:11]
	s_waitcnt vmcnt(0)
	v_fma_f64 v[7:8], v[20:21], v[32:33], v[8:9]
	global_load_dwordx2 v[20:21], v[28:29], off
	s_waitcnt vmcnt(0)
	v_fma_f64 v[7:8], v[22:23], v[20:21], v[7:8]
	v_lshlrev_b64 v[22:23], 3, v[14:15]
	v_add_u32_e32 v14, -3, v12
	v_lshlrev_b64 v[24:25], 3, v[14:15]
	v_add_co_u32_e32 v22, vcc, s12, v22
	v_add_u32_e32 v14, 2, v13
	v_addc_co_u32_e32 v23, vcc, v18, v23, vcc
	v_add_co_u32_e32 v24, vcc, s12, v24
	v_lshlrev_b64 v[13:14], 3, v[14:15]
	v_addc_co_u32_e32 v25, vcc, v18, v25, vcc
	v_add_co_u32_e32 v13, vcc, s14, v13
	v_addc_co_u32_e32 v14, vcc, v19, v14, vcc
	global_load_dwordx2 v[28:29], v[22:23], off
	global_load_dwordx2 v[30:31], v[26:27], off
	;; [unrolled: 1-line block ×4, first 2 shown]
	v_cmp_ge_i32_e32 vcc, v6, v16
	s_or_b64 s[0:1], vcc, s[0:1]
	v_add_u32_e32 v12, 0xc0, v12
	s_waitcnt vmcnt(3)
	v_fma_f64 v[10:11], v[28:29], v[20:21], v[10:11]
	s_waitcnt vmcnt(0)
	v_fma_f64 v[8:9], v[32:33], v[34:35], v[7:8]
	v_fma_f64 v[10:11], v[30:31], v[34:35], v[10:11]
	s_andn2_b64 exec, exec, s[0:1]
	s_cbranch_execnz .LBB84_15
; %bb.16:
	s_or_b64 exec, exec, s[0:1]
.LBB84_17:
	s_or_b64 exec, exec, s[6:7]
.LBB84_18:
	v_mov_b32_dpp v6, v8 row_shr:1 row_mask:0xf bank_mask:0xf
	v_mov_b32_dpp v7, v9 row_shr:1 row_mask:0xf bank_mask:0xf
	v_add_f64 v[6:7], v[8:9], v[6:7]
	v_mov_b32_dpp v8, v10 row_shr:1 row_mask:0xf bank_mask:0xf
	v_mov_b32_dpp v9, v11 row_shr:1 row_mask:0xf bank_mask:0xf
	v_add_f64 v[8:9], v[10:11], v[8:9]
	v_cmp_eq_u32_e32 vcc, 31, v0
	v_mov_b32_dpp v10, v6 row_shr:2 row_mask:0xf bank_mask:0xf
	v_mov_b32_dpp v11, v7 row_shr:2 row_mask:0xf bank_mask:0xf
	v_add_f64 v[6:7], v[6:7], v[10:11]
	v_mov_b32_dpp v12, v8 row_shr:2 row_mask:0xf bank_mask:0xf
	v_mov_b32_dpp v13, v9 row_shr:2 row_mask:0xf bank_mask:0xf
	v_add_f64 v[8:9], v[8:9], v[12:13]
	;; [unrolled: 3-line block ×6, first 2 shown]
	v_mov_b32_dpp v8, v6 row_bcast:15 row_mask:0xa bank_mask:0xf
	v_mov_b32_dpp v9, v7 row_bcast:15 row_mask:0xa bank_mask:0xf
	;; [unrolled: 1-line block ×4, first 2 shown]
	s_and_b64 exec, exec, vcc
	s_cbranch_execz .LBB84_23
; %bb.19:
	v_add_f64 v[8:9], v[6:7], v[8:9]
	v_add_f64 v[6:7], v[10:11], v[12:13]
	v_cmp_eq_f64_e32 vcc, 0, v[3:4]
	s_load_dwordx2 s[0:1], s[4:5], 0x38
	s_and_saveexec_b64 s[2:3], vcc
	s_xor_b64 s[2:3], exec, s[2:3]
	s_cbranch_execz .LBB84_21
; %bb.20:
	v_mul_f64 v[3:4], v[1:2], v[8:9]
	v_lshlrev_b32_e32 v0, 1, v5
	v_mul_f64 v[5:6], v[1:2], v[6:7]
	v_ashrrev_i32_e32 v1, 31, v0
	v_lshlrev_b64 v[0:1], 3, v[0:1]
	s_waitcnt lgkmcnt(0)
	v_mov_b32_e32 v2, s1
	v_add_co_u32_e32 v0, vcc, s0, v0
	v_addc_co_u32_e32 v1, vcc, v2, v1, vcc
	global_store_dwordx4 v[0:1], v[3:6], off
                                        ; implicit-def: $vgpr5
                                        ; implicit-def: $vgpr1_vgpr2
                                        ; implicit-def: $vgpr8_vgpr9
                                        ; implicit-def: $vgpr3_vgpr4
                                        ; implicit-def: $vgpr6_vgpr7
.LBB84_21:
	s_andn2_saveexec_b64 s[2:3], s[2:3]
	s_cbranch_execz .LBB84_23
; %bb.22:
	v_lshlrev_b32_e32 v10, 1, v5
	v_ashrrev_i32_e32 v11, 31, v10
	v_lshlrev_b64 v[10:11], 3, v[10:11]
	s_waitcnt lgkmcnt(0)
	v_mov_b32_e32 v0, s1
	v_add_co_u32_e32 v14, vcc, s0, v10
	v_addc_co_u32_e32 v15, vcc, v0, v11, vcc
	global_load_dwordx4 v[10:13], v[14:15], off
	v_mul_f64 v[8:9], v[1:2], v[8:9]
	v_mul_f64 v[5:6], v[1:2], v[6:7]
	s_waitcnt vmcnt(0)
	v_fma_f64 v[0:1], v[3:4], v[10:11], v[8:9]
	v_fma_f64 v[2:3], v[3:4], v[12:13], v[5:6]
	global_store_dwordx4 v[14:15], v[0:3], off
.LBB84_23:
	s_endpgm
	.section	.rodata,"a",@progbits
	.p2align	6, 0x0
	.amdhsa_kernel _ZN9rocsparseL19gebsrmvn_2xn_kernelILj128ELj3ELj32EdEEvi20rocsparse_direction_NS_24const_host_device_scalarIT2_EEPKiS6_PKS3_S8_S4_PS3_21rocsparse_index_base_b
		.amdhsa_group_segment_fixed_size 0
		.amdhsa_private_segment_fixed_size 0
		.amdhsa_kernarg_size 72
		.amdhsa_user_sgpr_count 6
		.amdhsa_user_sgpr_private_segment_buffer 1
		.amdhsa_user_sgpr_dispatch_ptr 0
		.amdhsa_user_sgpr_queue_ptr 0
		.amdhsa_user_sgpr_kernarg_segment_ptr 1
		.amdhsa_user_sgpr_dispatch_id 0
		.amdhsa_user_sgpr_flat_scratch_init 0
		.amdhsa_user_sgpr_private_segment_size 0
		.amdhsa_uses_dynamic_stack 0
		.amdhsa_system_sgpr_private_segment_wavefront_offset 0
		.amdhsa_system_sgpr_workgroup_id_x 1
		.amdhsa_system_sgpr_workgroup_id_y 0
		.amdhsa_system_sgpr_workgroup_id_z 0
		.amdhsa_system_sgpr_workgroup_info 0
		.amdhsa_system_vgpr_workitem_id 0
		.amdhsa_next_free_vgpr 37
		.amdhsa_next_free_sgpr 16
		.amdhsa_reserve_vcc 1
		.amdhsa_reserve_flat_scratch 0
		.amdhsa_float_round_mode_32 0
		.amdhsa_float_round_mode_16_64 0
		.amdhsa_float_denorm_mode_32 3
		.amdhsa_float_denorm_mode_16_64 3
		.amdhsa_dx10_clamp 1
		.amdhsa_ieee_mode 1
		.amdhsa_fp16_overflow 0
		.amdhsa_exception_fp_ieee_invalid_op 0
		.amdhsa_exception_fp_denorm_src 0
		.amdhsa_exception_fp_ieee_div_zero 0
		.amdhsa_exception_fp_ieee_overflow 0
		.amdhsa_exception_fp_ieee_underflow 0
		.amdhsa_exception_fp_ieee_inexact 0
		.amdhsa_exception_int_div_zero 0
	.end_amdhsa_kernel
	.section	.text._ZN9rocsparseL19gebsrmvn_2xn_kernelILj128ELj3ELj32EdEEvi20rocsparse_direction_NS_24const_host_device_scalarIT2_EEPKiS6_PKS3_S8_S4_PS3_21rocsparse_index_base_b,"axG",@progbits,_ZN9rocsparseL19gebsrmvn_2xn_kernelILj128ELj3ELj32EdEEvi20rocsparse_direction_NS_24const_host_device_scalarIT2_EEPKiS6_PKS3_S8_S4_PS3_21rocsparse_index_base_b,comdat
.Lfunc_end84:
	.size	_ZN9rocsparseL19gebsrmvn_2xn_kernelILj128ELj3ELj32EdEEvi20rocsparse_direction_NS_24const_host_device_scalarIT2_EEPKiS6_PKS3_S8_S4_PS3_21rocsparse_index_base_b, .Lfunc_end84-_ZN9rocsparseL19gebsrmvn_2xn_kernelILj128ELj3ELj32EdEEvi20rocsparse_direction_NS_24const_host_device_scalarIT2_EEPKiS6_PKS3_S8_S4_PS3_21rocsparse_index_base_b
                                        ; -- End function
	.set _ZN9rocsparseL19gebsrmvn_2xn_kernelILj128ELj3ELj32EdEEvi20rocsparse_direction_NS_24const_host_device_scalarIT2_EEPKiS6_PKS3_S8_S4_PS3_21rocsparse_index_base_b.num_vgpr, 37
	.set _ZN9rocsparseL19gebsrmvn_2xn_kernelILj128ELj3ELj32EdEEvi20rocsparse_direction_NS_24const_host_device_scalarIT2_EEPKiS6_PKS3_S8_S4_PS3_21rocsparse_index_base_b.num_agpr, 0
	.set _ZN9rocsparseL19gebsrmvn_2xn_kernelILj128ELj3ELj32EdEEvi20rocsparse_direction_NS_24const_host_device_scalarIT2_EEPKiS6_PKS3_S8_S4_PS3_21rocsparse_index_base_b.numbered_sgpr, 16
	.set _ZN9rocsparseL19gebsrmvn_2xn_kernelILj128ELj3ELj32EdEEvi20rocsparse_direction_NS_24const_host_device_scalarIT2_EEPKiS6_PKS3_S8_S4_PS3_21rocsparse_index_base_b.num_named_barrier, 0
	.set _ZN9rocsparseL19gebsrmvn_2xn_kernelILj128ELj3ELj32EdEEvi20rocsparse_direction_NS_24const_host_device_scalarIT2_EEPKiS6_PKS3_S8_S4_PS3_21rocsparse_index_base_b.private_seg_size, 0
	.set _ZN9rocsparseL19gebsrmvn_2xn_kernelILj128ELj3ELj32EdEEvi20rocsparse_direction_NS_24const_host_device_scalarIT2_EEPKiS6_PKS3_S8_S4_PS3_21rocsparse_index_base_b.uses_vcc, 1
	.set _ZN9rocsparseL19gebsrmvn_2xn_kernelILj128ELj3ELj32EdEEvi20rocsparse_direction_NS_24const_host_device_scalarIT2_EEPKiS6_PKS3_S8_S4_PS3_21rocsparse_index_base_b.uses_flat_scratch, 0
	.set _ZN9rocsparseL19gebsrmvn_2xn_kernelILj128ELj3ELj32EdEEvi20rocsparse_direction_NS_24const_host_device_scalarIT2_EEPKiS6_PKS3_S8_S4_PS3_21rocsparse_index_base_b.has_dyn_sized_stack, 0
	.set _ZN9rocsparseL19gebsrmvn_2xn_kernelILj128ELj3ELj32EdEEvi20rocsparse_direction_NS_24const_host_device_scalarIT2_EEPKiS6_PKS3_S8_S4_PS3_21rocsparse_index_base_b.has_recursion, 0
	.set _ZN9rocsparseL19gebsrmvn_2xn_kernelILj128ELj3ELj32EdEEvi20rocsparse_direction_NS_24const_host_device_scalarIT2_EEPKiS6_PKS3_S8_S4_PS3_21rocsparse_index_base_b.has_indirect_call, 0
	.section	.AMDGPU.csdata,"",@progbits
; Kernel info:
; codeLenInByte = 1520
; TotalNumSgprs: 20
; NumVgprs: 37
; ScratchSize: 0
; MemoryBound: 0
; FloatMode: 240
; IeeeMode: 1
; LDSByteSize: 0 bytes/workgroup (compile time only)
; SGPRBlocks: 2
; VGPRBlocks: 9
; NumSGPRsForWavesPerEU: 20
; NumVGPRsForWavesPerEU: 37
; Occupancy: 6
; WaveLimiterHint : 1
; COMPUTE_PGM_RSRC2:SCRATCH_EN: 0
; COMPUTE_PGM_RSRC2:USER_SGPR: 6
; COMPUTE_PGM_RSRC2:TRAP_HANDLER: 0
; COMPUTE_PGM_RSRC2:TGID_X_EN: 1
; COMPUTE_PGM_RSRC2:TGID_Y_EN: 0
; COMPUTE_PGM_RSRC2:TGID_Z_EN: 0
; COMPUTE_PGM_RSRC2:TIDIG_COMP_CNT: 0
	.section	.text._ZN9rocsparseL19gebsrmvn_2xn_kernelILj128ELj3ELj64EdEEvi20rocsparse_direction_NS_24const_host_device_scalarIT2_EEPKiS6_PKS3_S8_S4_PS3_21rocsparse_index_base_b,"axG",@progbits,_ZN9rocsparseL19gebsrmvn_2xn_kernelILj128ELj3ELj64EdEEvi20rocsparse_direction_NS_24const_host_device_scalarIT2_EEPKiS6_PKS3_S8_S4_PS3_21rocsparse_index_base_b,comdat
	.globl	_ZN9rocsparseL19gebsrmvn_2xn_kernelILj128ELj3ELj64EdEEvi20rocsparse_direction_NS_24const_host_device_scalarIT2_EEPKiS6_PKS3_S8_S4_PS3_21rocsparse_index_base_b ; -- Begin function _ZN9rocsparseL19gebsrmvn_2xn_kernelILj128ELj3ELj64EdEEvi20rocsparse_direction_NS_24const_host_device_scalarIT2_EEPKiS6_PKS3_S8_S4_PS3_21rocsparse_index_base_b
	.p2align	8
	.type	_ZN9rocsparseL19gebsrmvn_2xn_kernelILj128ELj3ELj64EdEEvi20rocsparse_direction_NS_24const_host_device_scalarIT2_EEPKiS6_PKS3_S8_S4_PS3_21rocsparse_index_base_b,@function
_ZN9rocsparseL19gebsrmvn_2xn_kernelILj128ELj3ELj64EdEEvi20rocsparse_direction_NS_24const_host_device_scalarIT2_EEPKiS6_PKS3_S8_S4_PS3_21rocsparse_index_base_b: ; @_ZN9rocsparseL19gebsrmvn_2xn_kernelILj128ELj3ELj64EdEEvi20rocsparse_direction_NS_24const_host_device_scalarIT2_EEPKiS6_PKS3_S8_S4_PS3_21rocsparse_index_base_b
; %bb.0:
	s_load_dwordx2 s[2:3], s[4:5], 0x40
	s_load_dwordx2 s[10:11], s[4:5], 0x8
	;; [unrolled: 1-line block ×3, first 2 shown]
	s_waitcnt lgkmcnt(0)
	s_bitcmp1_b32 s3, 0
	s_cselect_b64 s[12:13], -1, 0
	v_mov_b32_e32 v1, s10
	s_xor_b64 s[8:9], s[12:13], -1
	s_and_b64 vcc, exec, s[12:13]
	v_mov_b32_e32 v2, s11
	s_cbranch_vccnz .LBB85_2
; %bb.1:
	v_mov_b32_e32 v1, s10
	v_mov_b32_e32 v2, s11
	flat_load_dwordx2 v[1:2], v[1:2]
.LBB85_2:
	v_mov_b32_e32 v4, s1
	s_andn2_b64 vcc, exec, s[8:9]
	v_mov_b32_e32 v3, s0
	s_cbranch_vccnz .LBB85_4
; %bb.3:
	v_mov_b32_e32 v4, s1
	v_mov_b32_e32 v3, s0
	flat_load_dwordx2 v[3:4], v[3:4]
.LBB85_4:
	s_waitcnt vmcnt(0) lgkmcnt(0)
	v_cmp_neq_f64_e32 vcc, 0, v[1:2]
	v_cmp_neq_f64_e64 s[0:1], 1.0, v[3:4]
	s_or_b64 s[0:1], vcc, s[0:1]
	s_and_saveexec_b64 s[8:9], s[0:1]
	s_cbranch_execz .LBB85_23
; %bb.5:
	s_load_dwordx2 s[0:1], s[4:5], 0x0
	v_lshrrev_b32_e32 v5, 6, v0
	v_lshl_or_b32 v5, s6, 1, v5
	s_waitcnt lgkmcnt(0)
	v_cmp_gt_i32_e32 vcc, s0, v5
	s_and_b64 exec, exec, vcc
	s_cbranch_execz .LBB85_23
; %bb.6:
	s_load_dwordx8 s[8:15], s[4:5], 0x10
	v_ashrrev_i32_e32 v6, 31, v5
	v_lshlrev_b64 v[6:7], 2, v[5:6]
	v_and_b32_e32 v0, 63, v0
	s_cmp_lg_u32 s1, 0
	s_waitcnt lgkmcnt(0)
	v_mov_b32_e32 v8, s9
	v_add_co_u32_e32 v6, vcc, s8, v6
	v_addc_co_u32_e32 v7, vcc, v8, v7, vcc
	global_load_dwordx2 v[6:7], v[6:7], off
	s_waitcnt vmcnt(0)
	v_subrev_u32_e32 v6, s2, v6
	v_subrev_u32_e32 v16, s2, v7
	v_add_u32_e32 v6, v6, v0
	v_cmp_lt_i32_e64 s[0:1], v6, v16
	s_cbranch_scc0 .LBB85_12
; %bb.7:
	v_mov_b32_e32 v8, 0
	v_mov_b32_e32 v10, 0
	;; [unrolled: 1-line block ×4, first 2 shown]
	s_and_saveexec_b64 s[6:7], s[0:1]
	s_cbranch_execz .LBB85_11
; %bb.8:
	v_mul_lo_u32 v12, v6, 6
	v_mov_b32_e32 v8, 0
	v_mov_b32_e32 v10, 0
	;; [unrolled: 1-line block ×3, first 2 shown]
	s_mov_b64 s[8:9], 0
	v_mov_b32_e32 v7, s11
	v_mov_b32_e32 v13, 0
	;; [unrolled: 1-line block ×6, first 2 shown]
.LBB85_9:                               ; =>This Inner Loop Header: Depth=1
	v_lshlrev_b64 v[19:20], 3, v[12:13]
	v_ashrrev_i32_e32 v15, 31, v14
	v_lshlrev_b64 v[29:30], 2, v[14:15]
	v_add_co_u32_e32 v31, vcc, s12, v19
	v_addc_co_u32_e32 v32, vcc, v17, v20, vcc
	v_add_co_u32_e32 v19, vcc, s10, v29
	v_addc_co_u32_e32 v20, vcc, v7, v30, vcc
	global_load_dword v15, v[19:20], off
	v_add_u32_e32 v21, 2, v12
	v_mov_b32_e32 v22, v13
	v_lshlrev_b64 v[21:22], 3, v[21:22]
	v_add_u32_e32 v26, 4, v12
	v_mov_b32_e32 v27, v13
	v_lshlrev_b64 v[26:27], 3, v[26:27]
	v_add_co_u32_e32 v29, vcc, s12, v21
	v_mov_b32_e32 v24, v13
	v_addc_co_u32_e32 v30, vcc, v17, v22, vcc
	v_add_co_u32_e32 v26, vcc, s12, v26
	v_addc_co_u32_e32 v27, vcc, v17, v27, vcc
	v_mov_b32_e32 v25, v13
	v_mov_b32_e32 v28, v13
	v_add_u32_e32 v14, 64, v14
	v_add_u32_e32 v12, 0x180, v12
	s_waitcnt vmcnt(0)
	v_subrev_u32_e32 v15, s2, v15
	v_lshl_add_u32 v23, v15, 1, v15
	v_lshlrev_b64 v[19:20], 3, v[23:24]
	v_add_u32_e32 v24, 1, v23
	v_add_co_u32_e32 v33, vcc, s14, v19
	v_addc_co_u32_e32 v34, vcc, v18, v20, vcc
	global_load_dwordx4 v[19:22], v[31:32], off
	global_load_dwordx2 v[35:36], v[33:34], off
	v_lshlrev_b64 v[24:25], 3, v[24:25]
	v_add_co_u32_e32 v24, vcc, s14, v24
	v_addc_co_u32_e32 v25, vcc, v18, v25, vcc
	s_waitcnt vmcnt(0)
	v_fma_f64 v[31:32], v[19:20], v[35:36], v[8:9]
	v_fma_f64 v[33:34], v[21:22], v[35:36], v[10:11]
	global_load_dwordx4 v[8:11], v[29:30], off
	global_load_dwordx4 v[19:22], v[26:27], off
	v_add_u32_e32 v27, 2, v23
	global_load_dwordx2 v[24:25], v[24:25], off
	v_lshlrev_b64 v[26:27], 3, v[27:28]
	v_add_co_u32_e32 v26, vcc, s14, v26
	v_addc_co_u32_e32 v27, vcc, v18, v27, vcc
	global_load_dwordx2 v[26:27], v[26:27], off
	v_cmp_ge_i32_e32 vcc, v14, v16
	s_or_b64 s[8:9], vcc, s[8:9]
	s_waitcnt vmcnt(1)
	v_fma_f64 v[8:9], v[8:9], v[24:25], v[31:32]
	v_fma_f64 v[10:11], v[10:11], v[24:25], v[33:34]
	s_waitcnt vmcnt(0)
	v_fma_f64 v[8:9], v[19:20], v[26:27], v[8:9]
	v_fma_f64 v[10:11], v[21:22], v[26:27], v[10:11]
	s_andn2_b64 exec, exec, s[8:9]
	s_cbranch_execnz .LBB85_9
; %bb.10:
	s_or_b64 exec, exec, s[8:9]
.LBB85_11:
	s_or_b64 exec, exec, s[6:7]
	s_cbranch_execz .LBB85_13
	s_branch .LBB85_18
.LBB85_12:
                                        ; implicit-def: $vgpr8_vgpr9
                                        ; implicit-def: $vgpr10_vgpr11
.LBB85_13:
	v_mov_b32_e32 v8, 0
	v_mov_b32_e32 v10, 0
	;; [unrolled: 1-line block ×4, first 2 shown]
	s_and_saveexec_b64 s[6:7], s[0:1]
	s_cbranch_execz .LBB85_17
; %bb.14:
	v_mad_u64_u32 v[12:13], s[0:1], v6, 6, 5
	v_mov_b32_e32 v8, 0
	v_mov_b32_e32 v10, 0
	;; [unrolled: 1-line block ×3, first 2 shown]
	s_mov_b64 s[0:1], 0
	v_mov_b32_e32 v17, s11
	v_mov_b32_e32 v15, 0
	;; [unrolled: 1-line block ×5, first 2 shown]
.LBB85_15:                              ; =>This Inner Loop Header: Depth=1
	v_ashrrev_i32_e32 v7, 31, v6
	v_lshlrev_b64 v[22:23], 2, v[6:7]
	v_add_u32_e32 v14, -5, v12
	v_add_co_u32_e32 v22, vcc, s10, v22
	v_addc_co_u32_e32 v23, vcc, v17, v23, vcc
	global_load_dword v7, v[22:23], off
	v_lshlrev_b64 v[24:25], 3, v[14:15]
	v_add_u32_e32 v20, -2, v12
	v_mov_b32_e32 v21, v15
	v_lshlrev_b64 v[20:21], 3, v[20:21]
	v_add_co_u32_e32 v24, vcc, s12, v24
	v_mov_b32_e32 v13, v15
	v_addc_co_u32_e32 v25, vcc, v18, v25, vcc
	v_lshlrev_b64 v[13:14], 3, v[12:13]
	v_add_co_u32_e32 v20, vcc, s12, v20
	v_addc_co_u32_e32 v21, vcc, v18, v21, vcc
	v_add_co_u32_e32 v26, vcc, s12, v13
	v_addc_co_u32_e32 v27, vcc, v18, v14, vcc
	v_mov_b32_e32 v14, v15
	v_add_u32_e32 v6, 64, v6
	s_waitcnt vmcnt(0)
	v_subrev_u32_e32 v7, s2, v7
	v_lshl_add_u32 v13, v7, 1, v7
	v_lshlrev_b64 v[22:23], 3, v[13:14]
	v_add_u32_e32 v14, 1, v13
	v_add_co_u32_e32 v22, vcc, s14, v22
	v_addc_co_u32_e32 v23, vcc, v19, v23, vcc
	global_load_dwordx2 v[30:31], v[20:21], off
	global_load_dwordx2 v[32:33], v[22:23], off
	v_lshlrev_b64 v[28:29], 3, v[14:15]
	global_load_dwordx4 v[20:23], v[24:25], off
	v_add_co_u32_e32 v28, vcc, s14, v28
	v_addc_co_u32_e32 v29, vcc, v19, v29, vcc
	v_add_u32_e32 v14, -1, v12
	s_waitcnt vmcnt(1)
	v_fma_f64 v[10:11], v[30:31], v[32:33], v[10:11]
	s_waitcnt vmcnt(0)
	v_fma_f64 v[7:8], v[20:21], v[32:33], v[8:9]
	global_load_dwordx2 v[20:21], v[28:29], off
	s_waitcnt vmcnt(0)
	v_fma_f64 v[7:8], v[22:23], v[20:21], v[7:8]
	v_lshlrev_b64 v[22:23], 3, v[14:15]
	v_add_u32_e32 v14, -3, v12
	v_lshlrev_b64 v[24:25], 3, v[14:15]
	v_add_co_u32_e32 v22, vcc, s12, v22
	v_add_u32_e32 v14, 2, v13
	v_addc_co_u32_e32 v23, vcc, v18, v23, vcc
	v_add_co_u32_e32 v24, vcc, s12, v24
	v_lshlrev_b64 v[13:14], 3, v[14:15]
	v_addc_co_u32_e32 v25, vcc, v18, v25, vcc
	v_add_co_u32_e32 v13, vcc, s14, v13
	v_addc_co_u32_e32 v14, vcc, v19, v14, vcc
	global_load_dwordx2 v[28:29], v[22:23], off
	global_load_dwordx2 v[30:31], v[26:27], off
	;; [unrolled: 1-line block ×4, first 2 shown]
	v_cmp_ge_i32_e32 vcc, v6, v16
	s_or_b64 s[0:1], vcc, s[0:1]
	v_add_u32_e32 v12, 0x180, v12
	s_waitcnt vmcnt(3)
	v_fma_f64 v[10:11], v[28:29], v[20:21], v[10:11]
	s_waitcnt vmcnt(0)
	v_fma_f64 v[8:9], v[32:33], v[34:35], v[7:8]
	v_fma_f64 v[10:11], v[30:31], v[34:35], v[10:11]
	s_andn2_b64 exec, exec, s[0:1]
	s_cbranch_execnz .LBB85_15
; %bb.16:
	s_or_b64 exec, exec, s[0:1]
.LBB85_17:
	s_or_b64 exec, exec, s[6:7]
.LBB85_18:
	v_mov_b32_dpp v6, v8 row_shr:1 row_mask:0xf bank_mask:0xf
	v_mov_b32_dpp v7, v9 row_shr:1 row_mask:0xf bank_mask:0xf
	v_add_f64 v[6:7], v[8:9], v[6:7]
	v_mov_b32_dpp v8, v10 row_shr:1 row_mask:0xf bank_mask:0xf
	v_mov_b32_dpp v9, v11 row_shr:1 row_mask:0xf bank_mask:0xf
	v_add_f64 v[8:9], v[10:11], v[8:9]
	v_cmp_eq_u32_e32 vcc, 63, v0
	v_mov_b32_dpp v10, v6 row_shr:2 row_mask:0xf bank_mask:0xf
	v_mov_b32_dpp v11, v7 row_shr:2 row_mask:0xf bank_mask:0xf
	v_add_f64 v[6:7], v[6:7], v[10:11]
	v_mov_b32_dpp v12, v8 row_shr:2 row_mask:0xf bank_mask:0xf
	v_mov_b32_dpp v13, v9 row_shr:2 row_mask:0xf bank_mask:0xf
	v_add_f64 v[8:9], v[8:9], v[12:13]
	;; [unrolled: 3-line block ×6, first 2 shown]
	v_mov_b32_dpp v10, v6 row_bcast:15 row_mask:0xa bank_mask:0xf
	v_mov_b32_dpp v11, v7 row_bcast:15 row_mask:0xa bank_mask:0xf
	v_add_f64 v[6:7], v[6:7], v[10:11]
	v_mov_b32_dpp v12, v8 row_bcast:15 row_mask:0xa bank_mask:0xf
	v_mov_b32_dpp v13, v9 row_bcast:15 row_mask:0xa bank_mask:0xf
	v_add_f64 v[10:11], v[8:9], v[12:13]
	v_mov_b32_dpp v8, v6 row_bcast:31 row_mask:0xc bank_mask:0xf
	v_mov_b32_dpp v9, v7 row_bcast:31 row_mask:0xc bank_mask:0xf
	v_mov_b32_dpp v12, v10 row_bcast:31 row_mask:0xc bank_mask:0xf
	v_mov_b32_dpp v13, v11 row_bcast:31 row_mask:0xc bank_mask:0xf
	s_and_b64 exec, exec, vcc
	s_cbranch_execz .LBB85_23
; %bb.19:
	v_add_f64 v[8:9], v[6:7], v[8:9]
	v_add_f64 v[6:7], v[10:11], v[12:13]
	v_cmp_eq_f64_e32 vcc, 0, v[3:4]
	s_load_dwordx2 s[0:1], s[4:5], 0x38
	s_and_saveexec_b64 s[2:3], vcc
	s_xor_b64 s[2:3], exec, s[2:3]
	s_cbranch_execz .LBB85_21
; %bb.20:
	v_mul_f64 v[3:4], v[1:2], v[8:9]
	v_lshlrev_b32_e32 v0, 1, v5
	v_mul_f64 v[5:6], v[1:2], v[6:7]
	v_ashrrev_i32_e32 v1, 31, v0
	v_lshlrev_b64 v[0:1], 3, v[0:1]
	s_waitcnt lgkmcnt(0)
	v_mov_b32_e32 v2, s1
	v_add_co_u32_e32 v0, vcc, s0, v0
	v_addc_co_u32_e32 v1, vcc, v2, v1, vcc
	global_store_dwordx4 v[0:1], v[3:6], off
                                        ; implicit-def: $vgpr5
                                        ; implicit-def: $vgpr1_vgpr2
                                        ; implicit-def: $vgpr8_vgpr9
                                        ; implicit-def: $vgpr3_vgpr4
                                        ; implicit-def: $vgpr6_vgpr7
.LBB85_21:
	s_andn2_saveexec_b64 s[2:3], s[2:3]
	s_cbranch_execz .LBB85_23
; %bb.22:
	v_lshlrev_b32_e32 v10, 1, v5
	v_ashrrev_i32_e32 v11, 31, v10
	v_lshlrev_b64 v[10:11], 3, v[10:11]
	s_waitcnt lgkmcnt(0)
	v_mov_b32_e32 v0, s1
	v_add_co_u32_e32 v14, vcc, s0, v10
	v_addc_co_u32_e32 v15, vcc, v0, v11, vcc
	global_load_dwordx4 v[10:13], v[14:15], off
	v_mul_f64 v[8:9], v[1:2], v[8:9]
	v_mul_f64 v[5:6], v[1:2], v[6:7]
	s_waitcnt vmcnt(0)
	v_fma_f64 v[0:1], v[3:4], v[10:11], v[8:9]
	v_fma_f64 v[2:3], v[3:4], v[12:13], v[5:6]
	global_store_dwordx4 v[14:15], v[0:3], off
.LBB85_23:
	s_endpgm
	.section	.rodata,"a",@progbits
	.p2align	6, 0x0
	.amdhsa_kernel _ZN9rocsparseL19gebsrmvn_2xn_kernelILj128ELj3ELj64EdEEvi20rocsparse_direction_NS_24const_host_device_scalarIT2_EEPKiS6_PKS3_S8_S4_PS3_21rocsparse_index_base_b
		.amdhsa_group_segment_fixed_size 0
		.amdhsa_private_segment_fixed_size 0
		.amdhsa_kernarg_size 72
		.amdhsa_user_sgpr_count 6
		.amdhsa_user_sgpr_private_segment_buffer 1
		.amdhsa_user_sgpr_dispatch_ptr 0
		.amdhsa_user_sgpr_queue_ptr 0
		.amdhsa_user_sgpr_kernarg_segment_ptr 1
		.amdhsa_user_sgpr_dispatch_id 0
		.amdhsa_user_sgpr_flat_scratch_init 0
		.amdhsa_user_sgpr_private_segment_size 0
		.amdhsa_uses_dynamic_stack 0
		.amdhsa_system_sgpr_private_segment_wavefront_offset 0
		.amdhsa_system_sgpr_workgroup_id_x 1
		.amdhsa_system_sgpr_workgroup_id_y 0
		.amdhsa_system_sgpr_workgroup_id_z 0
		.amdhsa_system_sgpr_workgroup_info 0
		.amdhsa_system_vgpr_workitem_id 0
		.amdhsa_next_free_vgpr 37
		.amdhsa_next_free_sgpr 16
		.amdhsa_reserve_vcc 1
		.amdhsa_reserve_flat_scratch 0
		.amdhsa_float_round_mode_32 0
		.amdhsa_float_round_mode_16_64 0
		.amdhsa_float_denorm_mode_32 3
		.amdhsa_float_denorm_mode_16_64 3
		.amdhsa_dx10_clamp 1
		.amdhsa_ieee_mode 1
		.amdhsa_fp16_overflow 0
		.amdhsa_exception_fp_ieee_invalid_op 0
		.amdhsa_exception_fp_denorm_src 0
		.amdhsa_exception_fp_ieee_div_zero 0
		.amdhsa_exception_fp_ieee_overflow 0
		.amdhsa_exception_fp_ieee_underflow 0
		.amdhsa_exception_fp_ieee_inexact 0
		.amdhsa_exception_int_div_zero 0
	.end_amdhsa_kernel
	.section	.text._ZN9rocsparseL19gebsrmvn_2xn_kernelILj128ELj3ELj64EdEEvi20rocsparse_direction_NS_24const_host_device_scalarIT2_EEPKiS6_PKS3_S8_S4_PS3_21rocsparse_index_base_b,"axG",@progbits,_ZN9rocsparseL19gebsrmvn_2xn_kernelILj128ELj3ELj64EdEEvi20rocsparse_direction_NS_24const_host_device_scalarIT2_EEPKiS6_PKS3_S8_S4_PS3_21rocsparse_index_base_b,comdat
.Lfunc_end85:
	.size	_ZN9rocsparseL19gebsrmvn_2xn_kernelILj128ELj3ELj64EdEEvi20rocsparse_direction_NS_24const_host_device_scalarIT2_EEPKiS6_PKS3_S8_S4_PS3_21rocsparse_index_base_b, .Lfunc_end85-_ZN9rocsparseL19gebsrmvn_2xn_kernelILj128ELj3ELj64EdEEvi20rocsparse_direction_NS_24const_host_device_scalarIT2_EEPKiS6_PKS3_S8_S4_PS3_21rocsparse_index_base_b
                                        ; -- End function
	.set _ZN9rocsparseL19gebsrmvn_2xn_kernelILj128ELj3ELj64EdEEvi20rocsparse_direction_NS_24const_host_device_scalarIT2_EEPKiS6_PKS3_S8_S4_PS3_21rocsparse_index_base_b.num_vgpr, 37
	.set _ZN9rocsparseL19gebsrmvn_2xn_kernelILj128ELj3ELj64EdEEvi20rocsparse_direction_NS_24const_host_device_scalarIT2_EEPKiS6_PKS3_S8_S4_PS3_21rocsparse_index_base_b.num_agpr, 0
	.set _ZN9rocsparseL19gebsrmvn_2xn_kernelILj128ELj3ELj64EdEEvi20rocsparse_direction_NS_24const_host_device_scalarIT2_EEPKiS6_PKS3_S8_S4_PS3_21rocsparse_index_base_b.numbered_sgpr, 16
	.set _ZN9rocsparseL19gebsrmvn_2xn_kernelILj128ELj3ELj64EdEEvi20rocsparse_direction_NS_24const_host_device_scalarIT2_EEPKiS6_PKS3_S8_S4_PS3_21rocsparse_index_base_b.num_named_barrier, 0
	.set _ZN9rocsparseL19gebsrmvn_2xn_kernelILj128ELj3ELj64EdEEvi20rocsparse_direction_NS_24const_host_device_scalarIT2_EEPKiS6_PKS3_S8_S4_PS3_21rocsparse_index_base_b.private_seg_size, 0
	.set _ZN9rocsparseL19gebsrmvn_2xn_kernelILj128ELj3ELj64EdEEvi20rocsparse_direction_NS_24const_host_device_scalarIT2_EEPKiS6_PKS3_S8_S4_PS3_21rocsparse_index_base_b.uses_vcc, 1
	.set _ZN9rocsparseL19gebsrmvn_2xn_kernelILj128ELj3ELj64EdEEvi20rocsparse_direction_NS_24const_host_device_scalarIT2_EEPKiS6_PKS3_S8_S4_PS3_21rocsparse_index_base_b.uses_flat_scratch, 0
	.set _ZN9rocsparseL19gebsrmvn_2xn_kernelILj128ELj3ELj64EdEEvi20rocsparse_direction_NS_24const_host_device_scalarIT2_EEPKiS6_PKS3_S8_S4_PS3_21rocsparse_index_base_b.has_dyn_sized_stack, 0
	.set _ZN9rocsparseL19gebsrmvn_2xn_kernelILj128ELj3ELj64EdEEvi20rocsparse_direction_NS_24const_host_device_scalarIT2_EEPKiS6_PKS3_S8_S4_PS3_21rocsparse_index_base_b.has_recursion, 0
	.set _ZN9rocsparseL19gebsrmvn_2xn_kernelILj128ELj3ELj64EdEEvi20rocsparse_direction_NS_24const_host_device_scalarIT2_EEPKiS6_PKS3_S8_S4_PS3_21rocsparse_index_base_b.has_indirect_call, 0
	.section	.AMDGPU.csdata,"",@progbits
; Kernel info:
; codeLenInByte = 1568
; TotalNumSgprs: 20
; NumVgprs: 37
; ScratchSize: 0
; MemoryBound: 0
; FloatMode: 240
; IeeeMode: 1
; LDSByteSize: 0 bytes/workgroup (compile time only)
; SGPRBlocks: 2
; VGPRBlocks: 9
; NumSGPRsForWavesPerEU: 20
; NumVGPRsForWavesPerEU: 37
; Occupancy: 6
; WaveLimiterHint : 1
; COMPUTE_PGM_RSRC2:SCRATCH_EN: 0
; COMPUTE_PGM_RSRC2:USER_SGPR: 6
; COMPUTE_PGM_RSRC2:TRAP_HANDLER: 0
; COMPUTE_PGM_RSRC2:TGID_X_EN: 1
; COMPUTE_PGM_RSRC2:TGID_Y_EN: 0
; COMPUTE_PGM_RSRC2:TGID_Z_EN: 0
; COMPUTE_PGM_RSRC2:TIDIG_COMP_CNT: 0
	.section	.text._ZN9rocsparseL19gebsrmvn_2xn_kernelILj128ELj4ELj4EdEEvi20rocsparse_direction_NS_24const_host_device_scalarIT2_EEPKiS6_PKS3_S8_S4_PS3_21rocsparse_index_base_b,"axG",@progbits,_ZN9rocsparseL19gebsrmvn_2xn_kernelILj128ELj4ELj4EdEEvi20rocsparse_direction_NS_24const_host_device_scalarIT2_EEPKiS6_PKS3_S8_S4_PS3_21rocsparse_index_base_b,comdat
	.globl	_ZN9rocsparseL19gebsrmvn_2xn_kernelILj128ELj4ELj4EdEEvi20rocsparse_direction_NS_24const_host_device_scalarIT2_EEPKiS6_PKS3_S8_S4_PS3_21rocsparse_index_base_b ; -- Begin function _ZN9rocsparseL19gebsrmvn_2xn_kernelILj128ELj4ELj4EdEEvi20rocsparse_direction_NS_24const_host_device_scalarIT2_EEPKiS6_PKS3_S8_S4_PS3_21rocsparse_index_base_b
	.p2align	8
	.type	_ZN9rocsparseL19gebsrmvn_2xn_kernelILj128ELj4ELj4EdEEvi20rocsparse_direction_NS_24const_host_device_scalarIT2_EEPKiS6_PKS3_S8_S4_PS3_21rocsparse_index_base_b,@function
_ZN9rocsparseL19gebsrmvn_2xn_kernelILj128ELj4ELj4EdEEvi20rocsparse_direction_NS_24const_host_device_scalarIT2_EEPKiS6_PKS3_S8_S4_PS3_21rocsparse_index_base_b: ; @_ZN9rocsparseL19gebsrmvn_2xn_kernelILj128ELj4ELj4EdEEvi20rocsparse_direction_NS_24const_host_device_scalarIT2_EEPKiS6_PKS3_S8_S4_PS3_21rocsparse_index_base_b
; %bb.0:
	s_load_dwordx2 s[2:3], s[4:5], 0x40
	s_load_dwordx2 s[10:11], s[4:5], 0x8
	;; [unrolled: 1-line block ×3, first 2 shown]
	s_waitcnt lgkmcnt(0)
	s_bitcmp1_b32 s3, 0
	s_cselect_b64 s[12:13], -1, 0
	v_mov_b32_e32 v1, s10
	s_xor_b64 s[8:9], s[12:13], -1
	s_and_b64 vcc, exec, s[12:13]
	v_mov_b32_e32 v2, s11
	s_cbranch_vccnz .LBB86_2
; %bb.1:
	v_mov_b32_e32 v1, s10
	v_mov_b32_e32 v2, s11
	flat_load_dwordx2 v[1:2], v[1:2]
.LBB86_2:
	v_mov_b32_e32 v4, s1
	s_andn2_b64 vcc, exec, s[8:9]
	v_mov_b32_e32 v3, s0
	s_cbranch_vccnz .LBB86_4
; %bb.3:
	v_mov_b32_e32 v4, s1
	v_mov_b32_e32 v3, s0
	flat_load_dwordx2 v[3:4], v[3:4]
.LBB86_4:
	s_waitcnt vmcnt(0) lgkmcnt(0)
	v_cmp_neq_f64_e32 vcc, 0, v[1:2]
	v_cmp_neq_f64_e64 s[0:1], 1.0, v[3:4]
	s_or_b64 s[0:1], vcc, s[0:1]
	s_and_saveexec_b64 s[8:9], s[0:1]
	s_cbranch_execz .LBB86_23
; %bb.5:
	s_load_dwordx2 s[0:1], s[4:5], 0x0
	v_lshrrev_b32_e32 v5, 2, v0
	v_lshl_or_b32 v5, s6, 5, v5
	s_waitcnt lgkmcnt(0)
	v_cmp_gt_i32_e32 vcc, s0, v5
	s_and_b64 exec, exec, vcc
	s_cbranch_execz .LBB86_23
; %bb.6:
	s_load_dwordx8 s[8:15], s[4:5], 0x10
	v_ashrrev_i32_e32 v6, 31, v5
	v_lshlrev_b64 v[6:7], 2, v[5:6]
	v_and_b32_e32 v0, 3, v0
	s_cmp_lg_u32 s1, 0
	s_waitcnt lgkmcnt(0)
	v_mov_b32_e32 v8, s9
	v_add_co_u32_e32 v6, vcc, s8, v6
	v_addc_co_u32_e32 v7, vcc, v8, v7, vcc
	global_load_dwordx2 v[6:7], v[6:7], off
	s_waitcnt vmcnt(0)
	v_subrev_u32_e32 v6, s2, v6
	v_subrev_u32_e32 v16, s2, v7
	v_add_u32_e32 v6, v6, v0
	v_cmp_lt_i32_e64 s[0:1], v6, v16
	s_cbranch_scc0 .LBB86_12
; %bb.7:
	v_mov_b32_e32 v8, 0
	v_mov_b32_e32 v10, 0
	;; [unrolled: 1-line block ×4, first 2 shown]
	s_and_saveexec_b64 s[6:7], s[0:1]
	s_cbranch_execz .LBB86_11
; %bb.8:
	v_mov_b32_e32 v8, 0
	v_mov_b32_e32 v10, 0
	v_lshlrev_b32_e32 v12, 3, v6
	v_mov_b32_e32 v9, 0
	s_mov_b64 s[8:9], 0
	v_mov_b32_e32 v7, s11
	v_mov_b32_e32 v13, 0
	;; [unrolled: 1-line block ×6, first 2 shown]
.LBB86_9:                               ; =>This Inner Loop Header: Depth=1
	v_ashrrev_i32_e32 v15, 31, v14
	v_lshlrev_b64 v[19:20], 2, v[14:15]
	v_mov_b32_e32 v24, v13
	v_add_co_u32_e32 v19, vcc, s10, v19
	v_addc_co_u32_e32 v20, vcc, v7, v20, vcc
	global_load_dword v15, v[19:20], off
	v_lshlrev_b64 v[19:20], 3, v[12:13]
	v_add_u32_e32 v14, 4, v14
	v_add_co_u32_e32 v43, vcc, s12, v19
	v_addc_co_u32_e32 v44, vcc, v17, v20, vcc
	global_load_dwordx4 v[19:22], v[43:44], off
	v_add_u32_e32 v12, 32, v12
	s_waitcnt vmcnt(1)
	v_subrev_u32_e32 v15, s2, v15
	v_lshlrev_b32_e32 v23, 2, v15
	v_lshlrev_b64 v[23:24], 3, v[23:24]
	v_add_co_u32_e32 v45, vcc, s14, v23
	v_addc_co_u32_e32 v46, vcc, v18, v24, vcc
	global_load_dwordx4 v[23:26], v[45:46], off
	global_load_dwordx4 v[27:30], v[43:44], off offset:16
	global_load_dwordx4 v[31:34], v[43:44], off offset:32
	;; [unrolled: 1-line block ×4, first 2 shown]
	v_cmp_ge_i32_e32 vcc, v14, v16
	s_or_b64 s[8:9], vcc, s[8:9]
	s_waitcnt vmcnt(4)
	v_fma_f64 v[8:9], v[19:20], v[23:24], v[8:9]
	v_fma_f64 v[10:11], v[21:22], v[23:24], v[10:11]
	s_waitcnt vmcnt(3)
	v_fma_f64 v[8:9], v[27:28], v[25:26], v[8:9]
	v_fma_f64 v[10:11], v[29:30], v[25:26], v[10:11]
	;; [unrolled: 3-line block ×4, first 2 shown]
	s_andn2_b64 exec, exec, s[8:9]
	s_cbranch_execnz .LBB86_9
; %bb.10:
	s_or_b64 exec, exec, s[8:9]
.LBB86_11:
	s_or_b64 exec, exec, s[6:7]
	s_cbranch_execz .LBB86_13
	s_branch .LBB86_18
.LBB86_12:
                                        ; implicit-def: $vgpr8_vgpr9
                                        ; implicit-def: $vgpr10_vgpr11
.LBB86_13:
	v_mov_b32_e32 v8, 0
	v_mov_b32_e32 v10, 0
	;; [unrolled: 1-line block ×4, first 2 shown]
	s_and_saveexec_b64 s[6:7], s[0:1]
	s_cbranch_execz .LBB86_17
; %bb.14:
	v_mov_b32_e32 v8, 0
	v_mov_b32_e32 v10, 0
	v_lshlrev_b32_e32 v12, 3, v6
	v_mov_b32_e32 v9, 0
	s_mov_b64 s[0:1], 0
	v_mov_b32_e32 v14, s11
	v_mov_b32_e32 v13, 0
	;; [unrolled: 1-line block ×5, first 2 shown]
.LBB86_15:                              ; =>This Inner Loop Header: Depth=1
	v_lshlrev_b64 v[18:19], 3, v[12:13]
	v_ashrrev_i32_e32 v7, 31, v6
	v_lshlrev_b64 v[20:21], 2, v[6:7]
	v_add_co_u32_e32 v38, vcc, s12, v18
	v_addc_co_u32_e32 v39, vcc, v15, v19, vcc
	v_add_co_u32_e32 v28, vcc, s10, v20
	v_addc_co_u32_e32 v29, vcc, v14, v21, vcc
	global_load_dwordx4 v[18:21], v[38:39], off
	global_load_dwordx4 v[22:25], v[38:39], off offset:16
	global_load_dword v7, v[28:29], off
	v_mov_b32_e32 v27, v13
	v_add_u32_e32 v6, 4, v6
	v_add_u32_e32 v12, 32, v12
	s_waitcnt vmcnt(0)
	v_subrev_u32_e32 v7, s2, v7
	v_lshlrev_b32_e32 v26, 2, v7
	v_lshlrev_b64 v[26:27], 3, v[26:27]
	v_add_co_u32_e32 v34, vcc, s14, v26
	v_addc_co_u32_e32 v35, vcc, v17, v27, vcc
	global_load_dwordx4 v[26:29], v[34:35], off
	global_load_dwordx4 v[30:33], v[34:35], off offset:16
	v_cmp_ge_i32_e32 vcc, v6, v16
	s_or_b64 s[0:1], vcc, s[0:1]
	s_waitcnt vmcnt(1)
	v_fma_f64 v[7:8], v[18:19], v[26:27], v[8:9]
	v_fma_f64 v[7:8], v[20:21], v[28:29], v[7:8]
	global_load_dwordx4 v[18:21], v[38:39], off offset:32
	global_load_dwordx4 v[34:37], v[38:39], off offset:48
	s_waitcnt vmcnt(2)
	v_fma_f64 v[7:8], v[22:23], v[30:31], v[7:8]
	s_waitcnt vmcnt(1)
	v_fma_f64 v[9:10], v[18:19], v[26:27], v[10:11]
	v_fma_f64 v[9:10], v[20:21], v[28:29], v[9:10]
	s_waitcnt vmcnt(0)
	v_fma_f64 v[10:11], v[34:35], v[30:31], v[9:10]
	v_fma_f64 v[8:9], v[24:25], v[32:33], v[7:8]
	v_fma_f64 v[10:11], v[36:37], v[32:33], v[10:11]
	s_andn2_b64 exec, exec, s[0:1]
	s_cbranch_execnz .LBB86_15
; %bb.16:
	s_or_b64 exec, exec, s[0:1]
.LBB86_17:
	s_or_b64 exec, exec, s[6:7]
.LBB86_18:
	v_mov_b32_dpp v6, v8 row_shr:1 row_mask:0xf bank_mask:0xf
	v_mov_b32_dpp v7, v9 row_shr:1 row_mask:0xf bank_mask:0xf
	v_add_f64 v[6:7], v[8:9], v[6:7]
	v_mov_b32_dpp v8, v10 row_shr:1 row_mask:0xf bank_mask:0xf
	v_mov_b32_dpp v9, v11 row_shr:1 row_mask:0xf bank_mask:0xf
	v_add_f64 v[10:11], v[10:11], v[8:9]
	v_cmp_eq_u32_e32 vcc, 3, v0
	v_mov_b32_dpp v8, v6 row_shr:2 row_mask:0xf bank_mask:0xf
	v_mov_b32_dpp v9, v7 row_shr:2 row_mask:0xf bank_mask:0xf
	;; [unrolled: 1-line block ×4, first 2 shown]
	s_and_b64 exec, exec, vcc
	s_cbranch_execz .LBB86_23
; %bb.19:
	v_add_f64 v[8:9], v[6:7], v[8:9]
	v_add_f64 v[6:7], v[10:11], v[12:13]
	v_cmp_eq_f64_e32 vcc, 0, v[3:4]
	s_load_dwordx2 s[0:1], s[4:5], 0x38
	s_and_saveexec_b64 s[2:3], vcc
	s_xor_b64 s[2:3], exec, s[2:3]
	s_cbranch_execz .LBB86_21
; %bb.20:
	v_mul_f64 v[3:4], v[1:2], v[8:9]
	v_lshlrev_b32_e32 v0, 1, v5
	v_mul_f64 v[5:6], v[1:2], v[6:7]
	v_ashrrev_i32_e32 v1, 31, v0
	v_lshlrev_b64 v[0:1], 3, v[0:1]
	s_waitcnt lgkmcnt(0)
	v_mov_b32_e32 v2, s1
	v_add_co_u32_e32 v0, vcc, s0, v0
	v_addc_co_u32_e32 v1, vcc, v2, v1, vcc
	global_store_dwordx4 v[0:1], v[3:6], off
                                        ; implicit-def: $vgpr5
                                        ; implicit-def: $vgpr1_vgpr2
                                        ; implicit-def: $vgpr8_vgpr9
                                        ; implicit-def: $vgpr3_vgpr4
                                        ; implicit-def: $vgpr6_vgpr7
.LBB86_21:
	s_andn2_saveexec_b64 s[2:3], s[2:3]
	s_cbranch_execz .LBB86_23
; %bb.22:
	v_lshlrev_b32_e32 v10, 1, v5
	v_ashrrev_i32_e32 v11, 31, v10
	v_lshlrev_b64 v[10:11], 3, v[10:11]
	s_waitcnt lgkmcnt(0)
	v_mov_b32_e32 v0, s1
	v_add_co_u32_e32 v14, vcc, s0, v10
	v_addc_co_u32_e32 v15, vcc, v0, v11, vcc
	global_load_dwordx4 v[10:13], v[14:15], off
	v_mul_f64 v[8:9], v[1:2], v[8:9]
	v_mul_f64 v[5:6], v[1:2], v[6:7]
	s_waitcnt vmcnt(0)
	v_fma_f64 v[0:1], v[3:4], v[10:11], v[8:9]
	v_fma_f64 v[2:3], v[3:4], v[12:13], v[5:6]
	global_store_dwordx4 v[14:15], v[0:3], off
.LBB86_23:
	s_endpgm
	.section	.rodata,"a",@progbits
	.p2align	6, 0x0
	.amdhsa_kernel _ZN9rocsparseL19gebsrmvn_2xn_kernelILj128ELj4ELj4EdEEvi20rocsparse_direction_NS_24const_host_device_scalarIT2_EEPKiS6_PKS3_S8_S4_PS3_21rocsparse_index_base_b
		.amdhsa_group_segment_fixed_size 0
		.amdhsa_private_segment_fixed_size 0
		.amdhsa_kernarg_size 72
		.amdhsa_user_sgpr_count 6
		.amdhsa_user_sgpr_private_segment_buffer 1
		.amdhsa_user_sgpr_dispatch_ptr 0
		.amdhsa_user_sgpr_queue_ptr 0
		.amdhsa_user_sgpr_kernarg_segment_ptr 1
		.amdhsa_user_sgpr_dispatch_id 0
		.amdhsa_user_sgpr_flat_scratch_init 0
		.amdhsa_user_sgpr_private_segment_size 0
		.amdhsa_uses_dynamic_stack 0
		.amdhsa_system_sgpr_private_segment_wavefront_offset 0
		.amdhsa_system_sgpr_workgroup_id_x 1
		.amdhsa_system_sgpr_workgroup_id_y 0
		.amdhsa_system_sgpr_workgroup_id_z 0
		.amdhsa_system_sgpr_workgroup_info 0
		.amdhsa_system_vgpr_workitem_id 0
		.amdhsa_next_free_vgpr 47
		.amdhsa_next_free_sgpr 16
		.amdhsa_reserve_vcc 1
		.amdhsa_reserve_flat_scratch 0
		.amdhsa_float_round_mode_32 0
		.amdhsa_float_round_mode_16_64 0
		.amdhsa_float_denorm_mode_32 3
		.amdhsa_float_denorm_mode_16_64 3
		.amdhsa_dx10_clamp 1
		.amdhsa_ieee_mode 1
		.amdhsa_fp16_overflow 0
		.amdhsa_exception_fp_ieee_invalid_op 0
		.amdhsa_exception_fp_denorm_src 0
		.amdhsa_exception_fp_ieee_div_zero 0
		.amdhsa_exception_fp_ieee_overflow 0
		.amdhsa_exception_fp_ieee_underflow 0
		.amdhsa_exception_fp_ieee_inexact 0
		.amdhsa_exception_int_div_zero 0
	.end_amdhsa_kernel
	.section	.text._ZN9rocsparseL19gebsrmvn_2xn_kernelILj128ELj4ELj4EdEEvi20rocsparse_direction_NS_24const_host_device_scalarIT2_EEPKiS6_PKS3_S8_S4_PS3_21rocsparse_index_base_b,"axG",@progbits,_ZN9rocsparseL19gebsrmvn_2xn_kernelILj128ELj4ELj4EdEEvi20rocsparse_direction_NS_24const_host_device_scalarIT2_EEPKiS6_PKS3_S8_S4_PS3_21rocsparse_index_base_b,comdat
.Lfunc_end86:
	.size	_ZN9rocsparseL19gebsrmvn_2xn_kernelILj128ELj4ELj4EdEEvi20rocsparse_direction_NS_24const_host_device_scalarIT2_EEPKiS6_PKS3_S8_S4_PS3_21rocsparse_index_base_b, .Lfunc_end86-_ZN9rocsparseL19gebsrmvn_2xn_kernelILj128ELj4ELj4EdEEvi20rocsparse_direction_NS_24const_host_device_scalarIT2_EEPKiS6_PKS3_S8_S4_PS3_21rocsparse_index_base_b
                                        ; -- End function
	.set _ZN9rocsparseL19gebsrmvn_2xn_kernelILj128ELj4ELj4EdEEvi20rocsparse_direction_NS_24const_host_device_scalarIT2_EEPKiS6_PKS3_S8_S4_PS3_21rocsparse_index_base_b.num_vgpr, 47
	.set _ZN9rocsparseL19gebsrmvn_2xn_kernelILj128ELj4ELj4EdEEvi20rocsparse_direction_NS_24const_host_device_scalarIT2_EEPKiS6_PKS3_S8_S4_PS3_21rocsparse_index_base_b.num_agpr, 0
	.set _ZN9rocsparseL19gebsrmvn_2xn_kernelILj128ELj4ELj4EdEEvi20rocsparse_direction_NS_24const_host_device_scalarIT2_EEPKiS6_PKS3_S8_S4_PS3_21rocsparse_index_base_b.numbered_sgpr, 16
	.set _ZN9rocsparseL19gebsrmvn_2xn_kernelILj128ELj4ELj4EdEEvi20rocsparse_direction_NS_24const_host_device_scalarIT2_EEPKiS6_PKS3_S8_S4_PS3_21rocsparse_index_base_b.num_named_barrier, 0
	.set _ZN9rocsparseL19gebsrmvn_2xn_kernelILj128ELj4ELj4EdEEvi20rocsparse_direction_NS_24const_host_device_scalarIT2_EEPKiS6_PKS3_S8_S4_PS3_21rocsparse_index_base_b.private_seg_size, 0
	.set _ZN9rocsparseL19gebsrmvn_2xn_kernelILj128ELj4ELj4EdEEvi20rocsparse_direction_NS_24const_host_device_scalarIT2_EEPKiS6_PKS3_S8_S4_PS3_21rocsparse_index_base_b.uses_vcc, 1
	.set _ZN9rocsparseL19gebsrmvn_2xn_kernelILj128ELj4ELj4EdEEvi20rocsparse_direction_NS_24const_host_device_scalarIT2_EEPKiS6_PKS3_S8_S4_PS3_21rocsparse_index_base_b.uses_flat_scratch, 0
	.set _ZN9rocsparseL19gebsrmvn_2xn_kernelILj128ELj4ELj4EdEEvi20rocsparse_direction_NS_24const_host_device_scalarIT2_EEPKiS6_PKS3_S8_S4_PS3_21rocsparse_index_base_b.has_dyn_sized_stack, 0
	.set _ZN9rocsparseL19gebsrmvn_2xn_kernelILj128ELj4ELj4EdEEvi20rocsparse_direction_NS_24const_host_device_scalarIT2_EEPKiS6_PKS3_S8_S4_PS3_21rocsparse_index_base_b.has_recursion, 0
	.set _ZN9rocsparseL19gebsrmvn_2xn_kernelILj128ELj4ELj4EdEEvi20rocsparse_direction_NS_24const_host_device_scalarIT2_EEPKiS6_PKS3_S8_S4_PS3_21rocsparse_index_base_b.has_indirect_call, 0
	.section	.AMDGPU.csdata,"",@progbits
; Kernel info:
; codeLenInByte = 1144
; TotalNumSgprs: 20
; NumVgprs: 47
; ScratchSize: 0
; MemoryBound: 1
; FloatMode: 240
; IeeeMode: 1
; LDSByteSize: 0 bytes/workgroup (compile time only)
; SGPRBlocks: 2
; VGPRBlocks: 11
; NumSGPRsForWavesPerEU: 20
; NumVGPRsForWavesPerEU: 47
; Occupancy: 5
; WaveLimiterHint : 1
; COMPUTE_PGM_RSRC2:SCRATCH_EN: 0
; COMPUTE_PGM_RSRC2:USER_SGPR: 6
; COMPUTE_PGM_RSRC2:TRAP_HANDLER: 0
; COMPUTE_PGM_RSRC2:TGID_X_EN: 1
; COMPUTE_PGM_RSRC2:TGID_Y_EN: 0
; COMPUTE_PGM_RSRC2:TGID_Z_EN: 0
; COMPUTE_PGM_RSRC2:TIDIG_COMP_CNT: 0
	.section	.text._ZN9rocsparseL19gebsrmvn_2xn_kernelILj128ELj4ELj8EdEEvi20rocsparse_direction_NS_24const_host_device_scalarIT2_EEPKiS6_PKS3_S8_S4_PS3_21rocsparse_index_base_b,"axG",@progbits,_ZN9rocsparseL19gebsrmvn_2xn_kernelILj128ELj4ELj8EdEEvi20rocsparse_direction_NS_24const_host_device_scalarIT2_EEPKiS6_PKS3_S8_S4_PS3_21rocsparse_index_base_b,comdat
	.globl	_ZN9rocsparseL19gebsrmvn_2xn_kernelILj128ELj4ELj8EdEEvi20rocsparse_direction_NS_24const_host_device_scalarIT2_EEPKiS6_PKS3_S8_S4_PS3_21rocsparse_index_base_b ; -- Begin function _ZN9rocsparseL19gebsrmvn_2xn_kernelILj128ELj4ELj8EdEEvi20rocsparse_direction_NS_24const_host_device_scalarIT2_EEPKiS6_PKS3_S8_S4_PS3_21rocsparse_index_base_b
	.p2align	8
	.type	_ZN9rocsparseL19gebsrmvn_2xn_kernelILj128ELj4ELj8EdEEvi20rocsparse_direction_NS_24const_host_device_scalarIT2_EEPKiS6_PKS3_S8_S4_PS3_21rocsparse_index_base_b,@function
_ZN9rocsparseL19gebsrmvn_2xn_kernelILj128ELj4ELj8EdEEvi20rocsparse_direction_NS_24const_host_device_scalarIT2_EEPKiS6_PKS3_S8_S4_PS3_21rocsparse_index_base_b: ; @_ZN9rocsparseL19gebsrmvn_2xn_kernelILj128ELj4ELj8EdEEvi20rocsparse_direction_NS_24const_host_device_scalarIT2_EEPKiS6_PKS3_S8_S4_PS3_21rocsparse_index_base_b
; %bb.0:
	s_load_dwordx2 s[2:3], s[4:5], 0x40
	s_load_dwordx2 s[10:11], s[4:5], 0x8
	;; [unrolled: 1-line block ×3, first 2 shown]
	s_waitcnt lgkmcnt(0)
	s_bitcmp1_b32 s3, 0
	s_cselect_b64 s[12:13], -1, 0
	v_mov_b32_e32 v1, s10
	s_xor_b64 s[8:9], s[12:13], -1
	s_and_b64 vcc, exec, s[12:13]
	v_mov_b32_e32 v2, s11
	s_cbranch_vccnz .LBB87_2
; %bb.1:
	v_mov_b32_e32 v1, s10
	v_mov_b32_e32 v2, s11
	flat_load_dwordx2 v[1:2], v[1:2]
.LBB87_2:
	v_mov_b32_e32 v4, s1
	s_andn2_b64 vcc, exec, s[8:9]
	v_mov_b32_e32 v3, s0
	s_cbranch_vccnz .LBB87_4
; %bb.3:
	v_mov_b32_e32 v4, s1
	v_mov_b32_e32 v3, s0
	flat_load_dwordx2 v[3:4], v[3:4]
.LBB87_4:
	s_waitcnt vmcnt(0) lgkmcnt(0)
	v_cmp_neq_f64_e32 vcc, 0, v[1:2]
	v_cmp_neq_f64_e64 s[0:1], 1.0, v[3:4]
	s_or_b64 s[0:1], vcc, s[0:1]
	s_and_saveexec_b64 s[8:9], s[0:1]
	s_cbranch_execz .LBB87_23
; %bb.5:
	s_load_dwordx2 s[0:1], s[4:5], 0x0
	v_lshrrev_b32_e32 v5, 3, v0
	v_lshl_or_b32 v5, s6, 4, v5
	s_waitcnt lgkmcnt(0)
	v_cmp_gt_i32_e32 vcc, s0, v5
	s_and_b64 exec, exec, vcc
	s_cbranch_execz .LBB87_23
; %bb.6:
	s_load_dwordx8 s[8:15], s[4:5], 0x10
	v_ashrrev_i32_e32 v6, 31, v5
	v_lshlrev_b64 v[6:7], 2, v[5:6]
	v_and_b32_e32 v0, 7, v0
	s_cmp_lg_u32 s1, 0
	s_waitcnt lgkmcnt(0)
	v_mov_b32_e32 v8, s9
	v_add_co_u32_e32 v6, vcc, s8, v6
	v_addc_co_u32_e32 v7, vcc, v8, v7, vcc
	global_load_dwordx2 v[6:7], v[6:7], off
	s_waitcnt vmcnt(0)
	v_subrev_u32_e32 v6, s2, v6
	v_subrev_u32_e32 v16, s2, v7
	v_add_u32_e32 v6, v6, v0
	v_cmp_lt_i32_e64 s[0:1], v6, v16
	s_cbranch_scc0 .LBB87_12
; %bb.7:
	v_mov_b32_e32 v8, 0
	v_mov_b32_e32 v10, 0
	;; [unrolled: 1-line block ×4, first 2 shown]
	s_and_saveexec_b64 s[6:7], s[0:1]
	s_cbranch_execz .LBB87_11
; %bb.8:
	v_mov_b32_e32 v8, 0
	v_mov_b32_e32 v10, 0
	v_lshlrev_b32_e32 v12, 3, v6
	v_mov_b32_e32 v9, 0
	s_mov_b64 s[8:9], 0
	v_mov_b32_e32 v7, s11
	v_mov_b32_e32 v13, 0
	;; [unrolled: 1-line block ×6, first 2 shown]
.LBB87_9:                               ; =>This Inner Loop Header: Depth=1
	v_ashrrev_i32_e32 v15, 31, v14
	v_lshlrev_b64 v[19:20], 2, v[14:15]
	v_mov_b32_e32 v24, v13
	v_add_co_u32_e32 v19, vcc, s10, v19
	v_addc_co_u32_e32 v20, vcc, v7, v20, vcc
	global_load_dword v15, v[19:20], off
	v_lshlrev_b64 v[19:20], 3, v[12:13]
	v_add_u32_e32 v14, 8, v14
	v_add_co_u32_e32 v43, vcc, s12, v19
	v_addc_co_u32_e32 v44, vcc, v17, v20, vcc
	global_load_dwordx4 v[19:22], v[43:44], off
	v_add_u32_e32 v12, 64, v12
	s_waitcnt vmcnt(1)
	v_subrev_u32_e32 v15, s2, v15
	v_lshlrev_b32_e32 v23, 2, v15
	v_lshlrev_b64 v[23:24], 3, v[23:24]
	v_add_co_u32_e32 v45, vcc, s14, v23
	v_addc_co_u32_e32 v46, vcc, v18, v24, vcc
	global_load_dwordx4 v[23:26], v[45:46], off
	global_load_dwordx4 v[27:30], v[43:44], off offset:16
	global_load_dwordx4 v[31:34], v[43:44], off offset:32
	global_load_dwordx4 v[35:38], v[45:46], off offset:16
	global_load_dwordx4 v[39:42], v[43:44], off offset:48
	v_cmp_ge_i32_e32 vcc, v14, v16
	s_or_b64 s[8:9], vcc, s[8:9]
	s_waitcnt vmcnt(4)
	v_fma_f64 v[8:9], v[19:20], v[23:24], v[8:9]
	v_fma_f64 v[10:11], v[21:22], v[23:24], v[10:11]
	s_waitcnt vmcnt(3)
	v_fma_f64 v[8:9], v[27:28], v[25:26], v[8:9]
	v_fma_f64 v[10:11], v[29:30], v[25:26], v[10:11]
	;; [unrolled: 3-line block ×4, first 2 shown]
	s_andn2_b64 exec, exec, s[8:9]
	s_cbranch_execnz .LBB87_9
; %bb.10:
	s_or_b64 exec, exec, s[8:9]
.LBB87_11:
	s_or_b64 exec, exec, s[6:7]
	s_cbranch_execz .LBB87_13
	s_branch .LBB87_18
.LBB87_12:
                                        ; implicit-def: $vgpr8_vgpr9
                                        ; implicit-def: $vgpr10_vgpr11
.LBB87_13:
	v_mov_b32_e32 v8, 0
	v_mov_b32_e32 v10, 0
	;; [unrolled: 1-line block ×4, first 2 shown]
	s_and_saveexec_b64 s[6:7], s[0:1]
	s_cbranch_execz .LBB87_17
; %bb.14:
	v_mov_b32_e32 v8, 0
	v_mov_b32_e32 v10, 0
	v_lshlrev_b32_e32 v12, 3, v6
	v_mov_b32_e32 v9, 0
	s_mov_b64 s[0:1], 0
	v_mov_b32_e32 v14, s11
	v_mov_b32_e32 v13, 0
	;; [unrolled: 1-line block ×5, first 2 shown]
.LBB87_15:                              ; =>This Inner Loop Header: Depth=1
	v_lshlrev_b64 v[18:19], 3, v[12:13]
	v_ashrrev_i32_e32 v7, 31, v6
	v_lshlrev_b64 v[20:21], 2, v[6:7]
	v_add_co_u32_e32 v38, vcc, s12, v18
	v_addc_co_u32_e32 v39, vcc, v15, v19, vcc
	v_add_co_u32_e32 v28, vcc, s10, v20
	v_addc_co_u32_e32 v29, vcc, v14, v21, vcc
	global_load_dwordx4 v[18:21], v[38:39], off
	global_load_dwordx4 v[22:25], v[38:39], off offset:16
	global_load_dword v7, v[28:29], off
	v_mov_b32_e32 v27, v13
	v_add_u32_e32 v6, 8, v6
	v_add_u32_e32 v12, 64, v12
	s_waitcnt vmcnt(0)
	v_subrev_u32_e32 v7, s2, v7
	v_lshlrev_b32_e32 v26, 2, v7
	v_lshlrev_b64 v[26:27], 3, v[26:27]
	v_add_co_u32_e32 v34, vcc, s14, v26
	v_addc_co_u32_e32 v35, vcc, v17, v27, vcc
	global_load_dwordx4 v[26:29], v[34:35], off
	global_load_dwordx4 v[30:33], v[34:35], off offset:16
	v_cmp_ge_i32_e32 vcc, v6, v16
	s_or_b64 s[0:1], vcc, s[0:1]
	s_waitcnt vmcnt(1)
	v_fma_f64 v[7:8], v[18:19], v[26:27], v[8:9]
	v_fma_f64 v[7:8], v[20:21], v[28:29], v[7:8]
	global_load_dwordx4 v[18:21], v[38:39], off offset:32
	global_load_dwordx4 v[34:37], v[38:39], off offset:48
	s_waitcnt vmcnt(2)
	v_fma_f64 v[7:8], v[22:23], v[30:31], v[7:8]
	s_waitcnt vmcnt(1)
	v_fma_f64 v[9:10], v[18:19], v[26:27], v[10:11]
	v_fma_f64 v[9:10], v[20:21], v[28:29], v[9:10]
	s_waitcnt vmcnt(0)
	v_fma_f64 v[10:11], v[34:35], v[30:31], v[9:10]
	v_fma_f64 v[8:9], v[24:25], v[32:33], v[7:8]
	;; [unrolled: 1-line block ×3, first 2 shown]
	s_andn2_b64 exec, exec, s[0:1]
	s_cbranch_execnz .LBB87_15
; %bb.16:
	s_or_b64 exec, exec, s[0:1]
.LBB87_17:
	s_or_b64 exec, exec, s[6:7]
.LBB87_18:
	v_mov_b32_dpp v6, v8 row_shr:1 row_mask:0xf bank_mask:0xf
	v_mov_b32_dpp v7, v9 row_shr:1 row_mask:0xf bank_mask:0xf
	v_add_f64 v[6:7], v[8:9], v[6:7]
	v_mov_b32_dpp v8, v10 row_shr:1 row_mask:0xf bank_mask:0xf
	v_mov_b32_dpp v9, v11 row_shr:1 row_mask:0xf bank_mask:0xf
	v_add_f64 v[8:9], v[10:11], v[8:9]
	v_cmp_eq_u32_e32 vcc, 7, v0
	v_mov_b32_dpp v10, v6 row_shr:2 row_mask:0xf bank_mask:0xf
	v_mov_b32_dpp v11, v7 row_shr:2 row_mask:0xf bank_mask:0xf
	v_add_f64 v[6:7], v[6:7], v[10:11]
	v_mov_b32_dpp v12, v8 row_shr:2 row_mask:0xf bank_mask:0xf
	v_mov_b32_dpp v13, v9 row_shr:2 row_mask:0xf bank_mask:0xf
	v_add_f64 v[10:11], v[8:9], v[12:13]
	v_mov_b32_dpp v8, v6 row_shr:4 row_mask:0xf bank_mask:0xe
	v_mov_b32_dpp v9, v7 row_shr:4 row_mask:0xf bank_mask:0xe
	;; [unrolled: 1-line block ×4, first 2 shown]
	s_and_b64 exec, exec, vcc
	s_cbranch_execz .LBB87_23
; %bb.19:
	v_add_f64 v[8:9], v[6:7], v[8:9]
	v_add_f64 v[6:7], v[10:11], v[12:13]
	v_cmp_eq_f64_e32 vcc, 0, v[3:4]
	s_load_dwordx2 s[0:1], s[4:5], 0x38
	s_and_saveexec_b64 s[2:3], vcc
	s_xor_b64 s[2:3], exec, s[2:3]
	s_cbranch_execz .LBB87_21
; %bb.20:
	v_mul_f64 v[3:4], v[1:2], v[8:9]
	v_lshlrev_b32_e32 v0, 1, v5
	v_mul_f64 v[5:6], v[1:2], v[6:7]
	v_ashrrev_i32_e32 v1, 31, v0
	v_lshlrev_b64 v[0:1], 3, v[0:1]
	s_waitcnt lgkmcnt(0)
	v_mov_b32_e32 v2, s1
	v_add_co_u32_e32 v0, vcc, s0, v0
	v_addc_co_u32_e32 v1, vcc, v2, v1, vcc
	global_store_dwordx4 v[0:1], v[3:6], off
                                        ; implicit-def: $vgpr5
                                        ; implicit-def: $vgpr1_vgpr2
                                        ; implicit-def: $vgpr8_vgpr9
                                        ; implicit-def: $vgpr3_vgpr4
                                        ; implicit-def: $vgpr6_vgpr7
.LBB87_21:
	s_andn2_saveexec_b64 s[2:3], s[2:3]
	s_cbranch_execz .LBB87_23
; %bb.22:
	v_lshlrev_b32_e32 v10, 1, v5
	v_ashrrev_i32_e32 v11, 31, v10
	v_lshlrev_b64 v[10:11], 3, v[10:11]
	s_waitcnt lgkmcnt(0)
	v_mov_b32_e32 v0, s1
	v_add_co_u32_e32 v14, vcc, s0, v10
	v_addc_co_u32_e32 v15, vcc, v0, v11, vcc
	global_load_dwordx4 v[10:13], v[14:15], off
	v_mul_f64 v[8:9], v[1:2], v[8:9]
	v_mul_f64 v[5:6], v[1:2], v[6:7]
	s_waitcnt vmcnt(0)
	v_fma_f64 v[0:1], v[3:4], v[10:11], v[8:9]
	v_fma_f64 v[2:3], v[3:4], v[12:13], v[5:6]
	global_store_dwordx4 v[14:15], v[0:3], off
.LBB87_23:
	s_endpgm
	.section	.rodata,"a",@progbits
	.p2align	6, 0x0
	.amdhsa_kernel _ZN9rocsparseL19gebsrmvn_2xn_kernelILj128ELj4ELj8EdEEvi20rocsparse_direction_NS_24const_host_device_scalarIT2_EEPKiS6_PKS3_S8_S4_PS3_21rocsparse_index_base_b
		.amdhsa_group_segment_fixed_size 0
		.amdhsa_private_segment_fixed_size 0
		.amdhsa_kernarg_size 72
		.amdhsa_user_sgpr_count 6
		.amdhsa_user_sgpr_private_segment_buffer 1
		.amdhsa_user_sgpr_dispatch_ptr 0
		.amdhsa_user_sgpr_queue_ptr 0
		.amdhsa_user_sgpr_kernarg_segment_ptr 1
		.amdhsa_user_sgpr_dispatch_id 0
		.amdhsa_user_sgpr_flat_scratch_init 0
		.amdhsa_user_sgpr_private_segment_size 0
		.amdhsa_uses_dynamic_stack 0
		.amdhsa_system_sgpr_private_segment_wavefront_offset 0
		.amdhsa_system_sgpr_workgroup_id_x 1
		.amdhsa_system_sgpr_workgroup_id_y 0
		.amdhsa_system_sgpr_workgroup_id_z 0
		.amdhsa_system_sgpr_workgroup_info 0
		.amdhsa_system_vgpr_workitem_id 0
		.amdhsa_next_free_vgpr 47
		.amdhsa_next_free_sgpr 16
		.amdhsa_reserve_vcc 1
		.amdhsa_reserve_flat_scratch 0
		.amdhsa_float_round_mode_32 0
		.amdhsa_float_round_mode_16_64 0
		.amdhsa_float_denorm_mode_32 3
		.amdhsa_float_denorm_mode_16_64 3
		.amdhsa_dx10_clamp 1
		.amdhsa_ieee_mode 1
		.amdhsa_fp16_overflow 0
		.amdhsa_exception_fp_ieee_invalid_op 0
		.amdhsa_exception_fp_denorm_src 0
		.amdhsa_exception_fp_ieee_div_zero 0
		.amdhsa_exception_fp_ieee_overflow 0
		.amdhsa_exception_fp_ieee_underflow 0
		.amdhsa_exception_fp_ieee_inexact 0
		.amdhsa_exception_int_div_zero 0
	.end_amdhsa_kernel
	.section	.text._ZN9rocsparseL19gebsrmvn_2xn_kernelILj128ELj4ELj8EdEEvi20rocsparse_direction_NS_24const_host_device_scalarIT2_EEPKiS6_PKS3_S8_S4_PS3_21rocsparse_index_base_b,"axG",@progbits,_ZN9rocsparseL19gebsrmvn_2xn_kernelILj128ELj4ELj8EdEEvi20rocsparse_direction_NS_24const_host_device_scalarIT2_EEPKiS6_PKS3_S8_S4_PS3_21rocsparse_index_base_b,comdat
.Lfunc_end87:
	.size	_ZN9rocsparseL19gebsrmvn_2xn_kernelILj128ELj4ELj8EdEEvi20rocsparse_direction_NS_24const_host_device_scalarIT2_EEPKiS6_PKS3_S8_S4_PS3_21rocsparse_index_base_b, .Lfunc_end87-_ZN9rocsparseL19gebsrmvn_2xn_kernelILj128ELj4ELj8EdEEvi20rocsparse_direction_NS_24const_host_device_scalarIT2_EEPKiS6_PKS3_S8_S4_PS3_21rocsparse_index_base_b
                                        ; -- End function
	.set _ZN9rocsparseL19gebsrmvn_2xn_kernelILj128ELj4ELj8EdEEvi20rocsparse_direction_NS_24const_host_device_scalarIT2_EEPKiS6_PKS3_S8_S4_PS3_21rocsparse_index_base_b.num_vgpr, 47
	.set _ZN9rocsparseL19gebsrmvn_2xn_kernelILj128ELj4ELj8EdEEvi20rocsparse_direction_NS_24const_host_device_scalarIT2_EEPKiS6_PKS3_S8_S4_PS3_21rocsparse_index_base_b.num_agpr, 0
	.set _ZN9rocsparseL19gebsrmvn_2xn_kernelILj128ELj4ELj8EdEEvi20rocsparse_direction_NS_24const_host_device_scalarIT2_EEPKiS6_PKS3_S8_S4_PS3_21rocsparse_index_base_b.numbered_sgpr, 16
	.set _ZN9rocsparseL19gebsrmvn_2xn_kernelILj128ELj4ELj8EdEEvi20rocsparse_direction_NS_24const_host_device_scalarIT2_EEPKiS6_PKS3_S8_S4_PS3_21rocsparse_index_base_b.num_named_barrier, 0
	.set _ZN9rocsparseL19gebsrmvn_2xn_kernelILj128ELj4ELj8EdEEvi20rocsparse_direction_NS_24const_host_device_scalarIT2_EEPKiS6_PKS3_S8_S4_PS3_21rocsparse_index_base_b.private_seg_size, 0
	.set _ZN9rocsparseL19gebsrmvn_2xn_kernelILj128ELj4ELj8EdEEvi20rocsparse_direction_NS_24const_host_device_scalarIT2_EEPKiS6_PKS3_S8_S4_PS3_21rocsparse_index_base_b.uses_vcc, 1
	.set _ZN9rocsparseL19gebsrmvn_2xn_kernelILj128ELj4ELj8EdEEvi20rocsparse_direction_NS_24const_host_device_scalarIT2_EEPKiS6_PKS3_S8_S4_PS3_21rocsparse_index_base_b.uses_flat_scratch, 0
	.set _ZN9rocsparseL19gebsrmvn_2xn_kernelILj128ELj4ELj8EdEEvi20rocsparse_direction_NS_24const_host_device_scalarIT2_EEPKiS6_PKS3_S8_S4_PS3_21rocsparse_index_base_b.has_dyn_sized_stack, 0
	.set _ZN9rocsparseL19gebsrmvn_2xn_kernelILj128ELj4ELj8EdEEvi20rocsparse_direction_NS_24const_host_device_scalarIT2_EEPKiS6_PKS3_S8_S4_PS3_21rocsparse_index_base_b.has_recursion, 0
	.set _ZN9rocsparseL19gebsrmvn_2xn_kernelILj128ELj4ELj8EdEEvi20rocsparse_direction_NS_24const_host_device_scalarIT2_EEPKiS6_PKS3_S8_S4_PS3_21rocsparse_index_base_b.has_indirect_call, 0
	.section	.AMDGPU.csdata,"",@progbits
; Kernel info:
; codeLenInByte = 1192
; TotalNumSgprs: 20
; NumVgprs: 47
; ScratchSize: 0
; MemoryBound: 1
; FloatMode: 240
; IeeeMode: 1
; LDSByteSize: 0 bytes/workgroup (compile time only)
; SGPRBlocks: 2
; VGPRBlocks: 11
; NumSGPRsForWavesPerEU: 20
; NumVGPRsForWavesPerEU: 47
; Occupancy: 5
; WaveLimiterHint : 1
; COMPUTE_PGM_RSRC2:SCRATCH_EN: 0
; COMPUTE_PGM_RSRC2:USER_SGPR: 6
; COMPUTE_PGM_RSRC2:TRAP_HANDLER: 0
; COMPUTE_PGM_RSRC2:TGID_X_EN: 1
; COMPUTE_PGM_RSRC2:TGID_Y_EN: 0
; COMPUTE_PGM_RSRC2:TGID_Z_EN: 0
; COMPUTE_PGM_RSRC2:TIDIG_COMP_CNT: 0
	.section	.text._ZN9rocsparseL19gebsrmvn_2xn_kernelILj128ELj4ELj16EdEEvi20rocsparse_direction_NS_24const_host_device_scalarIT2_EEPKiS6_PKS3_S8_S4_PS3_21rocsparse_index_base_b,"axG",@progbits,_ZN9rocsparseL19gebsrmvn_2xn_kernelILj128ELj4ELj16EdEEvi20rocsparse_direction_NS_24const_host_device_scalarIT2_EEPKiS6_PKS3_S8_S4_PS3_21rocsparse_index_base_b,comdat
	.globl	_ZN9rocsparseL19gebsrmvn_2xn_kernelILj128ELj4ELj16EdEEvi20rocsparse_direction_NS_24const_host_device_scalarIT2_EEPKiS6_PKS3_S8_S4_PS3_21rocsparse_index_base_b ; -- Begin function _ZN9rocsparseL19gebsrmvn_2xn_kernelILj128ELj4ELj16EdEEvi20rocsparse_direction_NS_24const_host_device_scalarIT2_EEPKiS6_PKS3_S8_S4_PS3_21rocsparse_index_base_b
	.p2align	8
	.type	_ZN9rocsparseL19gebsrmvn_2xn_kernelILj128ELj4ELj16EdEEvi20rocsparse_direction_NS_24const_host_device_scalarIT2_EEPKiS6_PKS3_S8_S4_PS3_21rocsparse_index_base_b,@function
_ZN9rocsparseL19gebsrmvn_2xn_kernelILj128ELj4ELj16EdEEvi20rocsparse_direction_NS_24const_host_device_scalarIT2_EEPKiS6_PKS3_S8_S4_PS3_21rocsparse_index_base_b: ; @_ZN9rocsparseL19gebsrmvn_2xn_kernelILj128ELj4ELj16EdEEvi20rocsparse_direction_NS_24const_host_device_scalarIT2_EEPKiS6_PKS3_S8_S4_PS3_21rocsparse_index_base_b
; %bb.0:
	s_load_dwordx2 s[2:3], s[4:5], 0x40
	s_load_dwordx2 s[10:11], s[4:5], 0x8
	;; [unrolled: 1-line block ×3, first 2 shown]
	s_waitcnt lgkmcnt(0)
	s_bitcmp1_b32 s3, 0
	s_cselect_b64 s[12:13], -1, 0
	v_mov_b32_e32 v1, s10
	s_xor_b64 s[8:9], s[12:13], -1
	s_and_b64 vcc, exec, s[12:13]
	v_mov_b32_e32 v2, s11
	s_cbranch_vccnz .LBB88_2
; %bb.1:
	v_mov_b32_e32 v1, s10
	v_mov_b32_e32 v2, s11
	flat_load_dwordx2 v[1:2], v[1:2]
.LBB88_2:
	v_mov_b32_e32 v4, s1
	s_andn2_b64 vcc, exec, s[8:9]
	v_mov_b32_e32 v3, s0
	s_cbranch_vccnz .LBB88_4
; %bb.3:
	v_mov_b32_e32 v4, s1
	v_mov_b32_e32 v3, s0
	flat_load_dwordx2 v[3:4], v[3:4]
.LBB88_4:
	s_waitcnt vmcnt(0) lgkmcnt(0)
	v_cmp_neq_f64_e32 vcc, 0, v[1:2]
	v_cmp_neq_f64_e64 s[0:1], 1.0, v[3:4]
	s_or_b64 s[0:1], vcc, s[0:1]
	s_and_saveexec_b64 s[8:9], s[0:1]
	s_cbranch_execz .LBB88_23
; %bb.5:
	s_load_dwordx2 s[0:1], s[4:5], 0x0
	v_lshrrev_b32_e32 v5, 4, v0
	v_lshl_or_b32 v5, s6, 3, v5
	s_waitcnt lgkmcnt(0)
	v_cmp_gt_i32_e32 vcc, s0, v5
	s_and_b64 exec, exec, vcc
	s_cbranch_execz .LBB88_23
; %bb.6:
	s_load_dwordx8 s[8:15], s[4:5], 0x10
	v_ashrrev_i32_e32 v6, 31, v5
	v_lshlrev_b64 v[6:7], 2, v[5:6]
	v_and_b32_e32 v0, 15, v0
	s_cmp_lg_u32 s1, 0
	s_waitcnt lgkmcnt(0)
	v_mov_b32_e32 v8, s9
	v_add_co_u32_e32 v6, vcc, s8, v6
	v_addc_co_u32_e32 v7, vcc, v8, v7, vcc
	global_load_dwordx2 v[6:7], v[6:7], off
	s_waitcnt vmcnt(0)
	v_subrev_u32_e32 v6, s2, v6
	v_subrev_u32_e32 v16, s2, v7
	v_add_u32_e32 v6, v6, v0
	v_cmp_lt_i32_e64 s[0:1], v6, v16
	s_cbranch_scc0 .LBB88_12
; %bb.7:
	v_mov_b32_e32 v8, 0
	v_mov_b32_e32 v10, 0
	;; [unrolled: 1-line block ×4, first 2 shown]
	s_and_saveexec_b64 s[6:7], s[0:1]
	s_cbranch_execz .LBB88_11
; %bb.8:
	v_mov_b32_e32 v8, 0
	v_mov_b32_e32 v10, 0
	v_lshlrev_b32_e32 v12, 3, v6
	v_mov_b32_e32 v9, 0
	s_mov_b64 s[8:9], 0
	v_mov_b32_e32 v7, s11
	v_mov_b32_e32 v13, 0
	;; [unrolled: 1-line block ×6, first 2 shown]
.LBB88_9:                               ; =>This Inner Loop Header: Depth=1
	v_ashrrev_i32_e32 v15, 31, v14
	v_lshlrev_b64 v[19:20], 2, v[14:15]
	v_mov_b32_e32 v24, v13
	v_add_co_u32_e32 v19, vcc, s10, v19
	v_addc_co_u32_e32 v20, vcc, v7, v20, vcc
	global_load_dword v15, v[19:20], off
	v_lshlrev_b64 v[19:20], 3, v[12:13]
	v_add_u32_e32 v14, 16, v14
	v_add_co_u32_e32 v43, vcc, s12, v19
	v_addc_co_u32_e32 v44, vcc, v17, v20, vcc
	global_load_dwordx4 v[19:22], v[43:44], off
	v_add_u32_e32 v12, 0x80, v12
	s_waitcnt vmcnt(1)
	v_subrev_u32_e32 v15, s2, v15
	v_lshlrev_b32_e32 v23, 2, v15
	v_lshlrev_b64 v[23:24], 3, v[23:24]
	v_add_co_u32_e32 v45, vcc, s14, v23
	v_addc_co_u32_e32 v46, vcc, v18, v24, vcc
	global_load_dwordx4 v[23:26], v[45:46], off
	global_load_dwordx4 v[27:30], v[43:44], off offset:16
	global_load_dwordx4 v[31:34], v[43:44], off offset:32
	;; [unrolled: 1-line block ×4, first 2 shown]
	v_cmp_ge_i32_e32 vcc, v14, v16
	s_or_b64 s[8:9], vcc, s[8:9]
	s_waitcnt vmcnt(4)
	v_fma_f64 v[8:9], v[19:20], v[23:24], v[8:9]
	v_fma_f64 v[10:11], v[21:22], v[23:24], v[10:11]
	s_waitcnt vmcnt(3)
	v_fma_f64 v[8:9], v[27:28], v[25:26], v[8:9]
	v_fma_f64 v[10:11], v[29:30], v[25:26], v[10:11]
	;; [unrolled: 3-line block ×4, first 2 shown]
	s_andn2_b64 exec, exec, s[8:9]
	s_cbranch_execnz .LBB88_9
; %bb.10:
	s_or_b64 exec, exec, s[8:9]
.LBB88_11:
	s_or_b64 exec, exec, s[6:7]
	s_cbranch_execz .LBB88_13
	s_branch .LBB88_18
.LBB88_12:
                                        ; implicit-def: $vgpr8_vgpr9
                                        ; implicit-def: $vgpr10_vgpr11
.LBB88_13:
	v_mov_b32_e32 v8, 0
	v_mov_b32_e32 v10, 0
	v_mov_b32_e32 v9, 0
	v_mov_b32_e32 v11, 0
	s_and_saveexec_b64 s[6:7], s[0:1]
	s_cbranch_execz .LBB88_17
; %bb.14:
	v_mov_b32_e32 v8, 0
	v_mov_b32_e32 v10, 0
	v_lshlrev_b32_e32 v12, 3, v6
	v_mov_b32_e32 v9, 0
	s_mov_b64 s[0:1], 0
	v_mov_b32_e32 v14, s11
	v_mov_b32_e32 v13, 0
	;; [unrolled: 1-line block ×5, first 2 shown]
.LBB88_15:                              ; =>This Inner Loop Header: Depth=1
	v_lshlrev_b64 v[18:19], 3, v[12:13]
	v_ashrrev_i32_e32 v7, 31, v6
	v_lshlrev_b64 v[20:21], 2, v[6:7]
	v_add_co_u32_e32 v38, vcc, s12, v18
	v_addc_co_u32_e32 v39, vcc, v15, v19, vcc
	v_add_co_u32_e32 v28, vcc, s10, v20
	v_addc_co_u32_e32 v29, vcc, v14, v21, vcc
	global_load_dwordx4 v[18:21], v[38:39], off
	global_load_dwordx4 v[22:25], v[38:39], off offset:16
	global_load_dword v7, v[28:29], off
	v_mov_b32_e32 v27, v13
	v_add_u32_e32 v6, 16, v6
	v_add_u32_e32 v12, 0x80, v12
	s_waitcnt vmcnt(0)
	v_subrev_u32_e32 v7, s2, v7
	v_lshlrev_b32_e32 v26, 2, v7
	v_lshlrev_b64 v[26:27], 3, v[26:27]
	v_add_co_u32_e32 v34, vcc, s14, v26
	v_addc_co_u32_e32 v35, vcc, v17, v27, vcc
	global_load_dwordx4 v[26:29], v[34:35], off
	global_load_dwordx4 v[30:33], v[34:35], off offset:16
	v_cmp_ge_i32_e32 vcc, v6, v16
	s_or_b64 s[0:1], vcc, s[0:1]
	s_waitcnt vmcnt(1)
	v_fma_f64 v[7:8], v[18:19], v[26:27], v[8:9]
	v_fma_f64 v[7:8], v[20:21], v[28:29], v[7:8]
	global_load_dwordx4 v[18:21], v[38:39], off offset:32
	global_load_dwordx4 v[34:37], v[38:39], off offset:48
	s_waitcnt vmcnt(2)
	v_fma_f64 v[7:8], v[22:23], v[30:31], v[7:8]
	s_waitcnt vmcnt(1)
	v_fma_f64 v[9:10], v[18:19], v[26:27], v[10:11]
	v_fma_f64 v[9:10], v[20:21], v[28:29], v[9:10]
	s_waitcnt vmcnt(0)
	v_fma_f64 v[10:11], v[34:35], v[30:31], v[9:10]
	v_fma_f64 v[8:9], v[24:25], v[32:33], v[7:8]
	v_fma_f64 v[10:11], v[36:37], v[32:33], v[10:11]
	s_andn2_b64 exec, exec, s[0:1]
	s_cbranch_execnz .LBB88_15
; %bb.16:
	s_or_b64 exec, exec, s[0:1]
.LBB88_17:
	s_or_b64 exec, exec, s[6:7]
.LBB88_18:
	v_mov_b32_dpp v6, v8 row_shr:1 row_mask:0xf bank_mask:0xf
	v_mov_b32_dpp v7, v9 row_shr:1 row_mask:0xf bank_mask:0xf
	v_add_f64 v[6:7], v[8:9], v[6:7]
	v_mov_b32_dpp v8, v10 row_shr:1 row_mask:0xf bank_mask:0xf
	v_mov_b32_dpp v9, v11 row_shr:1 row_mask:0xf bank_mask:0xf
	v_add_f64 v[8:9], v[10:11], v[8:9]
	v_cmp_eq_u32_e32 vcc, 15, v0
	v_mov_b32_dpp v10, v6 row_shr:2 row_mask:0xf bank_mask:0xf
	v_mov_b32_dpp v11, v7 row_shr:2 row_mask:0xf bank_mask:0xf
	v_add_f64 v[6:7], v[6:7], v[10:11]
	v_mov_b32_dpp v12, v8 row_shr:2 row_mask:0xf bank_mask:0xf
	v_mov_b32_dpp v13, v9 row_shr:2 row_mask:0xf bank_mask:0xf
	v_add_f64 v[8:9], v[8:9], v[12:13]
	;; [unrolled: 3-line block ×4, first 2 shown]
	v_mov_b32_dpp v8, v6 row_shr:8 row_mask:0xf bank_mask:0xc
	v_mov_b32_dpp v9, v7 row_shr:8 row_mask:0xf bank_mask:0xc
	;; [unrolled: 1-line block ×4, first 2 shown]
	s_and_b64 exec, exec, vcc
	s_cbranch_execz .LBB88_23
; %bb.19:
	v_add_f64 v[8:9], v[6:7], v[8:9]
	v_add_f64 v[6:7], v[10:11], v[12:13]
	v_cmp_eq_f64_e32 vcc, 0, v[3:4]
	s_load_dwordx2 s[0:1], s[4:5], 0x38
	s_and_saveexec_b64 s[2:3], vcc
	s_xor_b64 s[2:3], exec, s[2:3]
	s_cbranch_execz .LBB88_21
; %bb.20:
	v_mul_f64 v[3:4], v[1:2], v[8:9]
	v_lshlrev_b32_e32 v0, 1, v5
	v_mul_f64 v[5:6], v[1:2], v[6:7]
	v_ashrrev_i32_e32 v1, 31, v0
	v_lshlrev_b64 v[0:1], 3, v[0:1]
	s_waitcnt lgkmcnt(0)
	v_mov_b32_e32 v2, s1
	v_add_co_u32_e32 v0, vcc, s0, v0
	v_addc_co_u32_e32 v1, vcc, v2, v1, vcc
	global_store_dwordx4 v[0:1], v[3:6], off
                                        ; implicit-def: $vgpr5
                                        ; implicit-def: $vgpr1_vgpr2
                                        ; implicit-def: $vgpr8_vgpr9
                                        ; implicit-def: $vgpr3_vgpr4
                                        ; implicit-def: $vgpr6_vgpr7
.LBB88_21:
	s_andn2_saveexec_b64 s[2:3], s[2:3]
	s_cbranch_execz .LBB88_23
; %bb.22:
	v_lshlrev_b32_e32 v10, 1, v5
	v_ashrrev_i32_e32 v11, 31, v10
	v_lshlrev_b64 v[10:11], 3, v[10:11]
	s_waitcnt lgkmcnt(0)
	v_mov_b32_e32 v0, s1
	v_add_co_u32_e32 v14, vcc, s0, v10
	v_addc_co_u32_e32 v15, vcc, v0, v11, vcc
	global_load_dwordx4 v[10:13], v[14:15], off
	v_mul_f64 v[8:9], v[1:2], v[8:9]
	v_mul_f64 v[5:6], v[1:2], v[6:7]
	s_waitcnt vmcnt(0)
	v_fma_f64 v[0:1], v[3:4], v[10:11], v[8:9]
	v_fma_f64 v[2:3], v[3:4], v[12:13], v[5:6]
	global_store_dwordx4 v[14:15], v[0:3], off
.LBB88_23:
	s_endpgm
	.section	.rodata,"a",@progbits
	.p2align	6, 0x0
	.amdhsa_kernel _ZN9rocsparseL19gebsrmvn_2xn_kernelILj128ELj4ELj16EdEEvi20rocsparse_direction_NS_24const_host_device_scalarIT2_EEPKiS6_PKS3_S8_S4_PS3_21rocsparse_index_base_b
		.amdhsa_group_segment_fixed_size 0
		.amdhsa_private_segment_fixed_size 0
		.amdhsa_kernarg_size 72
		.amdhsa_user_sgpr_count 6
		.amdhsa_user_sgpr_private_segment_buffer 1
		.amdhsa_user_sgpr_dispatch_ptr 0
		.amdhsa_user_sgpr_queue_ptr 0
		.amdhsa_user_sgpr_kernarg_segment_ptr 1
		.amdhsa_user_sgpr_dispatch_id 0
		.amdhsa_user_sgpr_flat_scratch_init 0
		.amdhsa_user_sgpr_private_segment_size 0
		.amdhsa_uses_dynamic_stack 0
		.amdhsa_system_sgpr_private_segment_wavefront_offset 0
		.amdhsa_system_sgpr_workgroup_id_x 1
		.amdhsa_system_sgpr_workgroup_id_y 0
		.amdhsa_system_sgpr_workgroup_id_z 0
		.amdhsa_system_sgpr_workgroup_info 0
		.amdhsa_system_vgpr_workitem_id 0
		.amdhsa_next_free_vgpr 47
		.amdhsa_next_free_sgpr 16
		.amdhsa_reserve_vcc 1
		.amdhsa_reserve_flat_scratch 0
		.amdhsa_float_round_mode_32 0
		.amdhsa_float_round_mode_16_64 0
		.amdhsa_float_denorm_mode_32 3
		.amdhsa_float_denorm_mode_16_64 3
		.amdhsa_dx10_clamp 1
		.amdhsa_ieee_mode 1
		.amdhsa_fp16_overflow 0
		.amdhsa_exception_fp_ieee_invalid_op 0
		.amdhsa_exception_fp_denorm_src 0
		.amdhsa_exception_fp_ieee_div_zero 0
		.amdhsa_exception_fp_ieee_overflow 0
		.amdhsa_exception_fp_ieee_underflow 0
		.amdhsa_exception_fp_ieee_inexact 0
		.amdhsa_exception_int_div_zero 0
	.end_amdhsa_kernel
	.section	.text._ZN9rocsparseL19gebsrmvn_2xn_kernelILj128ELj4ELj16EdEEvi20rocsparse_direction_NS_24const_host_device_scalarIT2_EEPKiS6_PKS3_S8_S4_PS3_21rocsparse_index_base_b,"axG",@progbits,_ZN9rocsparseL19gebsrmvn_2xn_kernelILj128ELj4ELj16EdEEvi20rocsparse_direction_NS_24const_host_device_scalarIT2_EEPKiS6_PKS3_S8_S4_PS3_21rocsparse_index_base_b,comdat
.Lfunc_end88:
	.size	_ZN9rocsparseL19gebsrmvn_2xn_kernelILj128ELj4ELj16EdEEvi20rocsparse_direction_NS_24const_host_device_scalarIT2_EEPKiS6_PKS3_S8_S4_PS3_21rocsparse_index_base_b, .Lfunc_end88-_ZN9rocsparseL19gebsrmvn_2xn_kernelILj128ELj4ELj16EdEEvi20rocsparse_direction_NS_24const_host_device_scalarIT2_EEPKiS6_PKS3_S8_S4_PS3_21rocsparse_index_base_b
                                        ; -- End function
	.set _ZN9rocsparseL19gebsrmvn_2xn_kernelILj128ELj4ELj16EdEEvi20rocsparse_direction_NS_24const_host_device_scalarIT2_EEPKiS6_PKS3_S8_S4_PS3_21rocsparse_index_base_b.num_vgpr, 47
	.set _ZN9rocsparseL19gebsrmvn_2xn_kernelILj128ELj4ELj16EdEEvi20rocsparse_direction_NS_24const_host_device_scalarIT2_EEPKiS6_PKS3_S8_S4_PS3_21rocsparse_index_base_b.num_agpr, 0
	.set _ZN9rocsparseL19gebsrmvn_2xn_kernelILj128ELj4ELj16EdEEvi20rocsparse_direction_NS_24const_host_device_scalarIT2_EEPKiS6_PKS3_S8_S4_PS3_21rocsparse_index_base_b.numbered_sgpr, 16
	.set _ZN9rocsparseL19gebsrmvn_2xn_kernelILj128ELj4ELj16EdEEvi20rocsparse_direction_NS_24const_host_device_scalarIT2_EEPKiS6_PKS3_S8_S4_PS3_21rocsparse_index_base_b.num_named_barrier, 0
	.set _ZN9rocsparseL19gebsrmvn_2xn_kernelILj128ELj4ELj16EdEEvi20rocsparse_direction_NS_24const_host_device_scalarIT2_EEPKiS6_PKS3_S8_S4_PS3_21rocsparse_index_base_b.private_seg_size, 0
	.set _ZN9rocsparseL19gebsrmvn_2xn_kernelILj128ELj4ELj16EdEEvi20rocsparse_direction_NS_24const_host_device_scalarIT2_EEPKiS6_PKS3_S8_S4_PS3_21rocsparse_index_base_b.uses_vcc, 1
	.set _ZN9rocsparseL19gebsrmvn_2xn_kernelILj128ELj4ELj16EdEEvi20rocsparse_direction_NS_24const_host_device_scalarIT2_EEPKiS6_PKS3_S8_S4_PS3_21rocsparse_index_base_b.uses_flat_scratch, 0
	.set _ZN9rocsparseL19gebsrmvn_2xn_kernelILj128ELj4ELj16EdEEvi20rocsparse_direction_NS_24const_host_device_scalarIT2_EEPKiS6_PKS3_S8_S4_PS3_21rocsparse_index_base_b.has_dyn_sized_stack, 0
	.set _ZN9rocsparseL19gebsrmvn_2xn_kernelILj128ELj4ELj16EdEEvi20rocsparse_direction_NS_24const_host_device_scalarIT2_EEPKiS6_PKS3_S8_S4_PS3_21rocsparse_index_base_b.has_recursion, 0
	.set _ZN9rocsparseL19gebsrmvn_2xn_kernelILj128ELj4ELj16EdEEvi20rocsparse_direction_NS_24const_host_device_scalarIT2_EEPKiS6_PKS3_S8_S4_PS3_21rocsparse_index_base_b.has_indirect_call, 0
	.section	.AMDGPU.csdata,"",@progbits
; Kernel info:
; codeLenInByte = 1248
; TotalNumSgprs: 20
; NumVgprs: 47
; ScratchSize: 0
; MemoryBound: 1
; FloatMode: 240
; IeeeMode: 1
; LDSByteSize: 0 bytes/workgroup (compile time only)
; SGPRBlocks: 2
; VGPRBlocks: 11
; NumSGPRsForWavesPerEU: 20
; NumVGPRsForWavesPerEU: 47
; Occupancy: 5
; WaveLimiterHint : 1
; COMPUTE_PGM_RSRC2:SCRATCH_EN: 0
; COMPUTE_PGM_RSRC2:USER_SGPR: 6
; COMPUTE_PGM_RSRC2:TRAP_HANDLER: 0
; COMPUTE_PGM_RSRC2:TGID_X_EN: 1
; COMPUTE_PGM_RSRC2:TGID_Y_EN: 0
; COMPUTE_PGM_RSRC2:TGID_Z_EN: 0
; COMPUTE_PGM_RSRC2:TIDIG_COMP_CNT: 0
	.section	.text._ZN9rocsparseL19gebsrmvn_2xn_kernelILj128ELj4ELj32EdEEvi20rocsparse_direction_NS_24const_host_device_scalarIT2_EEPKiS6_PKS3_S8_S4_PS3_21rocsparse_index_base_b,"axG",@progbits,_ZN9rocsparseL19gebsrmvn_2xn_kernelILj128ELj4ELj32EdEEvi20rocsparse_direction_NS_24const_host_device_scalarIT2_EEPKiS6_PKS3_S8_S4_PS3_21rocsparse_index_base_b,comdat
	.globl	_ZN9rocsparseL19gebsrmvn_2xn_kernelILj128ELj4ELj32EdEEvi20rocsparse_direction_NS_24const_host_device_scalarIT2_EEPKiS6_PKS3_S8_S4_PS3_21rocsparse_index_base_b ; -- Begin function _ZN9rocsparseL19gebsrmvn_2xn_kernelILj128ELj4ELj32EdEEvi20rocsparse_direction_NS_24const_host_device_scalarIT2_EEPKiS6_PKS3_S8_S4_PS3_21rocsparse_index_base_b
	.p2align	8
	.type	_ZN9rocsparseL19gebsrmvn_2xn_kernelILj128ELj4ELj32EdEEvi20rocsparse_direction_NS_24const_host_device_scalarIT2_EEPKiS6_PKS3_S8_S4_PS3_21rocsparse_index_base_b,@function
_ZN9rocsparseL19gebsrmvn_2xn_kernelILj128ELj4ELj32EdEEvi20rocsparse_direction_NS_24const_host_device_scalarIT2_EEPKiS6_PKS3_S8_S4_PS3_21rocsparse_index_base_b: ; @_ZN9rocsparseL19gebsrmvn_2xn_kernelILj128ELj4ELj32EdEEvi20rocsparse_direction_NS_24const_host_device_scalarIT2_EEPKiS6_PKS3_S8_S4_PS3_21rocsparse_index_base_b
; %bb.0:
	s_load_dwordx2 s[2:3], s[4:5], 0x40
	s_load_dwordx2 s[10:11], s[4:5], 0x8
	;; [unrolled: 1-line block ×3, first 2 shown]
	s_waitcnt lgkmcnt(0)
	s_bitcmp1_b32 s3, 0
	s_cselect_b64 s[12:13], -1, 0
	v_mov_b32_e32 v1, s10
	s_xor_b64 s[8:9], s[12:13], -1
	s_and_b64 vcc, exec, s[12:13]
	v_mov_b32_e32 v2, s11
	s_cbranch_vccnz .LBB89_2
; %bb.1:
	v_mov_b32_e32 v1, s10
	v_mov_b32_e32 v2, s11
	flat_load_dwordx2 v[1:2], v[1:2]
.LBB89_2:
	v_mov_b32_e32 v4, s1
	s_andn2_b64 vcc, exec, s[8:9]
	v_mov_b32_e32 v3, s0
	s_cbranch_vccnz .LBB89_4
; %bb.3:
	v_mov_b32_e32 v4, s1
	v_mov_b32_e32 v3, s0
	flat_load_dwordx2 v[3:4], v[3:4]
.LBB89_4:
	s_waitcnt vmcnt(0) lgkmcnt(0)
	v_cmp_neq_f64_e32 vcc, 0, v[1:2]
	v_cmp_neq_f64_e64 s[0:1], 1.0, v[3:4]
	s_or_b64 s[0:1], vcc, s[0:1]
	s_and_saveexec_b64 s[8:9], s[0:1]
	s_cbranch_execz .LBB89_23
; %bb.5:
	s_load_dwordx2 s[0:1], s[4:5], 0x0
	v_lshrrev_b32_e32 v5, 5, v0
	v_lshl_or_b32 v5, s6, 2, v5
	s_waitcnt lgkmcnt(0)
	v_cmp_gt_i32_e32 vcc, s0, v5
	s_and_b64 exec, exec, vcc
	s_cbranch_execz .LBB89_23
; %bb.6:
	s_load_dwordx8 s[8:15], s[4:5], 0x10
	v_ashrrev_i32_e32 v6, 31, v5
	v_lshlrev_b64 v[6:7], 2, v[5:6]
	v_and_b32_e32 v0, 31, v0
	s_cmp_lg_u32 s1, 0
	s_waitcnt lgkmcnt(0)
	v_mov_b32_e32 v8, s9
	v_add_co_u32_e32 v6, vcc, s8, v6
	v_addc_co_u32_e32 v7, vcc, v8, v7, vcc
	global_load_dwordx2 v[6:7], v[6:7], off
	s_waitcnt vmcnt(0)
	v_subrev_u32_e32 v6, s2, v6
	v_subrev_u32_e32 v16, s2, v7
	v_add_u32_e32 v6, v6, v0
	v_cmp_lt_i32_e64 s[0:1], v6, v16
	s_cbranch_scc0 .LBB89_12
; %bb.7:
	v_mov_b32_e32 v10, 0
	v_mov_b32_e32 v8, 0
	;; [unrolled: 1-line block ×4, first 2 shown]
	s_and_saveexec_b64 s[6:7], s[0:1]
	s_cbranch_execz .LBB89_11
; %bb.8:
	v_mov_b32_e32 v10, 0
	v_mov_b32_e32 v8, 0
	v_lshlrev_b32_e32 v12, 3, v6
	v_mov_b32_e32 v11, 0
	s_mov_b64 s[8:9], 0
	v_mov_b32_e32 v7, s11
	v_mov_b32_e32 v13, 0
	;; [unrolled: 1-line block ×6, first 2 shown]
.LBB89_9:                               ; =>This Inner Loop Header: Depth=1
	v_ashrrev_i32_e32 v15, 31, v14
	v_lshlrev_b64 v[19:20], 2, v[14:15]
	v_mov_b32_e32 v24, v13
	v_add_co_u32_e32 v19, vcc, s10, v19
	v_addc_co_u32_e32 v20, vcc, v7, v20, vcc
	global_load_dword v15, v[19:20], off
	v_lshlrev_b64 v[19:20], 3, v[12:13]
	v_add_u32_e32 v14, 32, v14
	v_add_co_u32_e32 v43, vcc, s12, v19
	v_addc_co_u32_e32 v44, vcc, v17, v20, vcc
	global_load_dwordx4 v[19:22], v[43:44], off
	v_add_u32_e32 v12, 0x100, v12
	s_waitcnt vmcnt(1)
	v_subrev_u32_e32 v15, s2, v15
	v_lshlrev_b32_e32 v23, 2, v15
	v_lshlrev_b64 v[23:24], 3, v[23:24]
	v_add_co_u32_e32 v45, vcc, s14, v23
	v_addc_co_u32_e32 v46, vcc, v18, v24, vcc
	global_load_dwordx4 v[23:26], v[45:46], off
	global_load_dwordx4 v[27:30], v[43:44], off offset:16
	global_load_dwordx4 v[31:34], v[43:44], off offset:32
	;; [unrolled: 1-line block ×4, first 2 shown]
	v_cmp_ge_i32_e32 vcc, v14, v16
	s_or_b64 s[8:9], vcc, s[8:9]
	s_waitcnt vmcnt(4)
	v_fma_f64 v[10:11], v[19:20], v[23:24], v[10:11]
	v_fma_f64 v[8:9], v[21:22], v[23:24], v[8:9]
	s_waitcnt vmcnt(3)
	v_fma_f64 v[10:11], v[27:28], v[25:26], v[10:11]
	v_fma_f64 v[8:9], v[29:30], v[25:26], v[8:9]
	;; [unrolled: 3-line block ×4, first 2 shown]
	s_andn2_b64 exec, exec, s[8:9]
	s_cbranch_execnz .LBB89_9
; %bb.10:
	s_or_b64 exec, exec, s[8:9]
.LBB89_11:
	s_or_b64 exec, exec, s[6:7]
	s_cbranch_execz .LBB89_13
	s_branch .LBB89_18
.LBB89_12:
                                        ; implicit-def: $vgpr10_vgpr11
                                        ; implicit-def: $vgpr8_vgpr9
.LBB89_13:
	v_mov_b32_e32 v10, 0
	v_mov_b32_e32 v8, 0
	;; [unrolled: 1-line block ×4, first 2 shown]
	s_and_saveexec_b64 s[6:7], s[0:1]
	s_cbranch_execz .LBB89_17
; %bb.14:
	v_mov_b32_e32 v10, 0
	v_mov_b32_e32 v8, 0
	v_lshlrev_b32_e32 v12, 3, v6
	v_mov_b32_e32 v11, 0
	s_mov_b64 s[0:1], 0
	v_mov_b32_e32 v14, s11
	v_mov_b32_e32 v13, 0
	;; [unrolled: 1-line block ×5, first 2 shown]
.LBB89_15:                              ; =>This Inner Loop Header: Depth=1
	v_lshlrev_b64 v[18:19], 3, v[12:13]
	v_ashrrev_i32_e32 v7, 31, v6
	v_lshlrev_b64 v[20:21], 2, v[6:7]
	v_add_co_u32_e32 v38, vcc, s12, v18
	v_addc_co_u32_e32 v39, vcc, v15, v19, vcc
	v_add_co_u32_e32 v28, vcc, s10, v20
	v_addc_co_u32_e32 v29, vcc, v14, v21, vcc
	global_load_dwordx4 v[18:21], v[38:39], off
	global_load_dwordx4 v[22:25], v[38:39], off offset:16
	global_load_dword v7, v[28:29], off
	v_mov_b32_e32 v27, v13
	v_add_u32_e32 v6, 32, v6
	v_add_u32_e32 v12, 0x100, v12
	s_waitcnt vmcnt(0)
	v_subrev_u32_e32 v7, s2, v7
	v_lshlrev_b32_e32 v26, 2, v7
	v_lshlrev_b64 v[26:27], 3, v[26:27]
	v_add_co_u32_e32 v34, vcc, s14, v26
	v_addc_co_u32_e32 v35, vcc, v17, v27, vcc
	global_load_dwordx4 v[26:29], v[34:35], off
	global_load_dwordx4 v[30:33], v[34:35], off offset:16
	v_cmp_ge_i32_e32 vcc, v6, v16
	s_or_b64 s[0:1], vcc, s[0:1]
	s_waitcnt vmcnt(1)
	v_fma_f64 v[10:11], v[18:19], v[26:27], v[10:11]
	v_fma_f64 v[10:11], v[20:21], v[28:29], v[10:11]
	global_load_dwordx4 v[18:21], v[38:39], off offset:32
	global_load_dwordx4 v[34:37], v[38:39], off offset:48
	s_waitcnt vmcnt(1)
	v_fma_f64 v[7:8], v[18:19], v[26:27], v[8:9]
	v_fma_f64 v[9:10], v[22:23], v[30:31], v[10:11]
	;; [unrolled: 1-line block ×4, first 2 shown]
	s_waitcnt vmcnt(0)
	v_fma_f64 v[7:8], v[34:35], v[30:31], v[7:8]
	v_fma_f64 v[8:9], v[36:37], v[32:33], v[7:8]
	s_andn2_b64 exec, exec, s[0:1]
	s_cbranch_execnz .LBB89_15
; %bb.16:
	s_or_b64 exec, exec, s[0:1]
.LBB89_17:
	s_or_b64 exec, exec, s[6:7]
.LBB89_18:
	v_mov_b32_dpp v6, v10 row_shr:1 row_mask:0xf bank_mask:0xf
	v_mov_b32_dpp v7, v11 row_shr:1 row_mask:0xf bank_mask:0xf
	v_add_f64 v[6:7], v[10:11], v[6:7]
	v_mov_b32_dpp v10, v8 row_shr:1 row_mask:0xf bank_mask:0xf
	v_mov_b32_dpp v11, v9 row_shr:1 row_mask:0xf bank_mask:0xf
	v_add_f64 v[8:9], v[8:9], v[10:11]
	v_cmp_eq_u32_e32 vcc, 31, v0
	v_mov_b32_dpp v10, v6 row_shr:2 row_mask:0xf bank_mask:0xf
	v_mov_b32_dpp v11, v7 row_shr:2 row_mask:0xf bank_mask:0xf
	v_add_f64 v[6:7], v[6:7], v[10:11]
	v_mov_b32_dpp v12, v8 row_shr:2 row_mask:0xf bank_mask:0xf
	v_mov_b32_dpp v13, v9 row_shr:2 row_mask:0xf bank_mask:0xf
	v_add_f64 v[8:9], v[8:9], v[12:13]
	;; [unrolled: 3-line block ×6, first 2 shown]
	v_mov_b32_dpp v8, v6 row_bcast:15 row_mask:0xa bank_mask:0xf
	v_mov_b32_dpp v9, v7 row_bcast:15 row_mask:0xa bank_mask:0xf
	;; [unrolled: 1-line block ×4, first 2 shown]
	s_and_b64 exec, exec, vcc
	s_cbranch_execz .LBB89_23
; %bb.19:
	v_add_f64 v[8:9], v[6:7], v[8:9]
	v_add_f64 v[6:7], v[10:11], v[12:13]
	v_cmp_eq_f64_e32 vcc, 0, v[3:4]
	s_load_dwordx2 s[0:1], s[4:5], 0x38
	s_and_saveexec_b64 s[2:3], vcc
	s_xor_b64 s[2:3], exec, s[2:3]
	s_cbranch_execz .LBB89_21
; %bb.20:
	v_mul_f64 v[3:4], v[1:2], v[8:9]
	v_lshlrev_b32_e32 v0, 1, v5
	v_mul_f64 v[5:6], v[1:2], v[6:7]
	v_ashrrev_i32_e32 v1, 31, v0
	v_lshlrev_b64 v[0:1], 3, v[0:1]
	s_waitcnt lgkmcnt(0)
	v_mov_b32_e32 v2, s1
	v_add_co_u32_e32 v0, vcc, s0, v0
	v_addc_co_u32_e32 v1, vcc, v2, v1, vcc
	global_store_dwordx4 v[0:1], v[3:6], off
                                        ; implicit-def: $vgpr5
                                        ; implicit-def: $vgpr1_vgpr2
                                        ; implicit-def: $vgpr8_vgpr9
                                        ; implicit-def: $vgpr3_vgpr4
                                        ; implicit-def: $vgpr6_vgpr7
.LBB89_21:
	s_andn2_saveexec_b64 s[2:3], s[2:3]
	s_cbranch_execz .LBB89_23
; %bb.22:
	v_lshlrev_b32_e32 v10, 1, v5
	v_ashrrev_i32_e32 v11, 31, v10
	v_lshlrev_b64 v[10:11], 3, v[10:11]
	s_waitcnt lgkmcnt(0)
	v_mov_b32_e32 v0, s1
	v_add_co_u32_e32 v14, vcc, s0, v10
	v_addc_co_u32_e32 v15, vcc, v0, v11, vcc
	global_load_dwordx4 v[10:13], v[14:15], off
	v_mul_f64 v[8:9], v[1:2], v[8:9]
	v_mul_f64 v[5:6], v[1:2], v[6:7]
	s_waitcnt vmcnt(0)
	v_fma_f64 v[0:1], v[3:4], v[10:11], v[8:9]
	v_fma_f64 v[2:3], v[3:4], v[12:13], v[5:6]
	global_store_dwordx4 v[14:15], v[0:3], off
.LBB89_23:
	s_endpgm
	.section	.rodata,"a",@progbits
	.p2align	6, 0x0
	.amdhsa_kernel _ZN9rocsparseL19gebsrmvn_2xn_kernelILj128ELj4ELj32EdEEvi20rocsparse_direction_NS_24const_host_device_scalarIT2_EEPKiS6_PKS3_S8_S4_PS3_21rocsparse_index_base_b
		.amdhsa_group_segment_fixed_size 0
		.amdhsa_private_segment_fixed_size 0
		.amdhsa_kernarg_size 72
		.amdhsa_user_sgpr_count 6
		.amdhsa_user_sgpr_private_segment_buffer 1
		.amdhsa_user_sgpr_dispatch_ptr 0
		.amdhsa_user_sgpr_queue_ptr 0
		.amdhsa_user_sgpr_kernarg_segment_ptr 1
		.amdhsa_user_sgpr_dispatch_id 0
		.amdhsa_user_sgpr_flat_scratch_init 0
		.amdhsa_user_sgpr_private_segment_size 0
		.amdhsa_uses_dynamic_stack 0
		.amdhsa_system_sgpr_private_segment_wavefront_offset 0
		.amdhsa_system_sgpr_workgroup_id_x 1
		.amdhsa_system_sgpr_workgroup_id_y 0
		.amdhsa_system_sgpr_workgroup_id_z 0
		.amdhsa_system_sgpr_workgroup_info 0
		.amdhsa_system_vgpr_workitem_id 0
		.amdhsa_next_free_vgpr 47
		.amdhsa_next_free_sgpr 16
		.amdhsa_reserve_vcc 1
		.amdhsa_reserve_flat_scratch 0
		.amdhsa_float_round_mode_32 0
		.amdhsa_float_round_mode_16_64 0
		.amdhsa_float_denorm_mode_32 3
		.amdhsa_float_denorm_mode_16_64 3
		.amdhsa_dx10_clamp 1
		.amdhsa_ieee_mode 1
		.amdhsa_fp16_overflow 0
		.amdhsa_exception_fp_ieee_invalid_op 0
		.amdhsa_exception_fp_denorm_src 0
		.amdhsa_exception_fp_ieee_div_zero 0
		.amdhsa_exception_fp_ieee_overflow 0
		.amdhsa_exception_fp_ieee_underflow 0
		.amdhsa_exception_fp_ieee_inexact 0
		.amdhsa_exception_int_div_zero 0
	.end_amdhsa_kernel
	.section	.text._ZN9rocsparseL19gebsrmvn_2xn_kernelILj128ELj4ELj32EdEEvi20rocsparse_direction_NS_24const_host_device_scalarIT2_EEPKiS6_PKS3_S8_S4_PS3_21rocsparse_index_base_b,"axG",@progbits,_ZN9rocsparseL19gebsrmvn_2xn_kernelILj128ELj4ELj32EdEEvi20rocsparse_direction_NS_24const_host_device_scalarIT2_EEPKiS6_PKS3_S8_S4_PS3_21rocsparse_index_base_b,comdat
.Lfunc_end89:
	.size	_ZN9rocsparseL19gebsrmvn_2xn_kernelILj128ELj4ELj32EdEEvi20rocsparse_direction_NS_24const_host_device_scalarIT2_EEPKiS6_PKS3_S8_S4_PS3_21rocsparse_index_base_b, .Lfunc_end89-_ZN9rocsparseL19gebsrmvn_2xn_kernelILj128ELj4ELj32EdEEvi20rocsparse_direction_NS_24const_host_device_scalarIT2_EEPKiS6_PKS3_S8_S4_PS3_21rocsparse_index_base_b
                                        ; -- End function
	.set _ZN9rocsparseL19gebsrmvn_2xn_kernelILj128ELj4ELj32EdEEvi20rocsparse_direction_NS_24const_host_device_scalarIT2_EEPKiS6_PKS3_S8_S4_PS3_21rocsparse_index_base_b.num_vgpr, 47
	.set _ZN9rocsparseL19gebsrmvn_2xn_kernelILj128ELj4ELj32EdEEvi20rocsparse_direction_NS_24const_host_device_scalarIT2_EEPKiS6_PKS3_S8_S4_PS3_21rocsparse_index_base_b.num_agpr, 0
	.set _ZN9rocsparseL19gebsrmvn_2xn_kernelILj128ELj4ELj32EdEEvi20rocsparse_direction_NS_24const_host_device_scalarIT2_EEPKiS6_PKS3_S8_S4_PS3_21rocsparse_index_base_b.numbered_sgpr, 16
	.set _ZN9rocsparseL19gebsrmvn_2xn_kernelILj128ELj4ELj32EdEEvi20rocsparse_direction_NS_24const_host_device_scalarIT2_EEPKiS6_PKS3_S8_S4_PS3_21rocsparse_index_base_b.num_named_barrier, 0
	.set _ZN9rocsparseL19gebsrmvn_2xn_kernelILj128ELj4ELj32EdEEvi20rocsparse_direction_NS_24const_host_device_scalarIT2_EEPKiS6_PKS3_S8_S4_PS3_21rocsparse_index_base_b.private_seg_size, 0
	.set _ZN9rocsparseL19gebsrmvn_2xn_kernelILj128ELj4ELj32EdEEvi20rocsparse_direction_NS_24const_host_device_scalarIT2_EEPKiS6_PKS3_S8_S4_PS3_21rocsparse_index_base_b.uses_vcc, 1
	.set _ZN9rocsparseL19gebsrmvn_2xn_kernelILj128ELj4ELj32EdEEvi20rocsparse_direction_NS_24const_host_device_scalarIT2_EEPKiS6_PKS3_S8_S4_PS3_21rocsparse_index_base_b.uses_flat_scratch, 0
	.set _ZN9rocsparseL19gebsrmvn_2xn_kernelILj128ELj4ELj32EdEEvi20rocsparse_direction_NS_24const_host_device_scalarIT2_EEPKiS6_PKS3_S8_S4_PS3_21rocsparse_index_base_b.has_dyn_sized_stack, 0
	.set _ZN9rocsparseL19gebsrmvn_2xn_kernelILj128ELj4ELj32EdEEvi20rocsparse_direction_NS_24const_host_device_scalarIT2_EEPKiS6_PKS3_S8_S4_PS3_21rocsparse_index_base_b.has_recursion, 0
	.set _ZN9rocsparseL19gebsrmvn_2xn_kernelILj128ELj4ELj32EdEEvi20rocsparse_direction_NS_24const_host_device_scalarIT2_EEPKiS6_PKS3_S8_S4_PS3_21rocsparse_index_base_b.has_indirect_call, 0
	.section	.AMDGPU.csdata,"",@progbits
; Kernel info:
; codeLenInByte = 1292
; TotalNumSgprs: 20
; NumVgprs: 47
; ScratchSize: 0
; MemoryBound: 1
; FloatMode: 240
; IeeeMode: 1
; LDSByteSize: 0 bytes/workgroup (compile time only)
; SGPRBlocks: 2
; VGPRBlocks: 11
; NumSGPRsForWavesPerEU: 20
; NumVGPRsForWavesPerEU: 47
; Occupancy: 5
; WaveLimiterHint : 1
; COMPUTE_PGM_RSRC2:SCRATCH_EN: 0
; COMPUTE_PGM_RSRC2:USER_SGPR: 6
; COMPUTE_PGM_RSRC2:TRAP_HANDLER: 0
; COMPUTE_PGM_RSRC2:TGID_X_EN: 1
; COMPUTE_PGM_RSRC2:TGID_Y_EN: 0
; COMPUTE_PGM_RSRC2:TGID_Z_EN: 0
; COMPUTE_PGM_RSRC2:TIDIG_COMP_CNT: 0
	.section	.text._ZN9rocsparseL19gebsrmvn_2xn_kernelILj128ELj4ELj64EdEEvi20rocsparse_direction_NS_24const_host_device_scalarIT2_EEPKiS6_PKS3_S8_S4_PS3_21rocsparse_index_base_b,"axG",@progbits,_ZN9rocsparseL19gebsrmvn_2xn_kernelILj128ELj4ELj64EdEEvi20rocsparse_direction_NS_24const_host_device_scalarIT2_EEPKiS6_PKS3_S8_S4_PS3_21rocsparse_index_base_b,comdat
	.globl	_ZN9rocsparseL19gebsrmvn_2xn_kernelILj128ELj4ELj64EdEEvi20rocsparse_direction_NS_24const_host_device_scalarIT2_EEPKiS6_PKS3_S8_S4_PS3_21rocsparse_index_base_b ; -- Begin function _ZN9rocsparseL19gebsrmvn_2xn_kernelILj128ELj4ELj64EdEEvi20rocsparse_direction_NS_24const_host_device_scalarIT2_EEPKiS6_PKS3_S8_S4_PS3_21rocsparse_index_base_b
	.p2align	8
	.type	_ZN9rocsparseL19gebsrmvn_2xn_kernelILj128ELj4ELj64EdEEvi20rocsparse_direction_NS_24const_host_device_scalarIT2_EEPKiS6_PKS3_S8_S4_PS3_21rocsparse_index_base_b,@function
_ZN9rocsparseL19gebsrmvn_2xn_kernelILj128ELj4ELj64EdEEvi20rocsparse_direction_NS_24const_host_device_scalarIT2_EEPKiS6_PKS3_S8_S4_PS3_21rocsparse_index_base_b: ; @_ZN9rocsparseL19gebsrmvn_2xn_kernelILj128ELj4ELj64EdEEvi20rocsparse_direction_NS_24const_host_device_scalarIT2_EEPKiS6_PKS3_S8_S4_PS3_21rocsparse_index_base_b
; %bb.0:
	s_load_dwordx2 s[2:3], s[4:5], 0x40
	s_load_dwordx2 s[10:11], s[4:5], 0x8
	;; [unrolled: 1-line block ×3, first 2 shown]
	s_waitcnt lgkmcnt(0)
	s_bitcmp1_b32 s3, 0
	s_cselect_b64 s[12:13], -1, 0
	v_mov_b32_e32 v1, s10
	s_xor_b64 s[8:9], s[12:13], -1
	s_and_b64 vcc, exec, s[12:13]
	v_mov_b32_e32 v2, s11
	s_cbranch_vccnz .LBB90_2
; %bb.1:
	v_mov_b32_e32 v1, s10
	v_mov_b32_e32 v2, s11
	flat_load_dwordx2 v[1:2], v[1:2]
.LBB90_2:
	v_mov_b32_e32 v4, s1
	s_andn2_b64 vcc, exec, s[8:9]
	v_mov_b32_e32 v3, s0
	s_cbranch_vccnz .LBB90_4
; %bb.3:
	v_mov_b32_e32 v4, s1
	v_mov_b32_e32 v3, s0
	flat_load_dwordx2 v[3:4], v[3:4]
.LBB90_4:
	s_waitcnt vmcnt(0) lgkmcnt(0)
	v_cmp_neq_f64_e32 vcc, 0, v[1:2]
	v_cmp_neq_f64_e64 s[0:1], 1.0, v[3:4]
	s_or_b64 s[0:1], vcc, s[0:1]
	s_and_saveexec_b64 s[8:9], s[0:1]
	s_cbranch_execz .LBB90_23
; %bb.5:
	s_load_dwordx2 s[0:1], s[4:5], 0x0
	v_lshrrev_b32_e32 v5, 6, v0
	v_lshl_or_b32 v5, s6, 1, v5
	s_waitcnt lgkmcnt(0)
	v_cmp_gt_i32_e32 vcc, s0, v5
	s_and_b64 exec, exec, vcc
	s_cbranch_execz .LBB90_23
; %bb.6:
	s_load_dwordx8 s[8:15], s[4:5], 0x10
	v_ashrrev_i32_e32 v6, 31, v5
	v_lshlrev_b64 v[6:7], 2, v[5:6]
	v_and_b32_e32 v0, 63, v0
	s_cmp_lg_u32 s1, 0
	s_waitcnt lgkmcnt(0)
	v_mov_b32_e32 v8, s9
	v_add_co_u32_e32 v6, vcc, s8, v6
	v_addc_co_u32_e32 v7, vcc, v8, v7, vcc
	global_load_dwordx2 v[6:7], v[6:7], off
	s_waitcnt vmcnt(0)
	v_subrev_u32_e32 v6, s2, v6
	v_subrev_u32_e32 v16, s2, v7
	v_add_u32_e32 v6, v6, v0
	v_cmp_lt_i32_e64 s[0:1], v6, v16
	s_cbranch_scc0 .LBB90_12
; %bb.7:
	v_mov_b32_e32 v10, 0
	v_mov_b32_e32 v8, 0
	;; [unrolled: 1-line block ×4, first 2 shown]
	s_and_saveexec_b64 s[6:7], s[0:1]
	s_cbranch_execz .LBB90_11
; %bb.8:
	v_mov_b32_e32 v10, 0
	v_mov_b32_e32 v8, 0
	v_lshlrev_b32_e32 v12, 3, v6
	v_mov_b32_e32 v11, 0
	s_mov_b64 s[8:9], 0
	v_mov_b32_e32 v7, s11
	v_mov_b32_e32 v13, 0
	;; [unrolled: 1-line block ×6, first 2 shown]
.LBB90_9:                               ; =>This Inner Loop Header: Depth=1
	v_ashrrev_i32_e32 v15, 31, v14
	v_lshlrev_b64 v[19:20], 2, v[14:15]
	v_mov_b32_e32 v24, v13
	v_add_co_u32_e32 v19, vcc, s10, v19
	v_addc_co_u32_e32 v20, vcc, v7, v20, vcc
	global_load_dword v15, v[19:20], off
	v_lshlrev_b64 v[19:20], 3, v[12:13]
	v_add_u32_e32 v14, 64, v14
	v_add_co_u32_e32 v43, vcc, s12, v19
	v_addc_co_u32_e32 v44, vcc, v17, v20, vcc
	global_load_dwordx4 v[19:22], v[43:44], off
	v_add_u32_e32 v12, 0x200, v12
	s_waitcnt vmcnt(1)
	v_subrev_u32_e32 v15, s2, v15
	v_lshlrev_b32_e32 v23, 2, v15
	v_lshlrev_b64 v[23:24], 3, v[23:24]
	v_add_co_u32_e32 v45, vcc, s14, v23
	v_addc_co_u32_e32 v46, vcc, v18, v24, vcc
	global_load_dwordx4 v[23:26], v[45:46], off
	global_load_dwordx4 v[27:30], v[43:44], off offset:16
	global_load_dwordx4 v[31:34], v[43:44], off offset:32
	;; [unrolled: 1-line block ×4, first 2 shown]
	v_cmp_ge_i32_e32 vcc, v14, v16
	s_or_b64 s[8:9], vcc, s[8:9]
	s_waitcnt vmcnt(4)
	v_fma_f64 v[10:11], v[19:20], v[23:24], v[10:11]
	v_fma_f64 v[8:9], v[21:22], v[23:24], v[8:9]
	s_waitcnt vmcnt(3)
	v_fma_f64 v[10:11], v[27:28], v[25:26], v[10:11]
	v_fma_f64 v[8:9], v[29:30], v[25:26], v[8:9]
	;; [unrolled: 3-line block ×4, first 2 shown]
	s_andn2_b64 exec, exec, s[8:9]
	s_cbranch_execnz .LBB90_9
; %bb.10:
	s_or_b64 exec, exec, s[8:9]
.LBB90_11:
	s_or_b64 exec, exec, s[6:7]
	s_cbranch_execz .LBB90_13
	s_branch .LBB90_18
.LBB90_12:
                                        ; implicit-def: $vgpr10_vgpr11
                                        ; implicit-def: $vgpr8_vgpr9
.LBB90_13:
	v_mov_b32_e32 v10, 0
	v_mov_b32_e32 v8, 0
	;; [unrolled: 1-line block ×4, first 2 shown]
	s_and_saveexec_b64 s[6:7], s[0:1]
	s_cbranch_execz .LBB90_17
; %bb.14:
	v_mov_b32_e32 v10, 0
	v_mov_b32_e32 v8, 0
	v_lshlrev_b32_e32 v12, 3, v6
	v_mov_b32_e32 v11, 0
	s_mov_b64 s[0:1], 0
	v_mov_b32_e32 v14, s11
	v_mov_b32_e32 v13, 0
	v_mov_b32_e32 v15, s13
	v_mov_b32_e32 v9, 0
	v_mov_b32_e32 v17, s15
.LBB90_15:                              ; =>This Inner Loop Header: Depth=1
	v_lshlrev_b64 v[18:19], 3, v[12:13]
	v_ashrrev_i32_e32 v7, 31, v6
	v_lshlrev_b64 v[20:21], 2, v[6:7]
	v_add_co_u32_e32 v38, vcc, s12, v18
	v_addc_co_u32_e32 v39, vcc, v15, v19, vcc
	v_add_co_u32_e32 v28, vcc, s10, v20
	v_addc_co_u32_e32 v29, vcc, v14, v21, vcc
	global_load_dwordx4 v[18:21], v[38:39], off
	global_load_dwordx4 v[22:25], v[38:39], off offset:16
	global_load_dword v7, v[28:29], off
	v_mov_b32_e32 v27, v13
	v_add_u32_e32 v6, 64, v6
	v_add_u32_e32 v12, 0x200, v12
	s_waitcnt vmcnt(0)
	v_subrev_u32_e32 v7, s2, v7
	v_lshlrev_b32_e32 v26, 2, v7
	v_lshlrev_b64 v[26:27], 3, v[26:27]
	v_add_co_u32_e32 v34, vcc, s14, v26
	v_addc_co_u32_e32 v35, vcc, v17, v27, vcc
	global_load_dwordx4 v[26:29], v[34:35], off
	global_load_dwordx4 v[30:33], v[34:35], off offset:16
	v_cmp_ge_i32_e32 vcc, v6, v16
	s_or_b64 s[0:1], vcc, s[0:1]
	s_waitcnt vmcnt(1)
	v_fma_f64 v[10:11], v[18:19], v[26:27], v[10:11]
	v_fma_f64 v[10:11], v[20:21], v[28:29], v[10:11]
	global_load_dwordx4 v[18:21], v[38:39], off offset:32
	global_load_dwordx4 v[34:37], v[38:39], off offset:48
	s_waitcnt vmcnt(1)
	v_fma_f64 v[7:8], v[18:19], v[26:27], v[8:9]
	v_fma_f64 v[9:10], v[22:23], v[30:31], v[10:11]
	;; [unrolled: 1-line block ×4, first 2 shown]
	s_waitcnt vmcnt(0)
	v_fma_f64 v[7:8], v[34:35], v[30:31], v[7:8]
	v_fma_f64 v[8:9], v[36:37], v[32:33], v[7:8]
	s_andn2_b64 exec, exec, s[0:1]
	s_cbranch_execnz .LBB90_15
; %bb.16:
	s_or_b64 exec, exec, s[0:1]
.LBB90_17:
	s_or_b64 exec, exec, s[6:7]
.LBB90_18:
	v_mov_b32_dpp v6, v10 row_shr:1 row_mask:0xf bank_mask:0xf
	v_mov_b32_dpp v7, v11 row_shr:1 row_mask:0xf bank_mask:0xf
	v_add_f64 v[6:7], v[10:11], v[6:7]
	v_mov_b32_dpp v10, v8 row_shr:1 row_mask:0xf bank_mask:0xf
	v_mov_b32_dpp v11, v9 row_shr:1 row_mask:0xf bank_mask:0xf
	v_add_f64 v[8:9], v[8:9], v[10:11]
	v_cmp_eq_u32_e32 vcc, 63, v0
	v_mov_b32_dpp v10, v6 row_shr:2 row_mask:0xf bank_mask:0xf
	v_mov_b32_dpp v11, v7 row_shr:2 row_mask:0xf bank_mask:0xf
	v_add_f64 v[6:7], v[6:7], v[10:11]
	v_mov_b32_dpp v12, v8 row_shr:2 row_mask:0xf bank_mask:0xf
	v_mov_b32_dpp v13, v9 row_shr:2 row_mask:0xf bank_mask:0xf
	v_add_f64 v[8:9], v[8:9], v[12:13]
	;; [unrolled: 3-line block ×6, first 2 shown]
	v_mov_b32_dpp v10, v6 row_bcast:15 row_mask:0xa bank_mask:0xf
	v_mov_b32_dpp v11, v7 row_bcast:15 row_mask:0xa bank_mask:0xf
	v_add_f64 v[6:7], v[6:7], v[10:11]
	v_mov_b32_dpp v12, v8 row_bcast:15 row_mask:0xa bank_mask:0xf
	v_mov_b32_dpp v13, v9 row_bcast:15 row_mask:0xa bank_mask:0xf
	v_add_f64 v[10:11], v[8:9], v[12:13]
	v_mov_b32_dpp v8, v6 row_bcast:31 row_mask:0xc bank_mask:0xf
	v_mov_b32_dpp v9, v7 row_bcast:31 row_mask:0xc bank_mask:0xf
	;; [unrolled: 1-line block ×4, first 2 shown]
	s_and_b64 exec, exec, vcc
	s_cbranch_execz .LBB90_23
; %bb.19:
	v_add_f64 v[8:9], v[6:7], v[8:9]
	v_add_f64 v[6:7], v[10:11], v[12:13]
	v_cmp_eq_f64_e32 vcc, 0, v[3:4]
	s_load_dwordx2 s[0:1], s[4:5], 0x38
	s_and_saveexec_b64 s[2:3], vcc
	s_xor_b64 s[2:3], exec, s[2:3]
	s_cbranch_execz .LBB90_21
; %bb.20:
	v_mul_f64 v[3:4], v[1:2], v[8:9]
	v_lshlrev_b32_e32 v0, 1, v5
	v_mul_f64 v[5:6], v[1:2], v[6:7]
	v_ashrrev_i32_e32 v1, 31, v0
	v_lshlrev_b64 v[0:1], 3, v[0:1]
	s_waitcnt lgkmcnt(0)
	v_mov_b32_e32 v2, s1
	v_add_co_u32_e32 v0, vcc, s0, v0
	v_addc_co_u32_e32 v1, vcc, v2, v1, vcc
	global_store_dwordx4 v[0:1], v[3:6], off
                                        ; implicit-def: $vgpr5
                                        ; implicit-def: $vgpr1_vgpr2
                                        ; implicit-def: $vgpr8_vgpr9
                                        ; implicit-def: $vgpr3_vgpr4
                                        ; implicit-def: $vgpr6_vgpr7
.LBB90_21:
	s_andn2_saveexec_b64 s[2:3], s[2:3]
	s_cbranch_execz .LBB90_23
; %bb.22:
	v_lshlrev_b32_e32 v10, 1, v5
	v_ashrrev_i32_e32 v11, 31, v10
	v_lshlrev_b64 v[10:11], 3, v[10:11]
	s_waitcnt lgkmcnt(0)
	v_mov_b32_e32 v0, s1
	v_add_co_u32_e32 v14, vcc, s0, v10
	v_addc_co_u32_e32 v15, vcc, v0, v11, vcc
	global_load_dwordx4 v[10:13], v[14:15], off
	v_mul_f64 v[8:9], v[1:2], v[8:9]
	v_mul_f64 v[5:6], v[1:2], v[6:7]
	s_waitcnt vmcnt(0)
	v_fma_f64 v[0:1], v[3:4], v[10:11], v[8:9]
	v_fma_f64 v[2:3], v[3:4], v[12:13], v[5:6]
	global_store_dwordx4 v[14:15], v[0:3], off
.LBB90_23:
	s_endpgm
	.section	.rodata,"a",@progbits
	.p2align	6, 0x0
	.amdhsa_kernel _ZN9rocsparseL19gebsrmvn_2xn_kernelILj128ELj4ELj64EdEEvi20rocsparse_direction_NS_24const_host_device_scalarIT2_EEPKiS6_PKS3_S8_S4_PS3_21rocsparse_index_base_b
		.amdhsa_group_segment_fixed_size 0
		.amdhsa_private_segment_fixed_size 0
		.amdhsa_kernarg_size 72
		.amdhsa_user_sgpr_count 6
		.amdhsa_user_sgpr_private_segment_buffer 1
		.amdhsa_user_sgpr_dispatch_ptr 0
		.amdhsa_user_sgpr_queue_ptr 0
		.amdhsa_user_sgpr_kernarg_segment_ptr 1
		.amdhsa_user_sgpr_dispatch_id 0
		.amdhsa_user_sgpr_flat_scratch_init 0
		.amdhsa_user_sgpr_private_segment_size 0
		.amdhsa_uses_dynamic_stack 0
		.amdhsa_system_sgpr_private_segment_wavefront_offset 0
		.amdhsa_system_sgpr_workgroup_id_x 1
		.amdhsa_system_sgpr_workgroup_id_y 0
		.amdhsa_system_sgpr_workgroup_id_z 0
		.amdhsa_system_sgpr_workgroup_info 0
		.amdhsa_system_vgpr_workitem_id 0
		.amdhsa_next_free_vgpr 47
		.amdhsa_next_free_sgpr 16
		.amdhsa_reserve_vcc 1
		.amdhsa_reserve_flat_scratch 0
		.amdhsa_float_round_mode_32 0
		.amdhsa_float_round_mode_16_64 0
		.amdhsa_float_denorm_mode_32 3
		.amdhsa_float_denorm_mode_16_64 3
		.amdhsa_dx10_clamp 1
		.amdhsa_ieee_mode 1
		.amdhsa_fp16_overflow 0
		.amdhsa_exception_fp_ieee_invalid_op 0
		.amdhsa_exception_fp_denorm_src 0
		.amdhsa_exception_fp_ieee_div_zero 0
		.amdhsa_exception_fp_ieee_overflow 0
		.amdhsa_exception_fp_ieee_underflow 0
		.amdhsa_exception_fp_ieee_inexact 0
		.amdhsa_exception_int_div_zero 0
	.end_amdhsa_kernel
	.section	.text._ZN9rocsparseL19gebsrmvn_2xn_kernelILj128ELj4ELj64EdEEvi20rocsparse_direction_NS_24const_host_device_scalarIT2_EEPKiS6_PKS3_S8_S4_PS3_21rocsparse_index_base_b,"axG",@progbits,_ZN9rocsparseL19gebsrmvn_2xn_kernelILj128ELj4ELj64EdEEvi20rocsparse_direction_NS_24const_host_device_scalarIT2_EEPKiS6_PKS3_S8_S4_PS3_21rocsparse_index_base_b,comdat
.Lfunc_end90:
	.size	_ZN9rocsparseL19gebsrmvn_2xn_kernelILj128ELj4ELj64EdEEvi20rocsparse_direction_NS_24const_host_device_scalarIT2_EEPKiS6_PKS3_S8_S4_PS3_21rocsparse_index_base_b, .Lfunc_end90-_ZN9rocsparseL19gebsrmvn_2xn_kernelILj128ELj4ELj64EdEEvi20rocsparse_direction_NS_24const_host_device_scalarIT2_EEPKiS6_PKS3_S8_S4_PS3_21rocsparse_index_base_b
                                        ; -- End function
	.set _ZN9rocsparseL19gebsrmvn_2xn_kernelILj128ELj4ELj64EdEEvi20rocsparse_direction_NS_24const_host_device_scalarIT2_EEPKiS6_PKS3_S8_S4_PS3_21rocsparse_index_base_b.num_vgpr, 47
	.set _ZN9rocsparseL19gebsrmvn_2xn_kernelILj128ELj4ELj64EdEEvi20rocsparse_direction_NS_24const_host_device_scalarIT2_EEPKiS6_PKS3_S8_S4_PS3_21rocsparse_index_base_b.num_agpr, 0
	.set _ZN9rocsparseL19gebsrmvn_2xn_kernelILj128ELj4ELj64EdEEvi20rocsparse_direction_NS_24const_host_device_scalarIT2_EEPKiS6_PKS3_S8_S4_PS3_21rocsparse_index_base_b.numbered_sgpr, 16
	.set _ZN9rocsparseL19gebsrmvn_2xn_kernelILj128ELj4ELj64EdEEvi20rocsparse_direction_NS_24const_host_device_scalarIT2_EEPKiS6_PKS3_S8_S4_PS3_21rocsparse_index_base_b.num_named_barrier, 0
	.set _ZN9rocsparseL19gebsrmvn_2xn_kernelILj128ELj4ELj64EdEEvi20rocsparse_direction_NS_24const_host_device_scalarIT2_EEPKiS6_PKS3_S8_S4_PS3_21rocsparse_index_base_b.private_seg_size, 0
	.set _ZN9rocsparseL19gebsrmvn_2xn_kernelILj128ELj4ELj64EdEEvi20rocsparse_direction_NS_24const_host_device_scalarIT2_EEPKiS6_PKS3_S8_S4_PS3_21rocsparse_index_base_b.uses_vcc, 1
	.set _ZN9rocsparseL19gebsrmvn_2xn_kernelILj128ELj4ELj64EdEEvi20rocsparse_direction_NS_24const_host_device_scalarIT2_EEPKiS6_PKS3_S8_S4_PS3_21rocsparse_index_base_b.uses_flat_scratch, 0
	.set _ZN9rocsparseL19gebsrmvn_2xn_kernelILj128ELj4ELj64EdEEvi20rocsparse_direction_NS_24const_host_device_scalarIT2_EEPKiS6_PKS3_S8_S4_PS3_21rocsparse_index_base_b.has_dyn_sized_stack, 0
	.set _ZN9rocsparseL19gebsrmvn_2xn_kernelILj128ELj4ELj64EdEEvi20rocsparse_direction_NS_24const_host_device_scalarIT2_EEPKiS6_PKS3_S8_S4_PS3_21rocsparse_index_base_b.has_recursion, 0
	.set _ZN9rocsparseL19gebsrmvn_2xn_kernelILj128ELj4ELj64EdEEvi20rocsparse_direction_NS_24const_host_device_scalarIT2_EEPKiS6_PKS3_S8_S4_PS3_21rocsparse_index_base_b.has_indirect_call, 0
	.section	.AMDGPU.csdata,"",@progbits
; Kernel info:
; codeLenInByte = 1340
; TotalNumSgprs: 20
; NumVgprs: 47
; ScratchSize: 0
; MemoryBound: 1
; FloatMode: 240
; IeeeMode: 1
; LDSByteSize: 0 bytes/workgroup (compile time only)
; SGPRBlocks: 2
; VGPRBlocks: 11
; NumSGPRsForWavesPerEU: 20
; NumVGPRsForWavesPerEU: 47
; Occupancy: 5
; WaveLimiterHint : 1
; COMPUTE_PGM_RSRC2:SCRATCH_EN: 0
; COMPUTE_PGM_RSRC2:USER_SGPR: 6
; COMPUTE_PGM_RSRC2:TRAP_HANDLER: 0
; COMPUTE_PGM_RSRC2:TGID_X_EN: 1
; COMPUTE_PGM_RSRC2:TGID_Y_EN: 0
; COMPUTE_PGM_RSRC2:TGID_Z_EN: 0
; COMPUTE_PGM_RSRC2:TIDIG_COMP_CNT: 0
	.section	.text._ZN9rocsparseL19gebsrmvn_2xn_kernelILj128ELj5ELj4EdEEvi20rocsparse_direction_NS_24const_host_device_scalarIT2_EEPKiS6_PKS3_S8_S4_PS3_21rocsparse_index_base_b,"axG",@progbits,_ZN9rocsparseL19gebsrmvn_2xn_kernelILj128ELj5ELj4EdEEvi20rocsparse_direction_NS_24const_host_device_scalarIT2_EEPKiS6_PKS3_S8_S4_PS3_21rocsparse_index_base_b,comdat
	.globl	_ZN9rocsparseL19gebsrmvn_2xn_kernelILj128ELj5ELj4EdEEvi20rocsparse_direction_NS_24const_host_device_scalarIT2_EEPKiS6_PKS3_S8_S4_PS3_21rocsparse_index_base_b ; -- Begin function _ZN9rocsparseL19gebsrmvn_2xn_kernelILj128ELj5ELj4EdEEvi20rocsparse_direction_NS_24const_host_device_scalarIT2_EEPKiS6_PKS3_S8_S4_PS3_21rocsparse_index_base_b
	.p2align	8
	.type	_ZN9rocsparseL19gebsrmvn_2xn_kernelILj128ELj5ELj4EdEEvi20rocsparse_direction_NS_24const_host_device_scalarIT2_EEPKiS6_PKS3_S8_S4_PS3_21rocsparse_index_base_b,@function
_ZN9rocsparseL19gebsrmvn_2xn_kernelILj128ELj5ELj4EdEEvi20rocsparse_direction_NS_24const_host_device_scalarIT2_EEPKiS6_PKS3_S8_S4_PS3_21rocsparse_index_base_b: ; @_ZN9rocsparseL19gebsrmvn_2xn_kernelILj128ELj5ELj4EdEEvi20rocsparse_direction_NS_24const_host_device_scalarIT2_EEPKiS6_PKS3_S8_S4_PS3_21rocsparse_index_base_b
; %bb.0:
	s_load_dwordx2 s[2:3], s[4:5], 0x40
	s_load_dwordx2 s[10:11], s[4:5], 0x8
	s_load_dwordx2 s[0:1], s[4:5], 0x30
	s_waitcnt lgkmcnt(0)
	s_bitcmp1_b32 s3, 0
	s_cselect_b64 s[12:13], -1, 0
	v_mov_b32_e32 v1, s10
	s_xor_b64 s[8:9], s[12:13], -1
	s_and_b64 vcc, exec, s[12:13]
	v_mov_b32_e32 v2, s11
	s_cbranch_vccnz .LBB91_2
; %bb.1:
	v_mov_b32_e32 v1, s10
	v_mov_b32_e32 v2, s11
	flat_load_dwordx2 v[1:2], v[1:2]
.LBB91_2:
	v_mov_b32_e32 v4, s1
	s_andn2_b64 vcc, exec, s[8:9]
	v_mov_b32_e32 v3, s0
	s_cbranch_vccnz .LBB91_4
; %bb.3:
	v_mov_b32_e32 v4, s1
	v_mov_b32_e32 v3, s0
	flat_load_dwordx2 v[3:4], v[3:4]
.LBB91_4:
	s_waitcnt vmcnt(0) lgkmcnt(0)
	v_cmp_neq_f64_e32 vcc, 0, v[1:2]
	v_cmp_neq_f64_e64 s[0:1], 1.0, v[3:4]
	s_or_b64 s[0:1], vcc, s[0:1]
	s_and_saveexec_b64 s[8:9], s[0:1]
	s_cbranch_execz .LBB91_23
; %bb.5:
	s_load_dwordx2 s[0:1], s[4:5], 0x0
	v_lshrrev_b32_e32 v5, 2, v0
	v_lshl_or_b32 v5, s6, 5, v5
	s_waitcnt lgkmcnt(0)
	v_cmp_gt_i32_e32 vcc, s0, v5
	s_and_b64 exec, exec, vcc
	s_cbranch_execz .LBB91_23
; %bb.6:
	s_load_dwordx8 s[8:15], s[4:5], 0x10
	v_ashrrev_i32_e32 v6, 31, v5
	v_lshlrev_b64 v[6:7], 2, v[5:6]
	v_and_b32_e32 v0, 3, v0
	s_cmp_lg_u32 s1, 0
	s_waitcnt lgkmcnt(0)
	v_mov_b32_e32 v8, s9
	v_add_co_u32_e32 v6, vcc, s8, v6
	v_addc_co_u32_e32 v7, vcc, v8, v7, vcc
	global_load_dwordx2 v[6:7], v[6:7], off
	s_waitcnt vmcnt(0)
	v_subrev_u32_e32 v6, s2, v6
	v_subrev_u32_e32 v18, s2, v7
	v_add_u32_e32 v6, v6, v0
	v_cmp_lt_i32_e64 s[0:1], v6, v18
	s_cbranch_scc0 .LBB91_12
; %bb.7:
	v_mov_b32_e32 v8, 0
	v_mov_b32_e32 v10, 0
	;; [unrolled: 1-line block ×4, first 2 shown]
	s_and_saveexec_b64 s[6:7], s[0:1]
	s_cbranch_execz .LBB91_11
; %bb.8:
	v_mad_u64_u32 v[12:13], s[8:9], v6, 10, 8
	v_mov_b32_e32 v8, 0
	v_mov_b32_e32 v10, 0
	;; [unrolled: 1-line block ×3, first 2 shown]
	s_mov_b64 s[8:9], 0
	v_mov_b32_e32 v7, s11
	v_mov_b32_e32 v15, 0
	;; [unrolled: 1-line block ×6, first 2 shown]
.LBB91_9:                               ; =>This Inner Loop Header: Depth=1
	v_ashrrev_i32_e32 v17, 31, v16
	v_lshlrev_b64 v[21:22], 2, v[16:17]
	v_add_u32_e32 v14, -8, v12
	v_lshlrev_b64 v[23:24], 3, v[14:15]
	v_add_co_u32_e32 v27, vcc, s10, v21
	v_addc_co_u32_e32 v28, vcc, v7, v22, vcc
	v_add_co_u32_e32 v31, vcc, s12, v23
	v_addc_co_u32_e32 v32, vcc, v19, v24, vcc
	global_load_dword v17, v[27:28], off
	global_load_dwordx4 v[21:24], v[31:32], off
	v_mov_b32_e32 v13, v15
	v_lshlrev_b64 v[25:26], 3, v[12:13]
	v_add_u32_e32 v14, -6, v12
	v_lshlrev_b64 v[13:14], 3, v[14:15]
	v_add_co_u32_e32 v33, vcc, s12, v25
	v_mov_b32_e32 v30, v15
	v_addc_co_u32_e32 v34, vcc, v19, v26, vcc
	v_add_co_u32_e32 v13, vcc, s12, v13
	v_addc_co_u32_e32 v14, vcc, v19, v14, vcc
	v_add_u32_e32 v16, 4, v16
	s_waitcnt vmcnt(1)
	v_subrev_u32_e32 v17, s2, v17
	v_lshl_add_u32 v29, v17, 2, v17
	v_lshlrev_b64 v[25:26], 3, v[29:30]
	v_add_co_u32_e32 v30, vcc, s14, v25
	v_addc_co_u32_e32 v31, vcc, v20, v26, vcc
	global_load_dwordx4 v[25:28], v[33:34], off
	global_load_dwordx2 v[35:36], v[30:31], off
	s_waitcnt vmcnt(0)
	v_fma_f64 v[21:22], v[21:22], v[35:36], v[8:9]
	v_fma_f64 v[23:24], v[23:24], v[35:36], v[10:11]
	global_load_dwordx4 v[8:11], v[13:14], off
	v_add_u32_e32 v14, 1, v29
	v_lshlrev_b64 v[30:31], 3, v[14:15]
	v_add_u32_e32 v14, -4, v12
	v_add_co_u32_e32 v30, vcc, s14, v30
	v_addc_co_u32_e32 v31, vcc, v20, v31, vcc
	global_load_dwordx2 v[30:31], v[30:31], off
	v_lshlrev_b64 v[32:33], 3, v[14:15]
	v_add_u32_e32 v14, 2, v29
	s_waitcnt vmcnt(0)
	v_fma_f64 v[21:22], v[8:9], v[30:31], v[21:22]
	v_fma_f64 v[23:24], v[10:11], v[30:31], v[23:24]
	v_lshlrev_b64 v[8:9], 3, v[14:15]
	v_add_co_u32_e32 v30, vcc, s12, v32
	v_addc_co_u32_e32 v31, vcc, v19, v33, vcc
	v_add_co_u32_e32 v34, vcc, s14, v8
	v_addc_co_u32_e32 v35, vcc, v20, v9, vcc
	global_load_dwordx4 v[8:11], v[30:31], off
	global_load_dwordx2 v[36:37], v[34:35], off
	v_add_u32_e32 v14, -2, v12
	v_lshlrev_b64 v[32:33], 3, v[14:15]
	v_add_u32_e32 v14, 3, v29
	v_add_co_u32_e32 v13, vcc, s12, v32
	v_add_u32_e32 v12, 40, v12
	s_waitcnt vmcnt(0)
	v_fma_f64 v[21:22], v[8:9], v[36:37], v[21:22]
	v_lshlrev_b64 v[8:9], 3, v[14:15]
	v_addc_co_u32_e32 v14, vcc, v19, v33, vcc
	v_add_co_u32_e32 v30, vcc, s14, v8
	v_fma_f64 v[23:24], v[10:11], v[36:37], v[23:24]
	v_addc_co_u32_e32 v31, vcc, v20, v9, vcc
	global_load_dwordx4 v[8:11], v[13:14], off
	global_load_dwordx2 v[32:33], v[30:31], off
	v_add_u32_e32 v14, 4, v29
	v_lshlrev_b64 v[13:14], 3, v[14:15]
	v_add_co_u32_e32 v13, vcc, s14, v13
	v_addc_co_u32_e32 v14, vcc, v20, v14, vcc
	global_load_dwordx2 v[13:14], v[13:14], off
	v_cmp_ge_i32_e32 vcc, v16, v18
	s_or_b64 s[8:9], vcc, s[8:9]
	s_waitcnt vmcnt(1)
	v_fma_f64 v[8:9], v[8:9], v[32:33], v[21:22]
	v_fma_f64 v[10:11], v[10:11], v[32:33], v[23:24]
	s_waitcnt vmcnt(0)
	v_fma_f64 v[8:9], v[25:26], v[13:14], v[8:9]
	v_fma_f64 v[10:11], v[27:28], v[13:14], v[10:11]
	s_andn2_b64 exec, exec, s[8:9]
	s_cbranch_execnz .LBB91_9
; %bb.10:
	s_or_b64 exec, exec, s[8:9]
.LBB91_11:
	s_or_b64 exec, exec, s[6:7]
	s_cbranch_execz .LBB91_13
	s_branch .LBB91_18
.LBB91_12:
                                        ; implicit-def: $vgpr8_vgpr9
                                        ; implicit-def: $vgpr10_vgpr11
.LBB91_13:
	v_mov_b32_e32 v8, 0
	v_mov_b32_e32 v10, 0
	;; [unrolled: 1-line block ×4, first 2 shown]
	s_and_saveexec_b64 s[6:7], s[0:1]
	s_cbranch_execz .LBB91_17
; %bb.14:
	v_mad_u64_u32 v[12:13], s[0:1], v6, 10, 9
	v_mov_b32_e32 v8, 0
	v_mov_b32_e32 v10, 0
	;; [unrolled: 1-line block ×3, first 2 shown]
	s_mov_b64 s[0:1], 0
	v_mov_b32_e32 v16, s11
	v_mov_b32_e32 v15, 0
	;; [unrolled: 1-line block ×5, first 2 shown]
.LBB91_15:                              ; =>This Inner Loop Header: Depth=1
	v_ashrrev_i32_e32 v7, 31, v6
	v_lshlrev_b64 v[22:23], 2, v[6:7]
	v_add_u32_e32 v14, -9, v12
	v_add_co_u32_e32 v22, vcc, s10, v22
	v_addc_co_u32_e32 v23, vcc, v16, v23, vcc
	global_load_dword v7, v[22:23], off
	v_lshlrev_b64 v[24:25], 3, v[14:15]
	v_add_u32_e32 v20, -4, v12
	v_mov_b32_e32 v21, v15
	v_lshlrev_b64 v[20:21], 3, v[20:21]
	v_add_co_u32_e32 v24, vcc, s12, v24
	v_mov_b32_e32 v13, v15
	v_addc_co_u32_e32 v25, vcc, v17, v25, vcc
	v_lshlrev_b64 v[13:14], 3, v[12:13]
	v_add_co_u32_e32 v20, vcc, s12, v20
	v_addc_co_u32_e32 v21, vcc, v17, v21, vcc
	v_add_co_u32_e32 v26, vcc, s12, v13
	v_addc_co_u32_e32 v27, vcc, v17, v14, vcc
	v_mov_b32_e32 v14, v15
	v_add_u32_e32 v6, 4, v6
	s_waitcnt vmcnt(0)
	v_subrev_u32_e32 v7, s2, v7
	v_lshl_add_u32 v13, v7, 2, v7
	v_lshlrev_b64 v[22:23], 3, v[13:14]
	v_add_u32_e32 v14, 1, v13
	v_add_co_u32_e32 v22, vcc, s14, v22
	v_addc_co_u32_e32 v23, vcc, v19, v23, vcc
	global_load_dwordx2 v[30:31], v[20:21], off
	global_load_dwordx2 v[32:33], v[22:23], off
	v_lshlrev_b64 v[28:29], 3, v[14:15]
	global_load_dwordx4 v[20:23], v[24:25], off
	v_add_co_u32_e32 v28, vcc, s14, v28
	v_addc_co_u32_e32 v29, vcc, v19, v29, vcc
	v_add_u32_e32 v14, -3, v12
	s_waitcnt vmcnt(1)
	v_fma_f64 v[10:11], v[30:31], v[32:33], v[10:11]
	s_waitcnt vmcnt(0)
	v_fma_f64 v[7:8], v[20:21], v[32:33], v[8:9]
	global_load_dwordx2 v[20:21], v[28:29], off
	s_waitcnt vmcnt(0)
	v_fma_f64 v[7:8], v[22:23], v[20:21], v[7:8]
	v_lshlrev_b64 v[22:23], 3, v[14:15]
	v_add_u32_e32 v14, -7, v12
	v_add_co_u32_e32 v22, vcc, s12, v22
	v_lshlrev_b64 v[24:25], 3, v[14:15]
	v_addc_co_u32_e32 v23, vcc, v17, v23, vcc
	v_add_co_u32_e32 v24, vcc, s12, v24
	v_addc_co_u32_e32 v25, vcc, v17, v25, vcc
	global_load_dwordx2 v[28:29], v[22:23], off
	global_load_dwordx2 v[30:31], v[24:25], off
	v_add_u32_e32 v14, 2, v13
	s_waitcnt vmcnt(1)
	v_fma_f64 v[9:10], v[28:29], v[20:21], v[10:11]
	v_lshlrev_b64 v[20:21], 3, v[14:15]
	v_add_u32_e32 v14, -2, v12
	v_add_co_u32_e32 v20, vcc, s14, v20
	v_addc_co_u32_e32 v21, vcc, v19, v21, vcc
	global_load_dwordx2 v[20:21], v[20:21], off
	v_lshlrev_b64 v[22:23], 3, v[14:15]
	v_add_u32_e32 v14, -6, v12
	v_add_co_u32_e32 v22, vcc, s12, v22
	v_lshlrev_b64 v[24:25], 3, v[14:15]
	v_addc_co_u32_e32 v23, vcc, v17, v23, vcc
	v_add_co_u32_e32 v24, vcc, s12, v24
	v_addc_co_u32_e32 v25, vcc, v17, v25, vcc
	v_add_u32_e32 v14, 3, v13
	s_waitcnt vmcnt(0)
	v_fma_f64 v[7:8], v[30:31], v[20:21], v[7:8]
	global_load_dwordx2 v[28:29], v[22:23], off
	global_load_dwordx2 v[30:31], v[24:25], off
	s_waitcnt vmcnt(1)
	v_fma_f64 v[9:10], v[28:29], v[20:21], v[9:10]
	v_lshlrev_b64 v[20:21], 3, v[14:15]
	v_add_u32_e32 v14, -1, v12
	v_add_co_u32_e32 v20, vcc, s14, v20
	v_addc_co_u32_e32 v21, vcc, v19, v21, vcc
	global_load_dwordx2 v[20:21], v[20:21], off
	v_lshlrev_b64 v[22:23], 3, v[14:15]
	v_add_u32_e32 v14, -5, v12
	v_lshlrev_b64 v[24:25], 3, v[14:15]
	v_add_co_u32_e32 v22, vcc, s12, v22
	v_add_u32_e32 v14, 4, v13
	v_addc_co_u32_e32 v23, vcc, v17, v23, vcc
	v_add_co_u32_e32 v24, vcc, s12, v24
	v_lshlrev_b64 v[13:14], 3, v[14:15]
	v_addc_co_u32_e32 v25, vcc, v17, v25, vcc
	v_add_co_u32_e32 v13, vcc, s14, v13
	v_addc_co_u32_e32 v14, vcc, v19, v14, vcc
	v_cmp_ge_i32_e32 vcc, v6, v18
	s_or_b64 s[0:1], vcc, s[0:1]
	v_add_u32_e32 v12, 40, v12
	s_waitcnt vmcnt(0)
	v_fma_f64 v[7:8], v[30:31], v[20:21], v[7:8]
	global_load_dwordx2 v[28:29], v[22:23], off
	global_load_dwordx2 v[30:31], v[26:27], off
	;; [unrolled: 1-line block ×4, first 2 shown]
	s_waitcnt vmcnt(3)
	v_fma_f64 v[10:11], v[28:29], v[20:21], v[9:10]
	s_waitcnt vmcnt(0)
	v_fma_f64 v[8:9], v[32:33], v[34:35], v[7:8]
	v_fma_f64 v[10:11], v[30:31], v[34:35], v[10:11]
	s_andn2_b64 exec, exec, s[0:1]
	s_cbranch_execnz .LBB91_15
; %bb.16:
	s_or_b64 exec, exec, s[0:1]
.LBB91_17:
	s_or_b64 exec, exec, s[6:7]
.LBB91_18:
	v_mov_b32_dpp v6, v8 row_shr:1 row_mask:0xf bank_mask:0xf
	v_mov_b32_dpp v7, v9 row_shr:1 row_mask:0xf bank_mask:0xf
	v_add_f64 v[6:7], v[8:9], v[6:7]
	v_mov_b32_dpp v8, v10 row_shr:1 row_mask:0xf bank_mask:0xf
	v_mov_b32_dpp v9, v11 row_shr:1 row_mask:0xf bank_mask:0xf
	v_add_f64 v[10:11], v[10:11], v[8:9]
	v_cmp_eq_u32_e32 vcc, 3, v0
	v_mov_b32_dpp v8, v6 row_shr:2 row_mask:0xf bank_mask:0xf
	v_mov_b32_dpp v9, v7 row_shr:2 row_mask:0xf bank_mask:0xf
	;; [unrolled: 1-line block ×4, first 2 shown]
	s_and_b64 exec, exec, vcc
	s_cbranch_execz .LBB91_23
; %bb.19:
	v_add_f64 v[8:9], v[6:7], v[8:9]
	v_add_f64 v[6:7], v[10:11], v[12:13]
	v_cmp_eq_f64_e32 vcc, 0, v[3:4]
	s_load_dwordx2 s[0:1], s[4:5], 0x38
	s_and_saveexec_b64 s[2:3], vcc
	s_xor_b64 s[2:3], exec, s[2:3]
	s_cbranch_execz .LBB91_21
; %bb.20:
	v_mul_f64 v[3:4], v[1:2], v[8:9]
	v_lshlrev_b32_e32 v0, 1, v5
	v_mul_f64 v[5:6], v[1:2], v[6:7]
	v_ashrrev_i32_e32 v1, 31, v0
	v_lshlrev_b64 v[0:1], 3, v[0:1]
	s_waitcnt lgkmcnt(0)
	v_mov_b32_e32 v2, s1
	v_add_co_u32_e32 v0, vcc, s0, v0
	v_addc_co_u32_e32 v1, vcc, v2, v1, vcc
	global_store_dwordx4 v[0:1], v[3:6], off
                                        ; implicit-def: $vgpr5
                                        ; implicit-def: $vgpr1_vgpr2
                                        ; implicit-def: $vgpr8_vgpr9
                                        ; implicit-def: $vgpr3_vgpr4
                                        ; implicit-def: $vgpr6_vgpr7
.LBB91_21:
	s_andn2_saveexec_b64 s[2:3], s[2:3]
	s_cbranch_execz .LBB91_23
; %bb.22:
	v_lshlrev_b32_e32 v10, 1, v5
	v_ashrrev_i32_e32 v11, 31, v10
	v_lshlrev_b64 v[10:11], 3, v[10:11]
	s_waitcnt lgkmcnt(0)
	v_mov_b32_e32 v0, s1
	v_add_co_u32_e32 v14, vcc, s0, v10
	v_addc_co_u32_e32 v15, vcc, v0, v11, vcc
	global_load_dwordx4 v[10:13], v[14:15], off
	v_mul_f64 v[8:9], v[1:2], v[8:9]
	v_mul_f64 v[5:6], v[1:2], v[6:7]
	s_waitcnt vmcnt(0)
	v_fma_f64 v[0:1], v[3:4], v[10:11], v[8:9]
	v_fma_f64 v[2:3], v[3:4], v[12:13], v[5:6]
	global_store_dwordx4 v[14:15], v[0:3], off
.LBB91_23:
	s_endpgm
	.section	.rodata,"a",@progbits
	.p2align	6, 0x0
	.amdhsa_kernel _ZN9rocsparseL19gebsrmvn_2xn_kernelILj128ELj5ELj4EdEEvi20rocsparse_direction_NS_24const_host_device_scalarIT2_EEPKiS6_PKS3_S8_S4_PS3_21rocsparse_index_base_b
		.amdhsa_group_segment_fixed_size 0
		.amdhsa_private_segment_fixed_size 0
		.amdhsa_kernarg_size 72
		.amdhsa_user_sgpr_count 6
		.amdhsa_user_sgpr_private_segment_buffer 1
		.amdhsa_user_sgpr_dispatch_ptr 0
		.amdhsa_user_sgpr_queue_ptr 0
		.amdhsa_user_sgpr_kernarg_segment_ptr 1
		.amdhsa_user_sgpr_dispatch_id 0
		.amdhsa_user_sgpr_flat_scratch_init 0
		.amdhsa_user_sgpr_private_segment_size 0
		.amdhsa_uses_dynamic_stack 0
		.amdhsa_system_sgpr_private_segment_wavefront_offset 0
		.amdhsa_system_sgpr_workgroup_id_x 1
		.amdhsa_system_sgpr_workgroup_id_y 0
		.amdhsa_system_sgpr_workgroup_id_z 0
		.amdhsa_system_sgpr_workgroup_info 0
		.amdhsa_system_vgpr_workitem_id 0
		.amdhsa_next_free_vgpr 38
		.amdhsa_next_free_sgpr 16
		.amdhsa_reserve_vcc 1
		.amdhsa_reserve_flat_scratch 0
		.amdhsa_float_round_mode_32 0
		.amdhsa_float_round_mode_16_64 0
		.amdhsa_float_denorm_mode_32 3
		.amdhsa_float_denorm_mode_16_64 3
		.amdhsa_dx10_clamp 1
		.amdhsa_ieee_mode 1
		.amdhsa_fp16_overflow 0
		.amdhsa_exception_fp_ieee_invalid_op 0
		.amdhsa_exception_fp_denorm_src 0
		.amdhsa_exception_fp_ieee_div_zero 0
		.amdhsa_exception_fp_ieee_overflow 0
		.amdhsa_exception_fp_ieee_underflow 0
		.amdhsa_exception_fp_ieee_inexact 0
		.amdhsa_exception_int_div_zero 0
	.end_amdhsa_kernel
	.section	.text._ZN9rocsparseL19gebsrmvn_2xn_kernelILj128ELj5ELj4EdEEvi20rocsparse_direction_NS_24const_host_device_scalarIT2_EEPKiS6_PKS3_S8_S4_PS3_21rocsparse_index_base_b,"axG",@progbits,_ZN9rocsparseL19gebsrmvn_2xn_kernelILj128ELj5ELj4EdEEvi20rocsparse_direction_NS_24const_host_device_scalarIT2_EEPKiS6_PKS3_S8_S4_PS3_21rocsparse_index_base_b,comdat
.Lfunc_end91:
	.size	_ZN9rocsparseL19gebsrmvn_2xn_kernelILj128ELj5ELj4EdEEvi20rocsparse_direction_NS_24const_host_device_scalarIT2_EEPKiS6_PKS3_S8_S4_PS3_21rocsparse_index_base_b, .Lfunc_end91-_ZN9rocsparseL19gebsrmvn_2xn_kernelILj128ELj5ELj4EdEEvi20rocsparse_direction_NS_24const_host_device_scalarIT2_EEPKiS6_PKS3_S8_S4_PS3_21rocsparse_index_base_b
                                        ; -- End function
	.set _ZN9rocsparseL19gebsrmvn_2xn_kernelILj128ELj5ELj4EdEEvi20rocsparse_direction_NS_24const_host_device_scalarIT2_EEPKiS6_PKS3_S8_S4_PS3_21rocsparse_index_base_b.num_vgpr, 38
	.set _ZN9rocsparseL19gebsrmvn_2xn_kernelILj128ELj5ELj4EdEEvi20rocsparse_direction_NS_24const_host_device_scalarIT2_EEPKiS6_PKS3_S8_S4_PS3_21rocsparse_index_base_b.num_agpr, 0
	.set _ZN9rocsparseL19gebsrmvn_2xn_kernelILj128ELj5ELj4EdEEvi20rocsparse_direction_NS_24const_host_device_scalarIT2_EEPKiS6_PKS3_S8_S4_PS3_21rocsparse_index_base_b.numbered_sgpr, 16
	.set _ZN9rocsparseL19gebsrmvn_2xn_kernelILj128ELj5ELj4EdEEvi20rocsparse_direction_NS_24const_host_device_scalarIT2_EEPKiS6_PKS3_S8_S4_PS3_21rocsparse_index_base_b.num_named_barrier, 0
	.set _ZN9rocsparseL19gebsrmvn_2xn_kernelILj128ELj5ELj4EdEEvi20rocsparse_direction_NS_24const_host_device_scalarIT2_EEPKiS6_PKS3_S8_S4_PS3_21rocsparse_index_base_b.private_seg_size, 0
	.set _ZN9rocsparseL19gebsrmvn_2xn_kernelILj128ELj5ELj4EdEEvi20rocsparse_direction_NS_24const_host_device_scalarIT2_EEPKiS6_PKS3_S8_S4_PS3_21rocsparse_index_base_b.uses_vcc, 1
	.set _ZN9rocsparseL19gebsrmvn_2xn_kernelILj128ELj5ELj4EdEEvi20rocsparse_direction_NS_24const_host_device_scalarIT2_EEPKiS6_PKS3_S8_S4_PS3_21rocsparse_index_base_b.uses_flat_scratch, 0
	.set _ZN9rocsparseL19gebsrmvn_2xn_kernelILj128ELj5ELj4EdEEvi20rocsparse_direction_NS_24const_host_device_scalarIT2_EEPKiS6_PKS3_S8_S4_PS3_21rocsparse_index_base_b.has_dyn_sized_stack, 0
	.set _ZN9rocsparseL19gebsrmvn_2xn_kernelILj128ELj5ELj4EdEEvi20rocsparse_direction_NS_24const_host_device_scalarIT2_EEPKiS6_PKS3_S8_S4_PS3_21rocsparse_index_base_b.has_recursion, 0
	.set _ZN9rocsparseL19gebsrmvn_2xn_kernelILj128ELj5ELj4EdEEvi20rocsparse_direction_NS_24const_host_device_scalarIT2_EEPKiS6_PKS3_S8_S4_PS3_21rocsparse_index_base_b.has_indirect_call, 0
	.section	.AMDGPU.csdata,"",@progbits
; Kernel info:
; codeLenInByte = 1724
; TotalNumSgprs: 20
; NumVgprs: 38
; ScratchSize: 0
; MemoryBound: 0
; FloatMode: 240
; IeeeMode: 1
; LDSByteSize: 0 bytes/workgroup (compile time only)
; SGPRBlocks: 2
; VGPRBlocks: 9
; NumSGPRsForWavesPerEU: 20
; NumVGPRsForWavesPerEU: 38
; Occupancy: 6
; WaveLimiterHint : 1
; COMPUTE_PGM_RSRC2:SCRATCH_EN: 0
; COMPUTE_PGM_RSRC2:USER_SGPR: 6
; COMPUTE_PGM_RSRC2:TRAP_HANDLER: 0
; COMPUTE_PGM_RSRC2:TGID_X_EN: 1
; COMPUTE_PGM_RSRC2:TGID_Y_EN: 0
; COMPUTE_PGM_RSRC2:TGID_Z_EN: 0
; COMPUTE_PGM_RSRC2:TIDIG_COMP_CNT: 0
	.section	.text._ZN9rocsparseL19gebsrmvn_2xn_kernelILj128ELj5ELj8EdEEvi20rocsparse_direction_NS_24const_host_device_scalarIT2_EEPKiS6_PKS3_S8_S4_PS3_21rocsparse_index_base_b,"axG",@progbits,_ZN9rocsparseL19gebsrmvn_2xn_kernelILj128ELj5ELj8EdEEvi20rocsparse_direction_NS_24const_host_device_scalarIT2_EEPKiS6_PKS3_S8_S4_PS3_21rocsparse_index_base_b,comdat
	.globl	_ZN9rocsparseL19gebsrmvn_2xn_kernelILj128ELj5ELj8EdEEvi20rocsparse_direction_NS_24const_host_device_scalarIT2_EEPKiS6_PKS3_S8_S4_PS3_21rocsparse_index_base_b ; -- Begin function _ZN9rocsparseL19gebsrmvn_2xn_kernelILj128ELj5ELj8EdEEvi20rocsparse_direction_NS_24const_host_device_scalarIT2_EEPKiS6_PKS3_S8_S4_PS3_21rocsparse_index_base_b
	.p2align	8
	.type	_ZN9rocsparseL19gebsrmvn_2xn_kernelILj128ELj5ELj8EdEEvi20rocsparse_direction_NS_24const_host_device_scalarIT2_EEPKiS6_PKS3_S8_S4_PS3_21rocsparse_index_base_b,@function
_ZN9rocsparseL19gebsrmvn_2xn_kernelILj128ELj5ELj8EdEEvi20rocsparse_direction_NS_24const_host_device_scalarIT2_EEPKiS6_PKS3_S8_S4_PS3_21rocsparse_index_base_b: ; @_ZN9rocsparseL19gebsrmvn_2xn_kernelILj128ELj5ELj8EdEEvi20rocsparse_direction_NS_24const_host_device_scalarIT2_EEPKiS6_PKS3_S8_S4_PS3_21rocsparse_index_base_b
; %bb.0:
	s_load_dwordx2 s[2:3], s[4:5], 0x40
	s_load_dwordx2 s[10:11], s[4:5], 0x8
	;; [unrolled: 1-line block ×3, first 2 shown]
	s_waitcnt lgkmcnt(0)
	s_bitcmp1_b32 s3, 0
	s_cselect_b64 s[12:13], -1, 0
	v_mov_b32_e32 v1, s10
	s_xor_b64 s[8:9], s[12:13], -1
	s_and_b64 vcc, exec, s[12:13]
	v_mov_b32_e32 v2, s11
	s_cbranch_vccnz .LBB92_2
; %bb.1:
	v_mov_b32_e32 v1, s10
	v_mov_b32_e32 v2, s11
	flat_load_dwordx2 v[1:2], v[1:2]
.LBB92_2:
	v_mov_b32_e32 v4, s1
	s_andn2_b64 vcc, exec, s[8:9]
	v_mov_b32_e32 v3, s0
	s_cbranch_vccnz .LBB92_4
; %bb.3:
	v_mov_b32_e32 v4, s1
	v_mov_b32_e32 v3, s0
	flat_load_dwordx2 v[3:4], v[3:4]
.LBB92_4:
	s_waitcnt vmcnt(0) lgkmcnt(0)
	v_cmp_neq_f64_e32 vcc, 0, v[1:2]
	v_cmp_neq_f64_e64 s[0:1], 1.0, v[3:4]
	s_or_b64 s[0:1], vcc, s[0:1]
	s_and_saveexec_b64 s[8:9], s[0:1]
	s_cbranch_execz .LBB92_23
; %bb.5:
	s_load_dwordx2 s[0:1], s[4:5], 0x0
	v_lshrrev_b32_e32 v5, 3, v0
	v_lshl_or_b32 v5, s6, 4, v5
	s_waitcnt lgkmcnt(0)
	v_cmp_gt_i32_e32 vcc, s0, v5
	s_and_b64 exec, exec, vcc
	s_cbranch_execz .LBB92_23
; %bb.6:
	s_load_dwordx8 s[8:15], s[4:5], 0x10
	v_ashrrev_i32_e32 v6, 31, v5
	v_lshlrev_b64 v[6:7], 2, v[5:6]
	v_and_b32_e32 v0, 7, v0
	s_cmp_lg_u32 s1, 0
	s_waitcnt lgkmcnt(0)
	v_mov_b32_e32 v8, s9
	v_add_co_u32_e32 v6, vcc, s8, v6
	v_addc_co_u32_e32 v7, vcc, v8, v7, vcc
	global_load_dwordx2 v[6:7], v[6:7], off
	s_waitcnt vmcnt(0)
	v_subrev_u32_e32 v6, s2, v6
	v_subrev_u32_e32 v18, s2, v7
	v_add_u32_e32 v6, v6, v0
	v_cmp_lt_i32_e64 s[0:1], v6, v18
	s_cbranch_scc0 .LBB92_12
; %bb.7:
	v_mov_b32_e32 v8, 0
	v_mov_b32_e32 v10, 0
	;; [unrolled: 1-line block ×4, first 2 shown]
	s_and_saveexec_b64 s[6:7], s[0:1]
	s_cbranch_execz .LBB92_11
; %bb.8:
	v_mad_u64_u32 v[12:13], s[8:9], v6, 10, 8
	v_mov_b32_e32 v8, 0
	v_mov_b32_e32 v10, 0
	;; [unrolled: 1-line block ×3, first 2 shown]
	s_mov_b64 s[8:9], 0
	v_mov_b32_e32 v7, s11
	v_mov_b32_e32 v15, 0
	;; [unrolled: 1-line block ×6, first 2 shown]
.LBB92_9:                               ; =>This Inner Loop Header: Depth=1
	v_ashrrev_i32_e32 v17, 31, v16
	v_lshlrev_b64 v[21:22], 2, v[16:17]
	v_add_u32_e32 v14, -8, v12
	v_lshlrev_b64 v[23:24], 3, v[14:15]
	v_add_co_u32_e32 v27, vcc, s10, v21
	v_addc_co_u32_e32 v28, vcc, v7, v22, vcc
	v_add_co_u32_e32 v31, vcc, s12, v23
	v_addc_co_u32_e32 v32, vcc, v19, v24, vcc
	global_load_dword v17, v[27:28], off
	global_load_dwordx4 v[21:24], v[31:32], off
	v_mov_b32_e32 v13, v15
	v_lshlrev_b64 v[25:26], 3, v[12:13]
	v_add_u32_e32 v14, -6, v12
	v_lshlrev_b64 v[13:14], 3, v[14:15]
	v_add_co_u32_e32 v33, vcc, s12, v25
	v_mov_b32_e32 v30, v15
	v_addc_co_u32_e32 v34, vcc, v19, v26, vcc
	v_add_co_u32_e32 v13, vcc, s12, v13
	v_addc_co_u32_e32 v14, vcc, v19, v14, vcc
	v_add_u32_e32 v16, 8, v16
	s_waitcnt vmcnt(1)
	v_subrev_u32_e32 v17, s2, v17
	v_lshl_add_u32 v29, v17, 2, v17
	v_lshlrev_b64 v[25:26], 3, v[29:30]
	v_add_co_u32_e32 v30, vcc, s14, v25
	v_addc_co_u32_e32 v31, vcc, v20, v26, vcc
	global_load_dwordx4 v[25:28], v[33:34], off
	global_load_dwordx2 v[35:36], v[30:31], off
	s_waitcnt vmcnt(0)
	v_fma_f64 v[21:22], v[21:22], v[35:36], v[8:9]
	v_fma_f64 v[23:24], v[23:24], v[35:36], v[10:11]
	global_load_dwordx4 v[8:11], v[13:14], off
	v_add_u32_e32 v14, 1, v29
	v_lshlrev_b64 v[30:31], 3, v[14:15]
	v_add_u32_e32 v14, -4, v12
	v_add_co_u32_e32 v30, vcc, s14, v30
	v_addc_co_u32_e32 v31, vcc, v20, v31, vcc
	global_load_dwordx2 v[30:31], v[30:31], off
	v_lshlrev_b64 v[32:33], 3, v[14:15]
	v_add_u32_e32 v14, 2, v29
	s_waitcnt vmcnt(0)
	v_fma_f64 v[21:22], v[8:9], v[30:31], v[21:22]
	v_fma_f64 v[23:24], v[10:11], v[30:31], v[23:24]
	v_lshlrev_b64 v[8:9], 3, v[14:15]
	v_add_co_u32_e32 v30, vcc, s12, v32
	v_addc_co_u32_e32 v31, vcc, v19, v33, vcc
	v_add_co_u32_e32 v34, vcc, s14, v8
	v_addc_co_u32_e32 v35, vcc, v20, v9, vcc
	global_load_dwordx4 v[8:11], v[30:31], off
	global_load_dwordx2 v[36:37], v[34:35], off
	v_add_u32_e32 v14, -2, v12
	v_lshlrev_b64 v[32:33], 3, v[14:15]
	v_add_u32_e32 v14, 3, v29
	v_add_co_u32_e32 v13, vcc, s12, v32
	v_add_u32_e32 v12, 0x50, v12
	s_waitcnt vmcnt(0)
	v_fma_f64 v[21:22], v[8:9], v[36:37], v[21:22]
	v_lshlrev_b64 v[8:9], 3, v[14:15]
	v_addc_co_u32_e32 v14, vcc, v19, v33, vcc
	v_add_co_u32_e32 v30, vcc, s14, v8
	v_fma_f64 v[23:24], v[10:11], v[36:37], v[23:24]
	v_addc_co_u32_e32 v31, vcc, v20, v9, vcc
	global_load_dwordx4 v[8:11], v[13:14], off
	global_load_dwordx2 v[32:33], v[30:31], off
	v_add_u32_e32 v14, 4, v29
	v_lshlrev_b64 v[13:14], 3, v[14:15]
	v_add_co_u32_e32 v13, vcc, s14, v13
	v_addc_co_u32_e32 v14, vcc, v20, v14, vcc
	global_load_dwordx2 v[13:14], v[13:14], off
	v_cmp_ge_i32_e32 vcc, v16, v18
	s_or_b64 s[8:9], vcc, s[8:9]
	s_waitcnt vmcnt(1)
	v_fma_f64 v[8:9], v[8:9], v[32:33], v[21:22]
	v_fma_f64 v[10:11], v[10:11], v[32:33], v[23:24]
	s_waitcnt vmcnt(0)
	v_fma_f64 v[8:9], v[25:26], v[13:14], v[8:9]
	v_fma_f64 v[10:11], v[27:28], v[13:14], v[10:11]
	s_andn2_b64 exec, exec, s[8:9]
	s_cbranch_execnz .LBB92_9
; %bb.10:
	s_or_b64 exec, exec, s[8:9]
.LBB92_11:
	s_or_b64 exec, exec, s[6:7]
	s_cbranch_execz .LBB92_13
	s_branch .LBB92_18
.LBB92_12:
                                        ; implicit-def: $vgpr8_vgpr9
                                        ; implicit-def: $vgpr10_vgpr11
.LBB92_13:
	v_mov_b32_e32 v8, 0
	v_mov_b32_e32 v10, 0
	;; [unrolled: 1-line block ×4, first 2 shown]
	s_and_saveexec_b64 s[6:7], s[0:1]
	s_cbranch_execz .LBB92_17
; %bb.14:
	v_mad_u64_u32 v[12:13], s[0:1], v6, 10, 9
	v_mov_b32_e32 v8, 0
	v_mov_b32_e32 v10, 0
	;; [unrolled: 1-line block ×3, first 2 shown]
	s_mov_b64 s[0:1], 0
	v_mov_b32_e32 v16, s11
	v_mov_b32_e32 v15, 0
	;; [unrolled: 1-line block ×5, first 2 shown]
.LBB92_15:                              ; =>This Inner Loop Header: Depth=1
	v_ashrrev_i32_e32 v7, 31, v6
	v_lshlrev_b64 v[22:23], 2, v[6:7]
	v_add_u32_e32 v14, -9, v12
	v_add_co_u32_e32 v22, vcc, s10, v22
	v_addc_co_u32_e32 v23, vcc, v16, v23, vcc
	global_load_dword v7, v[22:23], off
	v_lshlrev_b64 v[24:25], 3, v[14:15]
	v_add_u32_e32 v20, -4, v12
	v_mov_b32_e32 v21, v15
	v_lshlrev_b64 v[20:21], 3, v[20:21]
	v_add_co_u32_e32 v24, vcc, s12, v24
	v_mov_b32_e32 v13, v15
	v_addc_co_u32_e32 v25, vcc, v17, v25, vcc
	v_lshlrev_b64 v[13:14], 3, v[12:13]
	v_add_co_u32_e32 v20, vcc, s12, v20
	v_addc_co_u32_e32 v21, vcc, v17, v21, vcc
	v_add_co_u32_e32 v26, vcc, s12, v13
	v_addc_co_u32_e32 v27, vcc, v17, v14, vcc
	v_mov_b32_e32 v14, v15
	v_add_u32_e32 v6, 8, v6
	s_waitcnt vmcnt(0)
	v_subrev_u32_e32 v7, s2, v7
	v_lshl_add_u32 v13, v7, 2, v7
	v_lshlrev_b64 v[22:23], 3, v[13:14]
	v_add_u32_e32 v14, 1, v13
	v_add_co_u32_e32 v22, vcc, s14, v22
	v_addc_co_u32_e32 v23, vcc, v19, v23, vcc
	global_load_dwordx2 v[30:31], v[20:21], off
	global_load_dwordx2 v[32:33], v[22:23], off
	v_lshlrev_b64 v[28:29], 3, v[14:15]
	global_load_dwordx4 v[20:23], v[24:25], off
	v_add_co_u32_e32 v28, vcc, s14, v28
	v_addc_co_u32_e32 v29, vcc, v19, v29, vcc
	v_add_u32_e32 v14, -3, v12
	s_waitcnt vmcnt(1)
	v_fma_f64 v[10:11], v[30:31], v[32:33], v[10:11]
	s_waitcnt vmcnt(0)
	v_fma_f64 v[7:8], v[20:21], v[32:33], v[8:9]
	global_load_dwordx2 v[20:21], v[28:29], off
	s_waitcnt vmcnt(0)
	v_fma_f64 v[7:8], v[22:23], v[20:21], v[7:8]
	v_lshlrev_b64 v[22:23], 3, v[14:15]
	v_add_u32_e32 v14, -7, v12
	v_add_co_u32_e32 v22, vcc, s12, v22
	v_lshlrev_b64 v[24:25], 3, v[14:15]
	v_addc_co_u32_e32 v23, vcc, v17, v23, vcc
	v_add_co_u32_e32 v24, vcc, s12, v24
	v_addc_co_u32_e32 v25, vcc, v17, v25, vcc
	global_load_dwordx2 v[28:29], v[22:23], off
	global_load_dwordx2 v[30:31], v[24:25], off
	v_add_u32_e32 v14, 2, v13
	s_waitcnt vmcnt(1)
	v_fma_f64 v[9:10], v[28:29], v[20:21], v[10:11]
	v_lshlrev_b64 v[20:21], 3, v[14:15]
	v_add_u32_e32 v14, -2, v12
	v_add_co_u32_e32 v20, vcc, s14, v20
	v_addc_co_u32_e32 v21, vcc, v19, v21, vcc
	global_load_dwordx2 v[20:21], v[20:21], off
	v_lshlrev_b64 v[22:23], 3, v[14:15]
	v_add_u32_e32 v14, -6, v12
	v_add_co_u32_e32 v22, vcc, s12, v22
	v_lshlrev_b64 v[24:25], 3, v[14:15]
	v_addc_co_u32_e32 v23, vcc, v17, v23, vcc
	v_add_co_u32_e32 v24, vcc, s12, v24
	v_addc_co_u32_e32 v25, vcc, v17, v25, vcc
	v_add_u32_e32 v14, 3, v13
	s_waitcnt vmcnt(0)
	v_fma_f64 v[7:8], v[30:31], v[20:21], v[7:8]
	global_load_dwordx2 v[28:29], v[22:23], off
	global_load_dwordx2 v[30:31], v[24:25], off
	s_waitcnt vmcnt(1)
	v_fma_f64 v[9:10], v[28:29], v[20:21], v[9:10]
	v_lshlrev_b64 v[20:21], 3, v[14:15]
	v_add_u32_e32 v14, -1, v12
	v_add_co_u32_e32 v20, vcc, s14, v20
	v_addc_co_u32_e32 v21, vcc, v19, v21, vcc
	global_load_dwordx2 v[20:21], v[20:21], off
	v_lshlrev_b64 v[22:23], 3, v[14:15]
	v_add_u32_e32 v14, -5, v12
	v_lshlrev_b64 v[24:25], 3, v[14:15]
	v_add_co_u32_e32 v22, vcc, s12, v22
	v_add_u32_e32 v14, 4, v13
	v_addc_co_u32_e32 v23, vcc, v17, v23, vcc
	v_add_co_u32_e32 v24, vcc, s12, v24
	v_lshlrev_b64 v[13:14], 3, v[14:15]
	v_addc_co_u32_e32 v25, vcc, v17, v25, vcc
	v_add_co_u32_e32 v13, vcc, s14, v13
	v_addc_co_u32_e32 v14, vcc, v19, v14, vcc
	v_cmp_ge_i32_e32 vcc, v6, v18
	s_or_b64 s[0:1], vcc, s[0:1]
	v_add_u32_e32 v12, 0x50, v12
	s_waitcnt vmcnt(0)
	v_fma_f64 v[7:8], v[30:31], v[20:21], v[7:8]
	global_load_dwordx2 v[28:29], v[22:23], off
	global_load_dwordx2 v[30:31], v[26:27], off
	;; [unrolled: 1-line block ×4, first 2 shown]
	s_waitcnt vmcnt(3)
	v_fma_f64 v[10:11], v[28:29], v[20:21], v[9:10]
	s_waitcnt vmcnt(0)
	v_fma_f64 v[8:9], v[32:33], v[34:35], v[7:8]
	v_fma_f64 v[10:11], v[30:31], v[34:35], v[10:11]
	s_andn2_b64 exec, exec, s[0:1]
	s_cbranch_execnz .LBB92_15
; %bb.16:
	s_or_b64 exec, exec, s[0:1]
.LBB92_17:
	s_or_b64 exec, exec, s[6:7]
.LBB92_18:
	v_mov_b32_dpp v6, v8 row_shr:1 row_mask:0xf bank_mask:0xf
	v_mov_b32_dpp v7, v9 row_shr:1 row_mask:0xf bank_mask:0xf
	v_add_f64 v[6:7], v[8:9], v[6:7]
	v_mov_b32_dpp v8, v10 row_shr:1 row_mask:0xf bank_mask:0xf
	v_mov_b32_dpp v9, v11 row_shr:1 row_mask:0xf bank_mask:0xf
	v_add_f64 v[8:9], v[10:11], v[8:9]
	v_cmp_eq_u32_e32 vcc, 7, v0
	v_mov_b32_dpp v10, v6 row_shr:2 row_mask:0xf bank_mask:0xf
	v_mov_b32_dpp v11, v7 row_shr:2 row_mask:0xf bank_mask:0xf
	v_add_f64 v[6:7], v[6:7], v[10:11]
	v_mov_b32_dpp v12, v8 row_shr:2 row_mask:0xf bank_mask:0xf
	v_mov_b32_dpp v13, v9 row_shr:2 row_mask:0xf bank_mask:0xf
	v_add_f64 v[10:11], v[8:9], v[12:13]
	v_mov_b32_dpp v8, v6 row_shr:4 row_mask:0xf bank_mask:0xe
	v_mov_b32_dpp v9, v7 row_shr:4 row_mask:0xf bank_mask:0xe
	;; [unrolled: 1-line block ×4, first 2 shown]
	s_and_b64 exec, exec, vcc
	s_cbranch_execz .LBB92_23
; %bb.19:
	v_add_f64 v[8:9], v[6:7], v[8:9]
	v_add_f64 v[6:7], v[10:11], v[12:13]
	v_cmp_eq_f64_e32 vcc, 0, v[3:4]
	s_load_dwordx2 s[0:1], s[4:5], 0x38
	s_and_saveexec_b64 s[2:3], vcc
	s_xor_b64 s[2:3], exec, s[2:3]
	s_cbranch_execz .LBB92_21
; %bb.20:
	v_mul_f64 v[3:4], v[1:2], v[8:9]
	v_lshlrev_b32_e32 v0, 1, v5
	v_mul_f64 v[5:6], v[1:2], v[6:7]
	v_ashrrev_i32_e32 v1, 31, v0
	v_lshlrev_b64 v[0:1], 3, v[0:1]
	s_waitcnt lgkmcnt(0)
	v_mov_b32_e32 v2, s1
	v_add_co_u32_e32 v0, vcc, s0, v0
	v_addc_co_u32_e32 v1, vcc, v2, v1, vcc
	global_store_dwordx4 v[0:1], v[3:6], off
                                        ; implicit-def: $vgpr5
                                        ; implicit-def: $vgpr1_vgpr2
                                        ; implicit-def: $vgpr8_vgpr9
                                        ; implicit-def: $vgpr3_vgpr4
                                        ; implicit-def: $vgpr6_vgpr7
.LBB92_21:
	s_andn2_saveexec_b64 s[2:3], s[2:3]
	s_cbranch_execz .LBB92_23
; %bb.22:
	v_lshlrev_b32_e32 v10, 1, v5
	v_ashrrev_i32_e32 v11, 31, v10
	v_lshlrev_b64 v[10:11], 3, v[10:11]
	s_waitcnt lgkmcnt(0)
	v_mov_b32_e32 v0, s1
	v_add_co_u32_e32 v14, vcc, s0, v10
	v_addc_co_u32_e32 v15, vcc, v0, v11, vcc
	global_load_dwordx4 v[10:13], v[14:15], off
	v_mul_f64 v[8:9], v[1:2], v[8:9]
	v_mul_f64 v[5:6], v[1:2], v[6:7]
	s_waitcnt vmcnt(0)
	v_fma_f64 v[0:1], v[3:4], v[10:11], v[8:9]
	v_fma_f64 v[2:3], v[3:4], v[12:13], v[5:6]
	global_store_dwordx4 v[14:15], v[0:3], off
.LBB92_23:
	s_endpgm
	.section	.rodata,"a",@progbits
	.p2align	6, 0x0
	.amdhsa_kernel _ZN9rocsparseL19gebsrmvn_2xn_kernelILj128ELj5ELj8EdEEvi20rocsparse_direction_NS_24const_host_device_scalarIT2_EEPKiS6_PKS3_S8_S4_PS3_21rocsparse_index_base_b
		.amdhsa_group_segment_fixed_size 0
		.amdhsa_private_segment_fixed_size 0
		.amdhsa_kernarg_size 72
		.amdhsa_user_sgpr_count 6
		.amdhsa_user_sgpr_private_segment_buffer 1
		.amdhsa_user_sgpr_dispatch_ptr 0
		.amdhsa_user_sgpr_queue_ptr 0
		.amdhsa_user_sgpr_kernarg_segment_ptr 1
		.amdhsa_user_sgpr_dispatch_id 0
		.amdhsa_user_sgpr_flat_scratch_init 0
		.amdhsa_user_sgpr_private_segment_size 0
		.amdhsa_uses_dynamic_stack 0
		.amdhsa_system_sgpr_private_segment_wavefront_offset 0
		.amdhsa_system_sgpr_workgroup_id_x 1
		.amdhsa_system_sgpr_workgroup_id_y 0
		.amdhsa_system_sgpr_workgroup_id_z 0
		.amdhsa_system_sgpr_workgroup_info 0
		.amdhsa_system_vgpr_workitem_id 0
		.amdhsa_next_free_vgpr 38
		.amdhsa_next_free_sgpr 16
		.amdhsa_reserve_vcc 1
		.amdhsa_reserve_flat_scratch 0
		.amdhsa_float_round_mode_32 0
		.amdhsa_float_round_mode_16_64 0
		.amdhsa_float_denorm_mode_32 3
		.amdhsa_float_denorm_mode_16_64 3
		.amdhsa_dx10_clamp 1
		.amdhsa_ieee_mode 1
		.amdhsa_fp16_overflow 0
		.amdhsa_exception_fp_ieee_invalid_op 0
		.amdhsa_exception_fp_denorm_src 0
		.amdhsa_exception_fp_ieee_div_zero 0
		.amdhsa_exception_fp_ieee_overflow 0
		.amdhsa_exception_fp_ieee_underflow 0
		.amdhsa_exception_fp_ieee_inexact 0
		.amdhsa_exception_int_div_zero 0
	.end_amdhsa_kernel
	.section	.text._ZN9rocsparseL19gebsrmvn_2xn_kernelILj128ELj5ELj8EdEEvi20rocsparse_direction_NS_24const_host_device_scalarIT2_EEPKiS6_PKS3_S8_S4_PS3_21rocsparse_index_base_b,"axG",@progbits,_ZN9rocsparseL19gebsrmvn_2xn_kernelILj128ELj5ELj8EdEEvi20rocsparse_direction_NS_24const_host_device_scalarIT2_EEPKiS6_PKS3_S8_S4_PS3_21rocsparse_index_base_b,comdat
.Lfunc_end92:
	.size	_ZN9rocsparseL19gebsrmvn_2xn_kernelILj128ELj5ELj8EdEEvi20rocsparse_direction_NS_24const_host_device_scalarIT2_EEPKiS6_PKS3_S8_S4_PS3_21rocsparse_index_base_b, .Lfunc_end92-_ZN9rocsparseL19gebsrmvn_2xn_kernelILj128ELj5ELj8EdEEvi20rocsparse_direction_NS_24const_host_device_scalarIT2_EEPKiS6_PKS3_S8_S4_PS3_21rocsparse_index_base_b
                                        ; -- End function
	.set _ZN9rocsparseL19gebsrmvn_2xn_kernelILj128ELj5ELj8EdEEvi20rocsparse_direction_NS_24const_host_device_scalarIT2_EEPKiS6_PKS3_S8_S4_PS3_21rocsparse_index_base_b.num_vgpr, 38
	.set _ZN9rocsparseL19gebsrmvn_2xn_kernelILj128ELj5ELj8EdEEvi20rocsparse_direction_NS_24const_host_device_scalarIT2_EEPKiS6_PKS3_S8_S4_PS3_21rocsparse_index_base_b.num_agpr, 0
	.set _ZN9rocsparseL19gebsrmvn_2xn_kernelILj128ELj5ELj8EdEEvi20rocsparse_direction_NS_24const_host_device_scalarIT2_EEPKiS6_PKS3_S8_S4_PS3_21rocsparse_index_base_b.numbered_sgpr, 16
	.set _ZN9rocsparseL19gebsrmvn_2xn_kernelILj128ELj5ELj8EdEEvi20rocsparse_direction_NS_24const_host_device_scalarIT2_EEPKiS6_PKS3_S8_S4_PS3_21rocsparse_index_base_b.num_named_barrier, 0
	.set _ZN9rocsparseL19gebsrmvn_2xn_kernelILj128ELj5ELj8EdEEvi20rocsparse_direction_NS_24const_host_device_scalarIT2_EEPKiS6_PKS3_S8_S4_PS3_21rocsparse_index_base_b.private_seg_size, 0
	.set _ZN9rocsparseL19gebsrmvn_2xn_kernelILj128ELj5ELj8EdEEvi20rocsparse_direction_NS_24const_host_device_scalarIT2_EEPKiS6_PKS3_S8_S4_PS3_21rocsparse_index_base_b.uses_vcc, 1
	.set _ZN9rocsparseL19gebsrmvn_2xn_kernelILj128ELj5ELj8EdEEvi20rocsparse_direction_NS_24const_host_device_scalarIT2_EEPKiS6_PKS3_S8_S4_PS3_21rocsparse_index_base_b.uses_flat_scratch, 0
	.set _ZN9rocsparseL19gebsrmvn_2xn_kernelILj128ELj5ELj8EdEEvi20rocsparse_direction_NS_24const_host_device_scalarIT2_EEPKiS6_PKS3_S8_S4_PS3_21rocsparse_index_base_b.has_dyn_sized_stack, 0
	.set _ZN9rocsparseL19gebsrmvn_2xn_kernelILj128ELj5ELj8EdEEvi20rocsparse_direction_NS_24const_host_device_scalarIT2_EEPKiS6_PKS3_S8_S4_PS3_21rocsparse_index_base_b.has_recursion, 0
	.set _ZN9rocsparseL19gebsrmvn_2xn_kernelILj128ELj5ELj8EdEEvi20rocsparse_direction_NS_24const_host_device_scalarIT2_EEPKiS6_PKS3_S8_S4_PS3_21rocsparse_index_base_b.has_indirect_call, 0
	.section	.AMDGPU.csdata,"",@progbits
; Kernel info:
; codeLenInByte = 1780
; TotalNumSgprs: 20
; NumVgprs: 38
; ScratchSize: 0
; MemoryBound: 0
; FloatMode: 240
; IeeeMode: 1
; LDSByteSize: 0 bytes/workgroup (compile time only)
; SGPRBlocks: 2
; VGPRBlocks: 9
; NumSGPRsForWavesPerEU: 20
; NumVGPRsForWavesPerEU: 38
; Occupancy: 6
; WaveLimiterHint : 1
; COMPUTE_PGM_RSRC2:SCRATCH_EN: 0
; COMPUTE_PGM_RSRC2:USER_SGPR: 6
; COMPUTE_PGM_RSRC2:TRAP_HANDLER: 0
; COMPUTE_PGM_RSRC2:TGID_X_EN: 1
; COMPUTE_PGM_RSRC2:TGID_Y_EN: 0
; COMPUTE_PGM_RSRC2:TGID_Z_EN: 0
; COMPUTE_PGM_RSRC2:TIDIG_COMP_CNT: 0
	.section	.text._ZN9rocsparseL19gebsrmvn_2xn_kernelILj128ELj5ELj16EdEEvi20rocsparse_direction_NS_24const_host_device_scalarIT2_EEPKiS6_PKS3_S8_S4_PS3_21rocsparse_index_base_b,"axG",@progbits,_ZN9rocsparseL19gebsrmvn_2xn_kernelILj128ELj5ELj16EdEEvi20rocsparse_direction_NS_24const_host_device_scalarIT2_EEPKiS6_PKS3_S8_S4_PS3_21rocsparse_index_base_b,comdat
	.globl	_ZN9rocsparseL19gebsrmvn_2xn_kernelILj128ELj5ELj16EdEEvi20rocsparse_direction_NS_24const_host_device_scalarIT2_EEPKiS6_PKS3_S8_S4_PS3_21rocsparse_index_base_b ; -- Begin function _ZN9rocsparseL19gebsrmvn_2xn_kernelILj128ELj5ELj16EdEEvi20rocsparse_direction_NS_24const_host_device_scalarIT2_EEPKiS6_PKS3_S8_S4_PS3_21rocsparse_index_base_b
	.p2align	8
	.type	_ZN9rocsparseL19gebsrmvn_2xn_kernelILj128ELj5ELj16EdEEvi20rocsparse_direction_NS_24const_host_device_scalarIT2_EEPKiS6_PKS3_S8_S4_PS3_21rocsparse_index_base_b,@function
_ZN9rocsparseL19gebsrmvn_2xn_kernelILj128ELj5ELj16EdEEvi20rocsparse_direction_NS_24const_host_device_scalarIT2_EEPKiS6_PKS3_S8_S4_PS3_21rocsparse_index_base_b: ; @_ZN9rocsparseL19gebsrmvn_2xn_kernelILj128ELj5ELj16EdEEvi20rocsparse_direction_NS_24const_host_device_scalarIT2_EEPKiS6_PKS3_S8_S4_PS3_21rocsparse_index_base_b
; %bb.0:
	s_load_dwordx2 s[2:3], s[4:5], 0x40
	s_load_dwordx2 s[10:11], s[4:5], 0x8
	s_load_dwordx2 s[0:1], s[4:5], 0x30
	s_waitcnt lgkmcnt(0)
	s_bitcmp1_b32 s3, 0
	s_cselect_b64 s[12:13], -1, 0
	v_mov_b32_e32 v1, s10
	s_xor_b64 s[8:9], s[12:13], -1
	s_and_b64 vcc, exec, s[12:13]
	v_mov_b32_e32 v2, s11
	s_cbranch_vccnz .LBB93_2
; %bb.1:
	v_mov_b32_e32 v1, s10
	v_mov_b32_e32 v2, s11
	flat_load_dwordx2 v[1:2], v[1:2]
.LBB93_2:
	v_mov_b32_e32 v4, s1
	s_andn2_b64 vcc, exec, s[8:9]
	v_mov_b32_e32 v3, s0
	s_cbranch_vccnz .LBB93_4
; %bb.3:
	v_mov_b32_e32 v4, s1
	v_mov_b32_e32 v3, s0
	flat_load_dwordx2 v[3:4], v[3:4]
.LBB93_4:
	s_waitcnt vmcnt(0) lgkmcnt(0)
	v_cmp_neq_f64_e32 vcc, 0, v[1:2]
	v_cmp_neq_f64_e64 s[0:1], 1.0, v[3:4]
	s_or_b64 s[0:1], vcc, s[0:1]
	s_and_saveexec_b64 s[8:9], s[0:1]
	s_cbranch_execz .LBB93_23
; %bb.5:
	s_load_dwordx2 s[0:1], s[4:5], 0x0
	v_lshrrev_b32_e32 v5, 4, v0
	v_lshl_or_b32 v5, s6, 3, v5
	s_waitcnt lgkmcnt(0)
	v_cmp_gt_i32_e32 vcc, s0, v5
	s_and_b64 exec, exec, vcc
	s_cbranch_execz .LBB93_23
; %bb.6:
	s_load_dwordx8 s[8:15], s[4:5], 0x10
	v_ashrrev_i32_e32 v6, 31, v5
	v_lshlrev_b64 v[6:7], 2, v[5:6]
	v_and_b32_e32 v0, 15, v0
	s_cmp_lg_u32 s1, 0
	s_waitcnt lgkmcnt(0)
	v_mov_b32_e32 v8, s9
	v_add_co_u32_e32 v6, vcc, s8, v6
	v_addc_co_u32_e32 v7, vcc, v8, v7, vcc
	global_load_dwordx2 v[6:7], v[6:7], off
	s_waitcnt vmcnt(0)
	v_subrev_u32_e32 v6, s2, v6
	v_subrev_u32_e32 v18, s2, v7
	v_add_u32_e32 v6, v6, v0
	v_cmp_lt_i32_e64 s[0:1], v6, v18
	s_cbranch_scc0 .LBB93_12
; %bb.7:
	v_mov_b32_e32 v8, 0
	v_mov_b32_e32 v10, 0
	;; [unrolled: 1-line block ×4, first 2 shown]
	s_and_saveexec_b64 s[6:7], s[0:1]
	s_cbranch_execz .LBB93_11
; %bb.8:
	v_mad_u64_u32 v[12:13], s[8:9], v6, 10, 8
	v_mov_b32_e32 v8, 0
	v_mov_b32_e32 v10, 0
	;; [unrolled: 1-line block ×3, first 2 shown]
	s_mov_b64 s[8:9], 0
	v_mov_b32_e32 v7, s11
	v_mov_b32_e32 v15, 0
	;; [unrolled: 1-line block ×6, first 2 shown]
.LBB93_9:                               ; =>This Inner Loop Header: Depth=1
	v_ashrrev_i32_e32 v17, 31, v16
	v_lshlrev_b64 v[21:22], 2, v[16:17]
	v_add_u32_e32 v14, -8, v12
	v_lshlrev_b64 v[23:24], 3, v[14:15]
	v_add_co_u32_e32 v27, vcc, s10, v21
	v_addc_co_u32_e32 v28, vcc, v7, v22, vcc
	v_add_co_u32_e32 v31, vcc, s12, v23
	v_addc_co_u32_e32 v32, vcc, v19, v24, vcc
	global_load_dword v17, v[27:28], off
	global_load_dwordx4 v[21:24], v[31:32], off
	v_mov_b32_e32 v13, v15
	v_lshlrev_b64 v[25:26], 3, v[12:13]
	v_add_u32_e32 v14, -6, v12
	v_lshlrev_b64 v[13:14], 3, v[14:15]
	v_add_co_u32_e32 v33, vcc, s12, v25
	v_mov_b32_e32 v30, v15
	v_addc_co_u32_e32 v34, vcc, v19, v26, vcc
	v_add_co_u32_e32 v13, vcc, s12, v13
	v_addc_co_u32_e32 v14, vcc, v19, v14, vcc
	v_add_u32_e32 v16, 16, v16
	s_waitcnt vmcnt(1)
	v_subrev_u32_e32 v17, s2, v17
	v_lshl_add_u32 v29, v17, 2, v17
	v_lshlrev_b64 v[25:26], 3, v[29:30]
	v_add_co_u32_e32 v30, vcc, s14, v25
	v_addc_co_u32_e32 v31, vcc, v20, v26, vcc
	global_load_dwordx4 v[25:28], v[33:34], off
	global_load_dwordx2 v[35:36], v[30:31], off
	s_waitcnt vmcnt(0)
	v_fma_f64 v[21:22], v[21:22], v[35:36], v[8:9]
	v_fma_f64 v[23:24], v[23:24], v[35:36], v[10:11]
	global_load_dwordx4 v[8:11], v[13:14], off
	v_add_u32_e32 v14, 1, v29
	v_lshlrev_b64 v[30:31], 3, v[14:15]
	v_add_u32_e32 v14, -4, v12
	v_add_co_u32_e32 v30, vcc, s14, v30
	v_addc_co_u32_e32 v31, vcc, v20, v31, vcc
	global_load_dwordx2 v[30:31], v[30:31], off
	v_lshlrev_b64 v[32:33], 3, v[14:15]
	v_add_u32_e32 v14, 2, v29
	s_waitcnt vmcnt(0)
	v_fma_f64 v[21:22], v[8:9], v[30:31], v[21:22]
	v_fma_f64 v[23:24], v[10:11], v[30:31], v[23:24]
	v_lshlrev_b64 v[8:9], 3, v[14:15]
	v_add_co_u32_e32 v30, vcc, s12, v32
	v_addc_co_u32_e32 v31, vcc, v19, v33, vcc
	v_add_co_u32_e32 v34, vcc, s14, v8
	v_addc_co_u32_e32 v35, vcc, v20, v9, vcc
	global_load_dwordx4 v[8:11], v[30:31], off
	global_load_dwordx2 v[36:37], v[34:35], off
	v_add_u32_e32 v14, -2, v12
	v_lshlrev_b64 v[32:33], 3, v[14:15]
	v_add_u32_e32 v14, 3, v29
	v_add_co_u32_e32 v13, vcc, s12, v32
	v_add_u32_e32 v12, 0xa0, v12
	s_waitcnt vmcnt(0)
	v_fma_f64 v[21:22], v[8:9], v[36:37], v[21:22]
	v_lshlrev_b64 v[8:9], 3, v[14:15]
	v_addc_co_u32_e32 v14, vcc, v19, v33, vcc
	v_add_co_u32_e32 v30, vcc, s14, v8
	v_fma_f64 v[23:24], v[10:11], v[36:37], v[23:24]
	v_addc_co_u32_e32 v31, vcc, v20, v9, vcc
	global_load_dwordx4 v[8:11], v[13:14], off
	global_load_dwordx2 v[32:33], v[30:31], off
	v_add_u32_e32 v14, 4, v29
	v_lshlrev_b64 v[13:14], 3, v[14:15]
	v_add_co_u32_e32 v13, vcc, s14, v13
	v_addc_co_u32_e32 v14, vcc, v20, v14, vcc
	global_load_dwordx2 v[13:14], v[13:14], off
	v_cmp_ge_i32_e32 vcc, v16, v18
	s_or_b64 s[8:9], vcc, s[8:9]
	s_waitcnt vmcnt(1)
	v_fma_f64 v[8:9], v[8:9], v[32:33], v[21:22]
	v_fma_f64 v[10:11], v[10:11], v[32:33], v[23:24]
	s_waitcnt vmcnt(0)
	v_fma_f64 v[8:9], v[25:26], v[13:14], v[8:9]
	v_fma_f64 v[10:11], v[27:28], v[13:14], v[10:11]
	s_andn2_b64 exec, exec, s[8:9]
	s_cbranch_execnz .LBB93_9
; %bb.10:
	s_or_b64 exec, exec, s[8:9]
.LBB93_11:
	s_or_b64 exec, exec, s[6:7]
	s_cbranch_execz .LBB93_13
	s_branch .LBB93_18
.LBB93_12:
                                        ; implicit-def: $vgpr8_vgpr9
                                        ; implicit-def: $vgpr10_vgpr11
.LBB93_13:
	v_mov_b32_e32 v8, 0
	v_mov_b32_e32 v10, 0
	;; [unrolled: 1-line block ×4, first 2 shown]
	s_and_saveexec_b64 s[6:7], s[0:1]
	s_cbranch_execz .LBB93_17
; %bb.14:
	v_mad_u64_u32 v[12:13], s[0:1], v6, 10, 9
	v_mov_b32_e32 v8, 0
	v_mov_b32_e32 v10, 0
	;; [unrolled: 1-line block ×3, first 2 shown]
	s_mov_b64 s[0:1], 0
	v_mov_b32_e32 v16, s11
	v_mov_b32_e32 v15, 0
	;; [unrolled: 1-line block ×5, first 2 shown]
.LBB93_15:                              ; =>This Inner Loop Header: Depth=1
	v_ashrrev_i32_e32 v7, 31, v6
	v_lshlrev_b64 v[22:23], 2, v[6:7]
	v_add_u32_e32 v14, -9, v12
	v_add_co_u32_e32 v22, vcc, s10, v22
	v_addc_co_u32_e32 v23, vcc, v16, v23, vcc
	global_load_dword v7, v[22:23], off
	v_lshlrev_b64 v[24:25], 3, v[14:15]
	v_add_u32_e32 v20, -4, v12
	v_mov_b32_e32 v21, v15
	v_lshlrev_b64 v[20:21], 3, v[20:21]
	v_add_co_u32_e32 v24, vcc, s12, v24
	v_mov_b32_e32 v13, v15
	v_addc_co_u32_e32 v25, vcc, v17, v25, vcc
	v_lshlrev_b64 v[13:14], 3, v[12:13]
	v_add_co_u32_e32 v20, vcc, s12, v20
	v_addc_co_u32_e32 v21, vcc, v17, v21, vcc
	v_add_co_u32_e32 v26, vcc, s12, v13
	v_addc_co_u32_e32 v27, vcc, v17, v14, vcc
	v_mov_b32_e32 v14, v15
	v_add_u32_e32 v6, 16, v6
	s_waitcnt vmcnt(0)
	v_subrev_u32_e32 v7, s2, v7
	v_lshl_add_u32 v13, v7, 2, v7
	v_lshlrev_b64 v[22:23], 3, v[13:14]
	v_add_u32_e32 v14, 1, v13
	v_add_co_u32_e32 v22, vcc, s14, v22
	v_addc_co_u32_e32 v23, vcc, v19, v23, vcc
	global_load_dwordx2 v[30:31], v[20:21], off
	global_load_dwordx2 v[32:33], v[22:23], off
	v_lshlrev_b64 v[28:29], 3, v[14:15]
	global_load_dwordx4 v[20:23], v[24:25], off
	v_add_co_u32_e32 v28, vcc, s14, v28
	v_addc_co_u32_e32 v29, vcc, v19, v29, vcc
	v_add_u32_e32 v14, -3, v12
	s_waitcnt vmcnt(1)
	v_fma_f64 v[10:11], v[30:31], v[32:33], v[10:11]
	s_waitcnt vmcnt(0)
	v_fma_f64 v[7:8], v[20:21], v[32:33], v[8:9]
	global_load_dwordx2 v[20:21], v[28:29], off
	s_waitcnt vmcnt(0)
	v_fma_f64 v[7:8], v[22:23], v[20:21], v[7:8]
	v_lshlrev_b64 v[22:23], 3, v[14:15]
	v_add_u32_e32 v14, -7, v12
	v_add_co_u32_e32 v22, vcc, s12, v22
	v_lshlrev_b64 v[24:25], 3, v[14:15]
	v_addc_co_u32_e32 v23, vcc, v17, v23, vcc
	v_add_co_u32_e32 v24, vcc, s12, v24
	v_addc_co_u32_e32 v25, vcc, v17, v25, vcc
	global_load_dwordx2 v[28:29], v[22:23], off
	global_load_dwordx2 v[30:31], v[24:25], off
	v_add_u32_e32 v14, 2, v13
	s_waitcnt vmcnt(1)
	v_fma_f64 v[9:10], v[28:29], v[20:21], v[10:11]
	v_lshlrev_b64 v[20:21], 3, v[14:15]
	v_add_u32_e32 v14, -2, v12
	v_add_co_u32_e32 v20, vcc, s14, v20
	v_addc_co_u32_e32 v21, vcc, v19, v21, vcc
	global_load_dwordx2 v[20:21], v[20:21], off
	v_lshlrev_b64 v[22:23], 3, v[14:15]
	v_add_u32_e32 v14, -6, v12
	v_add_co_u32_e32 v22, vcc, s12, v22
	v_lshlrev_b64 v[24:25], 3, v[14:15]
	v_addc_co_u32_e32 v23, vcc, v17, v23, vcc
	v_add_co_u32_e32 v24, vcc, s12, v24
	v_addc_co_u32_e32 v25, vcc, v17, v25, vcc
	v_add_u32_e32 v14, 3, v13
	s_waitcnt vmcnt(0)
	v_fma_f64 v[7:8], v[30:31], v[20:21], v[7:8]
	global_load_dwordx2 v[28:29], v[22:23], off
	global_load_dwordx2 v[30:31], v[24:25], off
	s_waitcnt vmcnt(1)
	v_fma_f64 v[9:10], v[28:29], v[20:21], v[9:10]
	v_lshlrev_b64 v[20:21], 3, v[14:15]
	v_add_u32_e32 v14, -1, v12
	v_add_co_u32_e32 v20, vcc, s14, v20
	v_addc_co_u32_e32 v21, vcc, v19, v21, vcc
	global_load_dwordx2 v[20:21], v[20:21], off
	v_lshlrev_b64 v[22:23], 3, v[14:15]
	v_add_u32_e32 v14, -5, v12
	v_lshlrev_b64 v[24:25], 3, v[14:15]
	v_add_co_u32_e32 v22, vcc, s12, v22
	v_add_u32_e32 v14, 4, v13
	v_addc_co_u32_e32 v23, vcc, v17, v23, vcc
	v_add_co_u32_e32 v24, vcc, s12, v24
	v_lshlrev_b64 v[13:14], 3, v[14:15]
	v_addc_co_u32_e32 v25, vcc, v17, v25, vcc
	v_add_co_u32_e32 v13, vcc, s14, v13
	v_addc_co_u32_e32 v14, vcc, v19, v14, vcc
	v_cmp_ge_i32_e32 vcc, v6, v18
	s_or_b64 s[0:1], vcc, s[0:1]
	v_add_u32_e32 v12, 0xa0, v12
	s_waitcnt vmcnt(0)
	v_fma_f64 v[7:8], v[30:31], v[20:21], v[7:8]
	global_load_dwordx2 v[28:29], v[22:23], off
	global_load_dwordx2 v[30:31], v[26:27], off
	global_load_dwordx2 v[32:33], v[24:25], off
	global_load_dwordx2 v[34:35], v[13:14], off
	s_waitcnt vmcnt(3)
	v_fma_f64 v[10:11], v[28:29], v[20:21], v[9:10]
	s_waitcnt vmcnt(0)
	v_fma_f64 v[8:9], v[32:33], v[34:35], v[7:8]
	v_fma_f64 v[10:11], v[30:31], v[34:35], v[10:11]
	s_andn2_b64 exec, exec, s[0:1]
	s_cbranch_execnz .LBB93_15
; %bb.16:
	s_or_b64 exec, exec, s[0:1]
.LBB93_17:
	s_or_b64 exec, exec, s[6:7]
.LBB93_18:
	v_mov_b32_dpp v6, v8 row_shr:1 row_mask:0xf bank_mask:0xf
	v_mov_b32_dpp v7, v9 row_shr:1 row_mask:0xf bank_mask:0xf
	v_add_f64 v[6:7], v[8:9], v[6:7]
	v_mov_b32_dpp v8, v10 row_shr:1 row_mask:0xf bank_mask:0xf
	v_mov_b32_dpp v9, v11 row_shr:1 row_mask:0xf bank_mask:0xf
	v_add_f64 v[8:9], v[10:11], v[8:9]
	v_cmp_eq_u32_e32 vcc, 15, v0
	v_mov_b32_dpp v10, v6 row_shr:2 row_mask:0xf bank_mask:0xf
	v_mov_b32_dpp v11, v7 row_shr:2 row_mask:0xf bank_mask:0xf
	v_add_f64 v[6:7], v[6:7], v[10:11]
	v_mov_b32_dpp v12, v8 row_shr:2 row_mask:0xf bank_mask:0xf
	v_mov_b32_dpp v13, v9 row_shr:2 row_mask:0xf bank_mask:0xf
	v_add_f64 v[8:9], v[8:9], v[12:13]
	;; [unrolled: 3-line block ×4, first 2 shown]
	v_mov_b32_dpp v8, v6 row_shr:8 row_mask:0xf bank_mask:0xc
	v_mov_b32_dpp v9, v7 row_shr:8 row_mask:0xf bank_mask:0xc
	v_mov_b32_dpp v12, v10 row_shr:8 row_mask:0xf bank_mask:0xc
	v_mov_b32_dpp v13, v11 row_shr:8 row_mask:0xf bank_mask:0xc
	s_and_b64 exec, exec, vcc
	s_cbranch_execz .LBB93_23
; %bb.19:
	v_add_f64 v[8:9], v[6:7], v[8:9]
	v_add_f64 v[6:7], v[10:11], v[12:13]
	v_cmp_eq_f64_e32 vcc, 0, v[3:4]
	s_load_dwordx2 s[0:1], s[4:5], 0x38
	s_and_saveexec_b64 s[2:3], vcc
	s_xor_b64 s[2:3], exec, s[2:3]
	s_cbranch_execz .LBB93_21
; %bb.20:
	v_mul_f64 v[3:4], v[1:2], v[8:9]
	v_lshlrev_b32_e32 v0, 1, v5
	v_mul_f64 v[5:6], v[1:2], v[6:7]
	v_ashrrev_i32_e32 v1, 31, v0
	v_lshlrev_b64 v[0:1], 3, v[0:1]
	s_waitcnt lgkmcnt(0)
	v_mov_b32_e32 v2, s1
	v_add_co_u32_e32 v0, vcc, s0, v0
	v_addc_co_u32_e32 v1, vcc, v2, v1, vcc
	global_store_dwordx4 v[0:1], v[3:6], off
                                        ; implicit-def: $vgpr5
                                        ; implicit-def: $vgpr1_vgpr2
                                        ; implicit-def: $vgpr8_vgpr9
                                        ; implicit-def: $vgpr3_vgpr4
                                        ; implicit-def: $vgpr6_vgpr7
.LBB93_21:
	s_andn2_saveexec_b64 s[2:3], s[2:3]
	s_cbranch_execz .LBB93_23
; %bb.22:
	v_lshlrev_b32_e32 v10, 1, v5
	v_ashrrev_i32_e32 v11, 31, v10
	v_lshlrev_b64 v[10:11], 3, v[10:11]
	s_waitcnt lgkmcnt(0)
	v_mov_b32_e32 v0, s1
	v_add_co_u32_e32 v14, vcc, s0, v10
	v_addc_co_u32_e32 v15, vcc, v0, v11, vcc
	global_load_dwordx4 v[10:13], v[14:15], off
	v_mul_f64 v[8:9], v[1:2], v[8:9]
	v_mul_f64 v[5:6], v[1:2], v[6:7]
	s_waitcnt vmcnt(0)
	v_fma_f64 v[0:1], v[3:4], v[10:11], v[8:9]
	v_fma_f64 v[2:3], v[3:4], v[12:13], v[5:6]
	global_store_dwordx4 v[14:15], v[0:3], off
.LBB93_23:
	s_endpgm
	.section	.rodata,"a",@progbits
	.p2align	6, 0x0
	.amdhsa_kernel _ZN9rocsparseL19gebsrmvn_2xn_kernelILj128ELj5ELj16EdEEvi20rocsparse_direction_NS_24const_host_device_scalarIT2_EEPKiS6_PKS3_S8_S4_PS3_21rocsparse_index_base_b
		.amdhsa_group_segment_fixed_size 0
		.amdhsa_private_segment_fixed_size 0
		.amdhsa_kernarg_size 72
		.amdhsa_user_sgpr_count 6
		.amdhsa_user_sgpr_private_segment_buffer 1
		.amdhsa_user_sgpr_dispatch_ptr 0
		.amdhsa_user_sgpr_queue_ptr 0
		.amdhsa_user_sgpr_kernarg_segment_ptr 1
		.amdhsa_user_sgpr_dispatch_id 0
		.amdhsa_user_sgpr_flat_scratch_init 0
		.amdhsa_user_sgpr_private_segment_size 0
		.amdhsa_uses_dynamic_stack 0
		.amdhsa_system_sgpr_private_segment_wavefront_offset 0
		.amdhsa_system_sgpr_workgroup_id_x 1
		.amdhsa_system_sgpr_workgroup_id_y 0
		.amdhsa_system_sgpr_workgroup_id_z 0
		.amdhsa_system_sgpr_workgroup_info 0
		.amdhsa_system_vgpr_workitem_id 0
		.amdhsa_next_free_vgpr 38
		.amdhsa_next_free_sgpr 16
		.amdhsa_reserve_vcc 1
		.amdhsa_reserve_flat_scratch 0
		.amdhsa_float_round_mode_32 0
		.amdhsa_float_round_mode_16_64 0
		.amdhsa_float_denorm_mode_32 3
		.amdhsa_float_denorm_mode_16_64 3
		.amdhsa_dx10_clamp 1
		.amdhsa_ieee_mode 1
		.amdhsa_fp16_overflow 0
		.amdhsa_exception_fp_ieee_invalid_op 0
		.amdhsa_exception_fp_denorm_src 0
		.amdhsa_exception_fp_ieee_div_zero 0
		.amdhsa_exception_fp_ieee_overflow 0
		.amdhsa_exception_fp_ieee_underflow 0
		.amdhsa_exception_fp_ieee_inexact 0
		.amdhsa_exception_int_div_zero 0
	.end_amdhsa_kernel
	.section	.text._ZN9rocsparseL19gebsrmvn_2xn_kernelILj128ELj5ELj16EdEEvi20rocsparse_direction_NS_24const_host_device_scalarIT2_EEPKiS6_PKS3_S8_S4_PS3_21rocsparse_index_base_b,"axG",@progbits,_ZN9rocsparseL19gebsrmvn_2xn_kernelILj128ELj5ELj16EdEEvi20rocsparse_direction_NS_24const_host_device_scalarIT2_EEPKiS6_PKS3_S8_S4_PS3_21rocsparse_index_base_b,comdat
.Lfunc_end93:
	.size	_ZN9rocsparseL19gebsrmvn_2xn_kernelILj128ELj5ELj16EdEEvi20rocsparse_direction_NS_24const_host_device_scalarIT2_EEPKiS6_PKS3_S8_S4_PS3_21rocsparse_index_base_b, .Lfunc_end93-_ZN9rocsparseL19gebsrmvn_2xn_kernelILj128ELj5ELj16EdEEvi20rocsparse_direction_NS_24const_host_device_scalarIT2_EEPKiS6_PKS3_S8_S4_PS3_21rocsparse_index_base_b
                                        ; -- End function
	.set _ZN9rocsparseL19gebsrmvn_2xn_kernelILj128ELj5ELj16EdEEvi20rocsparse_direction_NS_24const_host_device_scalarIT2_EEPKiS6_PKS3_S8_S4_PS3_21rocsparse_index_base_b.num_vgpr, 38
	.set _ZN9rocsparseL19gebsrmvn_2xn_kernelILj128ELj5ELj16EdEEvi20rocsparse_direction_NS_24const_host_device_scalarIT2_EEPKiS6_PKS3_S8_S4_PS3_21rocsparse_index_base_b.num_agpr, 0
	.set _ZN9rocsparseL19gebsrmvn_2xn_kernelILj128ELj5ELj16EdEEvi20rocsparse_direction_NS_24const_host_device_scalarIT2_EEPKiS6_PKS3_S8_S4_PS3_21rocsparse_index_base_b.numbered_sgpr, 16
	.set _ZN9rocsparseL19gebsrmvn_2xn_kernelILj128ELj5ELj16EdEEvi20rocsparse_direction_NS_24const_host_device_scalarIT2_EEPKiS6_PKS3_S8_S4_PS3_21rocsparse_index_base_b.num_named_barrier, 0
	.set _ZN9rocsparseL19gebsrmvn_2xn_kernelILj128ELj5ELj16EdEEvi20rocsparse_direction_NS_24const_host_device_scalarIT2_EEPKiS6_PKS3_S8_S4_PS3_21rocsparse_index_base_b.private_seg_size, 0
	.set _ZN9rocsparseL19gebsrmvn_2xn_kernelILj128ELj5ELj16EdEEvi20rocsparse_direction_NS_24const_host_device_scalarIT2_EEPKiS6_PKS3_S8_S4_PS3_21rocsparse_index_base_b.uses_vcc, 1
	.set _ZN9rocsparseL19gebsrmvn_2xn_kernelILj128ELj5ELj16EdEEvi20rocsparse_direction_NS_24const_host_device_scalarIT2_EEPKiS6_PKS3_S8_S4_PS3_21rocsparse_index_base_b.uses_flat_scratch, 0
	.set _ZN9rocsparseL19gebsrmvn_2xn_kernelILj128ELj5ELj16EdEEvi20rocsparse_direction_NS_24const_host_device_scalarIT2_EEPKiS6_PKS3_S8_S4_PS3_21rocsparse_index_base_b.has_dyn_sized_stack, 0
	.set _ZN9rocsparseL19gebsrmvn_2xn_kernelILj128ELj5ELj16EdEEvi20rocsparse_direction_NS_24const_host_device_scalarIT2_EEPKiS6_PKS3_S8_S4_PS3_21rocsparse_index_base_b.has_recursion, 0
	.set _ZN9rocsparseL19gebsrmvn_2xn_kernelILj128ELj5ELj16EdEEvi20rocsparse_direction_NS_24const_host_device_scalarIT2_EEPKiS6_PKS3_S8_S4_PS3_21rocsparse_index_base_b.has_indirect_call, 0
	.section	.AMDGPU.csdata,"",@progbits
; Kernel info:
; codeLenInByte = 1828
; TotalNumSgprs: 20
; NumVgprs: 38
; ScratchSize: 0
; MemoryBound: 0
; FloatMode: 240
; IeeeMode: 1
; LDSByteSize: 0 bytes/workgroup (compile time only)
; SGPRBlocks: 2
; VGPRBlocks: 9
; NumSGPRsForWavesPerEU: 20
; NumVGPRsForWavesPerEU: 38
; Occupancy: 6
; WaveLimiterHint : 1
; COMPUTE_PGM_RSRC2:SCRATCH_EN: 0
; COMPUTE_PGM_RSRC2:USER_SGPR: 6
; COMPUTE_PGM_RSRC2:TRAP_HANDLER: 0
; COMPUTE_PGM_RSRC2:TGID_X_EN: 1
; COMPUTE_PGM_RSRC2:TGID_Y_EN: 0
; COMPUTE_PGM_RSRC2:TGID_Z_EN: 0
; COMPUTE_PGM_RSRC2:TIDIG_COMP_CNT: 0
	.section	.text._ZN9rocsparseL19gebsrmvn_2xn_kernelILj128ELj5ELj32EdEEvi20rocsparse_direction_NS_24const_host_device_scalarIT2_EEPKiS6_PKS3_S8_S4_PS3_21rocsparse_index_base_b,"axG",@progbits,_ZN9rocsparseL19gebsrmvn_2xn_kernelILj128ELj5ELj32EdEEvi20rocsparse_direction_NS_24const_host_device_scalarIT2_EEPKiS6_PKS3_S8_S4_PS3_21rocsparse_index_base_b,comdat
	.globl	_ZN9rocsparseL19gebsrmvn_2xn_kernelILj128ELj5ELj32EdEEvi20rocsparse_direction_NS_24const_host_device_scalarIT2_EEPKiS6_PKS3_S8_S4_PS3_21rocsparse_index_base_b ; -- Begin function _ZN9rocsparseL19gebsrmvn_2xn_kernelILj128ELj5ELj32EdEEvi20rocsparse_direction_NS_24const_host_device_scalarIT2_EEPKiS6_PKS3_S8_S4_PS3_21rocsparse_index_base_b
	.p2align	8
	.type	_ZN9rocsparseL19gebsrmvn_2xn_kernelILj128ELj5ELj32EdEEvi20rocsparse_direction_NS_24const_host_device_scalarIT2_EEPKiS6_PKS3_S8_S4_PS3_21rocsparse_index_base_b,@function
_ZN9rocsparseL19gebsrmvn_2xn_kernelILj128ELj5ELj32EdEEvi20rocsparse_direction_NS_24const_host_device_scalarIT2_EEPKiS6_PKS3_S8_S4_PS3_21rocsparse_index_base_b: ; @_ZN9rocsparseL19gebsrmvn_2xn_kernelILj128ELj5ELj32EdEEvi20rocsparse_direction_NS_24const_host_device_scalarIT2_EEPKiS6_PKS3_S8_S4_PS3_21rocsparse_index_base_b
; %bb.0:
	s_load_dwordx2 s[2:3], s[4:5], 0x40
	s_load_dwordx2 s[10:11], s[4:5], 0x8
	;; [unrolled: 1-line block ×3, first 2 shown]
	s_waitcnt lgkmcnt(0)
	s_bitcmp1_b32 s3, 0
	s_cselect_b64 s[12:13], -1, 0
	v_mov_b32_e32 v1, s10
	s_xor_b64 s[8:9], s[12:13], -1
	s_and_b64 vcc, exec, s[12:13]
	v_mov_b32_e32 v2, s11
	s_cbranch_vccnz .LBB94_2
; %bb.1:
	v_mov_b32_e32 v1, s10
	v_mov_b32_e32 v2, s11
	flat_load_dwordx2 v[1:2], v[1:2]
.LBB94_2:
	v_mov_b32_e32 v4, s1
	s_andn2_b64 vcc, exec, s[8:9]
	v_mov_b32_e32 v3, s0
	s_cbranch_vccnz .LBB94_4
; %bb.3:
	v_mov_b32_e32 v4, s1
	v_mov_b32_e32 v3, s0
	flat_load_dwordx2 v[3:4], v[3:4]
.LBB94_4:
	s_waitcnt vmcnt(0) lgkmcnt(0)
	v_cmp_neq_f64_e32 vcc, 0, v[1:2]
	v_cmp_neq_f64_e64 s[0:1], 1.0, v[3:4]
	s_or_b64 s[0:1], vcc, s[0:1]
	s_and_saveexec_b64 s[8:9], s[0:1]
	s_cbranch_execz .LBB94_23
; %bb.5:
	s_load_dwordx2 s[0:1], s[4:5], 0x0
	v_lshrrev_b32_e32 v5, 5, v0
	v_lshl_or_b32 v5, s6, 2, v5
	s_waitcnt lgkmcnt(0)
	v_cmp_gt_i32_e32 vcc, s0, v5
	s_and_b64 exec, exec, vcc
	s_cbranch_execz .LBB94_23
; %bb.6:
	s_load_dwordx8 s[8:15], s[4:5], 0x10
	v_ashrrev_i32_e32 v6, 31, v5
	v_lshlrev_b64 v[6:7], 2, v[5:6]
	v_and_b32_e32 v0, 31, v0
	s_cmp_lg_u32 s1, 0
	s_waitcnt lgkmcnt(0)
	v_mov_b32_e32 v8, s9
	v_add_co_u32_e32 v6, vcc, s8, v6
	v_addc_co_u32_e32 v7, vcc, v8, v7, vcc
	global_load_dwordx2 v[6:7], v[6:7], off
	s_waitcnt vmcnt(0)
	v_subrev_u32_e32 v6, s2, v6
	v_subrev_u32_e32 v18, s2, v7
	v_add_u32_e32 v6, v6, v0
	v_cmp_lt_i32_e64 s[0:1], v6, v18
	s_cbranch_scc0 .LBB94_12
; %bb.7:
	v_mov_b32_e32 v8, 0
	v_mov_b32_e32 v10, 0
	;; [unrolled: 1-line block ×4, first 2 shown]
	s_and_saveexec_b64 s[6:7], s[0:1]
	s_cbranch_execz .LBB94_11
; %bb.8:
	v_mad_u64_u32 v[12:13], s[8:9], v6, 10, 8
	v_mov_b32_e32 v8, 0
	v_mov_b32_e32 v10, 0
	v_mov_b32_e32 v9, 0
	s_mov_b64 s[8:9], 0
	v_mov_b32_e32 v7, s11
	v_mov_b32_e32 v15, 0
	;; [unrolled: 1-line block ×6, first 2 shown]
.LBB94_9:                               ; =>This Inner Loop Header: Depth=1
	v_ashrrev_i32_e32 v17, 31, v16
	v_lshlrev_b64 v[21:22], 2, v[16:17]
	v_add_u32_e32 v14, -8, v12
	v_lshlrev_b64 v[23:24], 3, v[14:15]
	v_add_co_u32_e32 v27, vcc, s10, v21
	v_addc_co_u32_e32 v28, vcc, v7, v22, vcc
	v_add_co_u32_e32 v31, vcc, s12, v23
	v_addc_co_u32_e32 v32, vcc, v19, v24, vcc
	global_load_dword v17, v[27:28], off
	global_load_dwordx4 v[21:24], v[31:32], off
	v_mov_b32_e32 v13, v15
	v_lshlrev_b64 v[25:26], 3, v[12:13]
	v_add_u32_e32 v14, -6, v12
	v_lshlrev_b64 v[13:14], 3, v[14:15]
	v_add_co_u32_e32 v33, vcc, s12, v25
	v_mov_b32_e32 v30, v15
	v_addc_co_u32_e32 v34, vcc, v19, v26, vcc
	v_add_co_u32_e32 v13, vcc, s12, v13
	v_addc_co_u32_e32 v14, vcc, v19, v14, vcc
	v_add_u32_e32 v16, 32, v16
	s_waitcnt vmcnt(1)
	v_subrev_u32_e32 v17, s2, v17
	v_lshl_add_u32 v29, v17, 2, v17
	v_lshlrev_b64 v[25:26], 3, v[29:30]
	v_add_co_u32_e32 v30, vcc, s14, v25
	v_addc_co_u32_e32 v31, vcc, v20, v26, vcc
	global_load_dwordx4 v[25:28], v[33:34], off
	global_load_dwordx2 v[35:36], v[30:31], off
	s_waitcnt vmcnt(0)
	v_fma_f64 v[21:22], v[21:22], v[35:36], v[8:9]
	v_fma_f64 v[23:24], v[23:24], v[35:36], v[10:11]
	global_load_dwordx4 v[8:11], v[13:14], off
	v_add_u32_e32 v14, 1, v29
	v_lshlrev_b64 v[30:31], 3, v[14:15]
	v_add_u32_e32 v14, -4, v12
	v_add_co_u32_e32 v30, vcc, s14, v30
	v_addc_co_u32_e32 v31, vcc, v20, v31, vcc
	global_load_dwordx2 v[30:31], v[30:31], off
	v_lshlrev_b64 v[32:33], 3, v[14:15]
	v_add_u32_e32 v14, 2, v29
	s_waitcnt vmcnt(0)
	v_fma_f64 v[21:22], v[8:9], v[30:31], v[21:22]
	v_fma_f64 v[23:24], v[10:11], v[30:31], v[23:24]
	v_lshlrev_b64 v[8:9], 3, v[14:15]
	v_add_co_u32_e32 v30, vcc, s12, v32
	v_addc_co_u32_e32 v31, vcc, v19, v33, vcc
	v_add_co_u32_e32 v34, vcc, s14, v8
	v_addc_co_u32_e32 v35, vcc, v20, v9, vcc
	global_load_dwordx4 v[8:11], v[30:31], off
	global_load_dwordx2 v[36:37], v[34:35], off
	v_add_u32_e32 v14, -2, v12
	v_lshlrev_b64 v[32:33], 3, v[14:15]
	v_add_u32_e32 v14, 3, v29
	v_add_co_u32_e32 v13, vcc, s12, v32
	v_add_u32_e32 v12, 0x140, v12
	s_waitcnt vmcnt(0)
	v_fma_f64 v[21:22], v[8:9], v[36:37], v[21:22]
	v_lshlrev_b64 v[8:9], 3, v[14:15]
	v_addc_co_u32_e32 v14, vcc, v19, v33, vcc
	v_add_co_u32_e32 v30, vcc, s14, v8
	v_fma_f64 v[23:24], v[10:11], v[36:37], v[23:24]
	v_addc_co_u32_e32 v31, vcc, v20, v9, vcc
	global_load_dwordx4 v[8:11], v[13:14], off
	global_load_dwordx2 v[32:33], v[30:31], off
	v_add_u32_e32 v14, 4, v29
	v_lshlrev_b64 v[13:14], 3, v[14:15]
	v_add_co_u32_e32 v13, vcc, s14, v13
	v_addc_co_u32_e32 v14, vcc, v20, v14, vcc
	global_load_dwordx2 v[13:14], v[13:14], off
	v_cmp_ge_i32_e32 vcc, v16, v18
	s_or_b64 s[8:9], vcc, s[8:9]
	s_waitcnt vmcnt(1)
	v_fma_f64 v[8:9], v[8:9], v[32:33], v[21:22]
	v_fma_f64 v[10:11], v[10:11], v[32:33], v[23:24]
	s_waitcnt vmcnt(0)
	v_fma_f64 v[8:9], v[25:26], v[13:14], v[8:9]
	v_fma_f64 v[10:11], v[27:28], v[13:14], v[10:11]
	s_andn2_b64 exec, exec, s[8:9]
	s_cbranch_execnz .LBB94_9
; %bb.10:
	s_or_b64 exec, exec, s[8:9]
.LBB94_11:
	s_or_b64 exec, exec, s[6:7]
	s_cbranch_execz .LBB94_13
	s_branch .LBB94_18
.LBB94_12:
                                        ; implicit-def: $vgpr8_vgpr9
                                        ; implicit-def: $vgpr10_vgpr11
.LBB94_13:
	v_mov_b32_e32 v8, 0
	v_mov_b32_e32 v10, 0
	;; [unrolled: 1-line block ×4, first 2 shown]
	s_and_saveexec_b64 s[6:7], s[0:1]
	s_cbranch_execz .LBB94_17
; %bb.14:
	v_mad_u64_u32 v[12:13], s[0:1], v6, 10, 9
	v_mov_b32_e32 v8, 0
	v_mov_b32_e32 v10, 0
	;; [unrolled: 1-line block ×3, first 2 shown]
	s_mov_b64 s[0:1], 0
	v_mov_b32_e32 v16, s11
	v_mov_b32_e32 v15, 0
	v_mov_b32_e32 v17, s13
	v_mov_b32_e32 v11, 0
	v_mov_b32_e32 v19, s15
.LBB94_15:                              ; =>This Inner Loop Header: Depth=1
	v_ashrrev_i32_e32 v7, 31, v6
	v_lshlrev_b64 v[22:23], 2, v[6:7]
	v_add_u32_e32 v14, -9, v12
	v_add_co_u32_e32 v22, vcc, s10, v22
	v_addc_co_u32_e32 v23, vcc, v16, v23, vcc
	global_load_dword v7, v[22:23], off
	v_lshlrev_b64 v[24:25], 3, v[14:15]
	v_add_u32_e32 v20, -4, v12
	v_mov_b32_e32 v21, v15
	v_lshlrev_b64 v[20:21], 3, v[20:21]
	v_add_co_u32_e32 v24, vcc, s12, v24
	v_mov_b32_e32 v13, v15
	v_addc_co_u32_e32 v25, vcc, v17, v25, vcc
	v_lshlrev_b64 v[13:14], 3, v[12:13]
	v_add_co_u32_e32 v20, vcc, s12, v20
	v_addc_co_u32_e32 v21, vcc, v17, v21, vcc
	v_add_co_u32_e32 v26, vcc, s12, v13
	v_addc_co_u32_e32 v27, vcc, v17, v14, vcc
	v_mov_b32_e32 v14, v15
	v_add_u32_e32 v6, 32, v6
	s_waitcnt vmcnt(0)
	v_subrev_u32_e32 v7, s2, v7
	v_lshl_add_u32 v13, v7, 2, v7
	v_lshlrev_b64 v[22:23], 3, v[13:14]
	v_add_u32_e32 v14, 1, v13
	v_add_co_u32_e32 v22, vcc, s14, v22
	v_addc_co_u32_e32 v23, vcc, v19, v23, vcc
	global_load_dwordx2 v[30:31], v[20:21], off
	global_load_dwordx2 v[32:33], v[22:23], off
	v_lshlrev_b64 v[28:29], 3, v[14:15]
	global_load_dwordx4 v[20:23], v[24:25], off
	v_add_co_u32_e32 v28, vcc, s14, v28
	v_addc_co_u32_e32 v29, vcc, v19, v29, vcc
	v_add_u32_e32 v14, -3, v12
	s_waitcnt vmcnt(1)
	v_fma_f64 v[10:11], v[30:31], v[32:33], v[10:11]
	s_waitcnt vmcnt(0)
	v_fma_f64 v[7:8], v[20:21], v[32:33], v[8:9]
	global_load_dwordx2 v[20:21], v[28:29], off
	s_waitcnt vmcnt(0)
	v_fma_f64 v[7:8], v[22:23], v[20:21], v[7:8]
	v_lshlrev_b64 v[22:23], 3, v[14:15]
	v_add_u32_e32 v14, -7, v12
	v_add_co_u32_e32 v22, vcc, s12, v22
	v_lshlrev_b64 v[24:25], 3, v[14:15]
	v_addc_co_u32_e32 v23, vcc, v17, v23, vcc
	v_add_co_u32_e32 v24, vcc, s12, v24
	v_addc_co_u32_e32 v25, vcc, v17, v25, vcc
	global_load_dwordx2 v[28:29], v[22:23], off
	global_load_dwordx2 v[30:31], v[24:25], off
	v_add_u32_e32 v14, 2, v13
	s_waitcnt vmcnt(1)
	v_fma_f64 v[9:10], v[28:29], v[20:21], v[10:11]
	v_lshlrev_b64 v[20:21], 3, v[14:15]
	v_add_u32_e32 v14, -2, v12
	v_add_co_u32_e32 v20, vcc, s14, v20
	v_addc_co_u32_e32 v21, vcc, v19, v21, vcc
	global_load_dwordx2 v[20:21], v[20:21], off
	v_lshlrev_b64 v[22:23], 3, v[14:15]
	v_add_u32_e32 v14, -6, v12
	v_add_co_u32_e32 v22, vcc, s12, v22
	v_lshlrev_b64 v[24:25], 3, v[14:15]
	v_addc_co_u32_e32 v23, vcc, v17, v23, vcc
	v_add_co_u32_e32 v24, vcc, s12, v24
	v_addc_co_u32_e32 v25, vcc, v17, v25, vcc
	v_add_u32_e32 v14, 3, v13
	s_waitcnt vmcnt(0)
	v_fma_f64 v[7:8], v[30:31], v[20:21], v[7:8]
	global_load_dwordx2 v[28:29], v[22:23], off
	global_load_dwordx2 v[30:31], v[24:25], off
	s_waitcnt vmcnt(1)
	v_fma_f64 v[9:10], v[28:29], v[20:21], v[9:10]
	v_lshlrev_b64 v[20:21], 3, v[14:15]
	v_add_u32_e32 v14, -1, v12
	v_add_co_u32_e32 v20, vcc, s14, v20
	v_addc_co_u32_e32 v21, vcc, v19, v21, vcc
	global_load_dwordx2 v[20:21], v[20:21], off
	v_lshlrev_b64 v[22:23], 3, v[14:15]
	v_add_u32_e32 v14, -5, v12
	v_lshlrev_b64 v[24:25], 3, v[14:15]
	v_add_co_u32_e32 v22, vcc, s12, v22
	v_add_u32_e32 v14, 4, v13
	v_addc_co_u32_e32 v23, vcc, v17, v23, vcc
	v_add_co_u32_e32 v24, vcc, s12, v24
	v_lshlrev_b64 v[13:14], 3, v[14:15]
	v_addc_co_u32_e32 v25, vcc, v17, v25, vcc
	v_add_co_u32_e32 v13, vcc, s14, v13
	v_addc_co_u32_e32 v14, vcc, v19, v14, vcc
	v_cmp_ge_i32_e32 vcc, v6, v18
	s_or_b64 s[0:1], vcc, s[0:1]
	v_add_u32_e32 v12, 0x140, v12
	s_waitcnt vmcnt(0)
	v_fma_f64 v[7:8], v[30:31], v[20:21], v[7:8]
	global_load_dwordx2 v[28:29], v[22:23], off
	global_load_dwordx2 v[30:31], v[26:27], off
	;; [unrolled: 1-line block ×4, first 2 shown]
	s_waitcnt vmcnt(3)
	v_fma_f64 v[10:11], v[28:29], v[20:21], v[9:10]
	s_waitcnt vmcnt(0)
	v_fma_f64 v[8:9], v[32:33], v[34:35], v[7:8]
	v_fma_f64 v[10:11], v[30:31], v[34:35], v[10:11]
	s_andn2_b64 exec, exec, s[0:1]
	s_cbranch_execnz .LBB94_15
; %bb.16:
	s_or_b64 exec, exec, s[0:1]
.LBB94_17:
	s_or_b64 exec, exec, s[6:7]
.LBB94_18:
	v_mov_b32_dpp v6, v8 row_shr:1 row_mask:0xf bank_mask:0xf
	v_mov_b32_dpp v7, v9 row_shr:1 row_mask:0xf bank_mask:0xf
	v_add_f64 v[6:7], v[8:9], v[6:7]
	v_mov_b32_dpp v8, v10 row_shr:1 row_mask:0xf bank_mask:0xf
	v_mov_b32_dpp v9, v11 row_shr:1 row_mask:0xf bank_mask:0xf
	v_add_f64 v[8:9], v[10:11], v[8:9]
	v_cmp_eq_u32_e32 vcc, 31, v0
	v_mov_b32_dpp v10, v6 row_shr:2 row_mask:0xf bank_mask:0xf
	v_mov_b32_dpp v11, v7 row_shr:2 row_mask:0xf bank_mask:0xf
	v_add_f64 v[6:7], v[6:7], v[10:11]
	v_mov_b32_dpp v12, v8 row_shr:2 row_mask:0xf bank_mask:0xf
	v_mov_b32_dpp v13, v9 row_shr:2 row_mask:0xf bank_mask:0xf
	v_add_f64 v[8:9], v[8:9], v[12:13]
	;; [unrolled: 3-line block ×6, first 2 shown]
	v_mov_b32_dpp v8, v6 row_bcast:15 row_mask:0xa bank_mask:0xf
	v_mov_b32_dpp v9, v7 row_bcast:15 row_mask:0xa bank_mask:0xf
	;; [unrolled: 1-line block ×4, first 2 shown]
	s_and_b64 exec, exec, vcc
	s_cbranch_execz .LBB94_23
; %bb.19:
	v_add_f64 v[8:9], v[6:7], v[8:9]
	v_add_f64 v[6:7], v[10:11], v[12:13]
	v_cmp_eq_f64_e32 vcc, 0, v[3:4]
	s_load_dwordx2 s[0:1], s[4:5], 0x38
	s_and_saveexec_b64 s[2:3], vcc
	s_xor_b64 s[2:3], exec, s[2:3]
	s_cbranch_execz .LBB94_21
; %bb.20:
	v_mul_f64 v[3:4], v[1:2], v[8:9]
	v_lshlrev_b32_e32 v0, 1, v5
	v_mul_f64 v[5:6], v[1:2], v[6:7]
	v_ashrrev_i32_e32 v1, 31, v0
	v_lshlrev_b64 v[0:1], 3, v[0:1]
	s_waitcnt lgkmcnt(0)
	v_mov_b32_e32 v2, s1
	v_add_co_u32_e32 v0, vcc, s0, v0
	v_addc_co_u32_e32 v1, vcc, v2, v1, vcc
	global_store_dwordx4 v[0:1], v[3:6], off
                                        ; implicit-def: $vgpr5
                                        ; implicit-def: $vgpr1_vgpr2
                                        ; implicit-def: $vgpr8_vgpr9
                                        ; implicit-def: $vgpr3_vgpr4
                                        ; implicit-def: $vgpr6_vgpr7
.LBB94_21:
	s_andn2_saveexec_b64 s[2:3], s[2:3]
	s_cbranch_execz .LBB94_23
; %bb.22:
	v_lshlrev_b32_e32 v10, 1, v5
	v_ashrrev_i32_e32 v11, 31, v10
	v_lshlrev_b64 v[10:11], 3, v[10:11]
	s_waitcnt lgkmcnt(0)
	v_mov_b32_e32 v0, s1
	v_add_co_u32_e32 v14, vcc, s0, v10
	v_addc_co_u32_e32 v15, vcc, v0, v11, vcc
	global_load_dwordx4 v[10:13], v[14:15], off
	v_mul_f64 v[8:9], v[1:2], v[8:9]
	v_mul_f64 v[5:6], v[1:2], v[6:7]
	s_waitcnt vmcnt(0)
	v_fma_f64 v[0:1], v[3:4], v[10:11], v[8:9]
	v_fma_f64 v[2:3], v[3:4], v[12:13], v[5:6]
	global_store_dwordx4 v[14:15], v[0:3], off
.LBB94_23:
	s_endpgm
	.section	.rodata,"a",@progbits
	.p2align	6, 0x0
	.amdhsa_kernel _ZN9rocsparseL19gebsrmvn_2xn_kernelILj128ELj5ELj32EdEEvi20rocsparse_direction_NS_24const_host_device_scalarIT2_EEPKiS6_PKS3_S8_S4_PS3_21rocsparse_index_base_b
		.amdhsa_group_segment_fixed_size 0
		.amdhsa_private_segment_fixed_size 0
		.amdhsa_kernarg_size 72
		.amdhsa_user_sgpr_count 6
		.amdhsa_user_sgpr_private_segment_buffer 1
		.amdhsa_user_sgpr_dispatch_ptr 0
		.amdhsa_user_sgpr_queue_ptr 0
		.amdhsa_user_sgpr_kernarg_segment_ptr 1
		.amdhsa_user_sgpr_dispatch_id 0
		.amdhsa_user_sgpr_flat_scratch_init 0
		.amdhsa_user_sgpr_private_segment_size 0
		.amdhsa_uses_dynamic_stack 0
		.amdhsa_system_sgpr_private_segment_wavefront_offset 0
		.amdhsa_system_sgpr_workgroup_id_x 1
		.amdhsa_system_sgpr_workgroup_id_y 0
		.amdhsa_system_sgpr_workgroup_id_z 0
		.amdhsa_system_sgpr_workgroup_info 0
		.amdhsa_system_vgpr_workitem_id 0
		.amdhsa_next_free_vgpr 38
		.amdhsa_next_free_sgpr 16
		.amdhsa_reserve_vcc 1
		.amdhsa_reserve_flat_scratch 0
		.amdhsa_float_round_mode_32 0
		.amdhsa_float_round_mode_16_64 0
		.amdhsa_float_denorm_mode_32 3
		.amdhsa_float_denorm_mode_16_64 3
		.amdhsa_dx10_clamp 1
		.amdhsa_ieee_mode 1
		.amdhsa_fp16_overflow 0
		.amdhsa_exception_fp_ieee_invalid_op 0
		.amdhsa_exception_fp_denorm_src 0
		.amdhsa_exception_fp_ieee_div_zero 0
		.amdhsa_exception_fp_ieee_overflow 0
		.amdhsa_exception_fp_ieee_underflow 0
		.amdhsa_exception_fp_ieee_inexact 0
		.amdhsa_exception_int_div_zero 0
	.end_amdhsa_kernel
	.section	.text._ZN9rocsparseL19gebsrmvn_2xn_kernelILj128ELj5ELj32EdEEvi20rocsparse_direction_NS_24const_host_device_scalarIT2_EEPKiS6_PKS3_S8_S4_PS3_21rocsparse_index_base_b,"axG",@progbits,_ZN9rocsparseL19gebsrmvn_2xn_kernelILj128ELj5ELj32EdEEvi20rocsparse_direction_NS_24const_host_device_scalarIT2_EEPKiS6_PKS3_S8_S4_PS3_21rocsparse_index_base_b,comdat
.Lfunc_end94:
	.size	_ZN9rocsparseL19gebsrmvn_2xn_kernelILj128ELj5ELj32EdEEvi20rocsparse_direction_NS_24const_host_device_scalarIT2_EEPKiS6_PKS3_S8_S4_PS3_21rocsparse_index_base_b, .Lfunc_end94-_ZN9rocsparseL19gebsrmvn_2xn_kernelILj128ELj5ELj32EdEEvi20rocsparse_direction_NS_24const_host_device_scalarIT2_EEPKiS6_PKS3_S8_S4_PS3_21rocsparse_index_base_b
                                        ; -- End function
	.set _ZN9rocsparseL19gebsrmvn_2xn_kernelILj128ELj5ELj32EdEEvi20rocsparse_direction_NS_24const_host_device_scalarIT2_EEPKiS6_PKS3_S8_S4_PS3_21rocsparse_index_base_b.num_vgpr, 38
	.set _ZN9rocsparseL19gebsrmvn_2xn_kernelILj128ELj5ELj32EdEEvi20rocsparse_direction_NS_24const_host_device_scalarIT2_EEPKiS6_PKS3_S8_S4_PS3_21rocsparse_index_base_b.num_agpr, 0
	.set _ZN9rocsparseL19gebsrmvn_2xn_kernelILj128ELj5ELj32EdEEvi20rocsparse_direction_NS_24const_host_device_scalarIT2_EEPKiS6_PKS3_S8_S4_PS3_21rocsparse_index_base_b.numbered_sgpr, 16
	.set _ZN9rocsparseL19gebsrmvn_2xn_kernelILj128ELj5ELj32EdEEvi20rocsparse_direction_NS_24const_host_device_scalarIT2_EEPKiS6_PKS3_S8_S4_PS3_21rocsparse_index_base_b.num_named_barrier, 0
	.set _ZN9rocsparseL19gebsrmvn_2xn_kernelILj128ELj5ELj32EdEEvi20rocsparse_direction_NS_24const_host_device_scalarIT2_EEPKiS6_PKS3_S8_S4_PS3_21rocsparse_index_base_b.private_seg_size, 0
	.set _ZN9rocsparseL19gebsrmvn_2xn_kernelILj128ELj5ELj32EdEEvi20rocsparse_direction_NS_24const_host_device_scalarIT2_EEPKiS6_PKS3_S8_S4_PS3_21rocsparse_index_base_b.uses_vcc, 1
	.set _ZN9rocsparseL19gebsrmvn_2xn_kernelILj128ELj5ELj32EdEEvi20rocsparse_direction_NS_24const_host_device_scalarIT2_EEPKiS6_PKS3_S8_S4_PS3_21rocsparse_index_base_b.uses_flat_scratch, 0
	.set _ZN9rocsparseL19gebsrmvn_2xn_kernelILj128ELj5ELj32EdEEvi20rocsparse_direction_NS_24const_host_device_scalarIT2_EEPKiS6_PKS3_S8_S4_PS3_21rocsparse_index_base_b.has_dyn_sized_stack, 0
	.set _ZN9rocsparseL19gebsrmvn_2xn_kernelILj128ELj5ELj32EdEEvi20rocsparse_direction_NS_24const_host_device_scalarIT2_EEPKiS6_PKS3_S8_S4_PS3_21rocsparse_index_base_b.has_recursion, 0
	.set _ZN9rocsparseL19gebsrmvn_2xn_kernelILj128ELj5ELj32EdEEvi20rocsparse_direction_NS_24const_host_device_scalarIT2_EEPKiS6_PKS3_S8_S4_PS3_21rocsparse_index_base_b.has_indirect_call, 0
	.section	.AMDGPU.csdata,"",@progbits
; Kernel info:
; codeLenInByte = 1876
; TotalNumSgprs: 20
; NumVgprs: 38
; ScratchSize: 0
; MemoryBound: 0
; FloatMode: 240
; IeeeMode: 1
; LDSByteSize: 0 bytes/workgroup (compile time only)
; SGPRBlocks: 2
; VGPRBlocks: 9
; NumSGPRsForWavesPerEU: 20
; NumVGPRsForWavesPerEU: 38
; Occupancy: 6
; WaveLimiterHint : 1
; COMPUTE_PGM_RSRC2:SCRATCH_EN: 0
; COMPUTE_PGM_RSRC2:USER_SGPR: 6
; COMPUTE_PGM_RSRC2:TRAP_HANDLER: 0
; COMPUTE_PGM_RSRC2:TGID_X_EN: 1
; COMPUTE_PGM_RSRC2:TGID_Y_EN: 0
; COMPUTE_PGM_RSRC2:TGID_Z_EN: 0
; COMPUTE_PGM_RSRC2:TIDIG_COMP_CNT: 0
	.section	.text._ZN9rocsparseL19gebsrmvn_2xn_kernelILj128ELj5ELj64EdEEvi20rocsparse_direction_NS_24const_host_device_scalarIT2_EEPKiS6_PKS3_S8_S4_PS3_21rocsparse_index_base_b,"axG",@progbits,_ZN9rocsparseL19gebsrmvn_2xn_kernelILj128ELj5ELj64EdEEvi20rocsparse_direction_NS_24const_host_device_scalarIT2_EEPKiS6_PKS3_S8_S4_PS3_21rocsparse_index_base_b,comdat
	.globl	_ZN9rocsparseL19gebsrmvn_2xn_kernelILj128ELj5ELj64EdEEvi20rocsparse_direction_NS_24const_host_device_scalarIT2_EEPKiS6_PKS3_S8_S4_PS3_21rocsparse_index_base_b ; -- Begin function _ZN9rocsparseL19gebsrmvn_2xn_kernelILj128ELj5ELj64EdEEvi20rocsparse_direction_NS_24const_host_device_scalarIT2_EEPKiS6_PKS3_S8_S4_PS3_21rocsparse_index_base_b
	.p2align	8
	.type	_ZN9rocsparseL19gebsrmvn_2xn_kernelILj128ELj5ELj64EdEEvi20rocsparse_direction_NS_24const_host_device_scalarIT2_EEPKiS6_PKS3_S8_S4_PS3_21rocsparse_index_base_b,@function
_ZN9rocsparseL19gebsrmvn_2xn_kernelILj128ELj5ELj64EdEEvi20rocsparse_direction_NS_24const_host_device_scalarIT2_EEPKiS6_PKS3_S8_S4_PS3_21rocsparse_index_base_b: ; @_ZN9rocsparseL19gebsrmvn_2xn_kernelILj128ELj5ELj64EdEEvi20rocsparse_direction_NS_24const_host_device_scalarIT2_EEPKiS6_PKS3_S8_S4_PS3_21rocsparse_index_base_b
; %bb.0:
	s_load_dwordx2 s[2:3], s[4:5], 0x40
	s_load_dwordx2 s[10:11], s[4:5], 0x8
	;; [unrolled: 1-line block ×3, first 2 shown]
	s_waitcnt lgkmcnt(0)
	s_bitcmp1_b32 s3, 0
	s_cselect_b64 s[12:13], -1, 0
	v_mov_b32_e32 v1, s10
	s_xor_b64 s[8:9], s[12:13], -1
	s_and_b64 vcc, exec, s[12:13]
	v_mov_b32_e32 v2, s11
	s_cbranch_vccnz .LBB95_2
; %bb.1:
	v_mov_b32_e32 v1, s10
	v_mov_b32_e32 v2, s11
	flat_load_dwordx2 v[1:2], v[1:2]
.LBB95_2:
	v_mov_b32_e32 v4, s1
	s_andn2_b64 vcc, exec, s[8:9]
	v_mov_b32_e32 v3, s0
	s_cbranch_vccnz .LBB95_4
; %bb.3:
	v_mov_b32_e32 v4, s1
	v_mov_b32_e32 v3, s0
	flat_load_dwordx2 v[3:4], v[3:4]
.LBB95_4:
	s_waitcnt vmcnt(0) lgkmcnt(0)
	v_cmp_neq_f64_e32 vcc, 0, v[1:2]
	v_cmp_neq_f64_e64 s[0:1], 1.0, v[3:4]
	s_or_b64 s[0:1], vcc, s[0:1]
	s_and_saveexec_b64 s[8:9], s[0:1]
	s_cbranch_execz .LBB95_23
; %bb.5:
	s_load_dwordx2 s[0:1], s[4:5], 0x0
	v_lshrrev_b32_e32 v5, 6, v0
	v_lshl_or_b32 v5, s6, 1, v5
	s_waitcnt lgkmcnt(0)
	v_cmp_gt_i32_e32 vcc, s0, v5
	s_and_b64 exec, exec, vcc
	s_cbranch_execz .LBB95_23
; %bb.6:
	s_load_dwordx8 s[8:15], s[4:5], 0x10
	v_ashrrev_i32_e32 v6, 31, v5
	v_lshlrev_b64 v[6:7], 2, v[5:6]
	v_and_b32_e32 v0, 63, v0
	s_cmp_lg_u32 s1, 0
	s_waitcnt lgkmcnt(0)
	v_mov_b32_e32 v8, s9
	v_add_co_u32_e32 v6, vcc, s8, v6
	v_addc_co_u32_e32 v7, vcc, v8, v7, vcc
	global_load_dwordx2 v[6:7], v[6:7], off
	s_waitcnt vmcnt(0)
	v_subrev_u32_e32 v6, s2, v6
	v_subrev_u32_e32 v18, s2, v7
	v_add_u32_e32 v6, v6, v0
	v_cmp_lt_i32_e64 s[0:1], v6, v18
	s_cbranch_scc0 .LBB95_12
; %bb.7:
	v_mov_b32_e32 v8, 0
	v_mov_b32_e32 v10, 0
	;; [unrolled: 1-line block ×4, first 2 shown]
	s_and_saveexec_b64 s[6:7], s[0:1]
	s_cbranch_execz .LBB95_11
; %bb.8:
	v_mad_u64_u32 v[12:13], s[8:9], v6, 10, 8
	v_mov_b32_e32 v8, 0
	v_mov_b32_e32 v10, 0
	;; [unrolled: 1-line block ×3, first 2 shown]
	s_mov_b64 s[8:9], 0
	v_mov_b32_e32 v7, s11
	v_mov_b32_e32 v15, 0
	;; [unrolled: 1-line block ×6, first 2 shown]
.LBB95_9:                               ; =>This Inner Loop Header: Depth=1
	v_ashrrev_i32_e32 v17, 31, v16
	v_lshlrev_b64 v[21:22], 2, v[16:17]
	v_add_u32_e32 v14, -8, v12
	v_lshlrev_b64 v[23:24], 3, v[14:15]
	v_add_co_u32_e32 v27, vcc, s10, v21
	v_addc_co_u32_e32 v28, vcc, v7, v22, vcc
	v_add_co_u32_e32 v31, vcc, s12, v23
	v_addc_co_u32_e32 v32, vcc, v19, v24, vcc
	global_load_dword v17, v[27:28], off
	global_load_dwordx4 v[21:24], v[31:32], off
	v_mov_b32_e32 v13, v15
	v_lshlrev_b64 v[25:26], 3, v[12:13]
	v_add_u32_e32 v14, -6, v12
	v_lshlrev_b64 v[13:14], 3, v[14:15]
	v_add_co_u32_e32 v33, vcc, s12, v25
	v_mov_b32_e32 v30, v15
	v_addc_co_u32_e32 v34, vcc, v19, v26, vcc
	v_add_co_u32_e32 v13, vcc, s12, v13
	v_addc_co_u32_e32 v14, vcc, v19, v14, vcc
	v_add_u32_e32 v16, 64, v16
	s_waitcnt vmcnt(1)
	v_subrev_u32_e32 v17, s2, v17
	v_lshl_add_u32 v29, v17, 2, v17
	v_lshlrev_b64 v[25:26], 3, v[29:30]
	v_add_co_u32_e32 v30, vcc, s14, v25
	v_addc_co_u32_e32 v31, vcc, v20, v26, vcc
	global_load_dwordx4 v[25:28], v[33:34], off
	global_load_dwordx2 v[35:36], v[30:31], off
	s_waitcnt vmcnt(0)
	v_fma_f64 v[21:22], v[21:22], v[35:36], v[8:9]
	v_fma_f64 v[23:24], v[23:24], v[35:36], v[10:11]
	global_load_dwordx4 v[8:11], v[13:14], off
	v_add_u32_e32 v14, 1, v29
	v_lshlrev_b64 v[30:31], 3, v[14:15]
	v_add_u32_e32 v14, -4, v12
	v_add_co_u32_e32 v30, vcc, s14, v30
	v_addc_co_u32_e32 v31, vcc, v20, v31, vcc
	global_load_dwordx2 v[30:31], v[30:31], off
	v_lshlrev_b64 v[32:33], 3, v[14:15]
	v_add_u32_e32 v14, 2, v29
	s_waitcnt vmcnt(0)
	v_fma_f64 v[21:22], v[8:9], v[30:31], v[21:22]
	v_fma_f64 v[23:24], v[10:11], v[30:31], v[23:24]
	v_lshlrev_b64 v[8:9], 3, v[14:15]
	v_add_co_u32_e32 v30, vcc, s12, v32
	v_addc_co_u32_e32 v31, vcc, v19, v33, vcc
	v_add_co_u32_e32 v34, vcc, s14, v8
	v_addc_co_u32_e32 v35, vcc, v20, v9, vcc
	global_load_dwordx4 v[8:11], v[30:31], off
	global_load_dwordx2 v[36:37], v[34:35], off
	v_add_u32_e32 v14, -2, v12
	v_lshlrev_b64 v[32:33], 3, v[14:15]
	v_add_u32_e32 v14, 3, v29
	v_add_co_u32_e32 v13, vcc, s12, v32
	v_add_u32_e32 v12, 0x280, v12
	s_waitcnt vmcnt(0)
	v_fma_f64 v[21:22], v[8:9], v[36:37], v[21:22]
	v_lshlrev_b64 v[8:9], 3, v[14:15]
	v_addc_co_u32_e32 v14, vcc, v19, v33, vcc
	v_add_co_u32_e32 v30, vcc, s14, v8
	v_fma_f64 v[23:24], v[10:11], v[36:37], v[23:24]
	v_addc_co_u32_e32 v31, vcc, v20, v9, vcc
	global_load_dwordx4 v[8:11], v[13:14], off
	global_load_dwordx2 v[32:33], v[30:31], off
	v_add_u32_e32 v14, 4, v29
	v_lshlrev_b64 v[13:14], 3, v[14:15]
	v_add_co_u32_e32 v13, vcc, s14, v13
	v_addc_co_u32_e32 v14, vcc, v20, v14, vcc
	global_load_dwordx2 v[13:14], v[13:14], off
	v_cmp_ge_i32_e32 vcc, v16, v18
	s_or_b64 s[8:9], vcc, s[8:9]
	s_waitcnt vmcnt(1)
	v_fma_f64 v[8:9], v[8:9], v[32:33], v[21:22]
	v_fma_f64 v[10:11], v[10:11], v[32:33], v[23:24]
	s_waitcnt vmcnt(0)
	v_fma_f64 v[8:9], v[25:26], v[13:14], v[8:9]
	v_fma_f64 v[10:11], v[27:28], v[13:14], v[10:11]
	s_andn2_b64 exec, exec, s[8:9]
	s_cbranch_execnz .LBB95_9
; %bb.10:
	s_or_b64 exec, exec, s[8:9]
.LBB95_11:
	s_or_b64 exec, exec, s[6:7]
	s_cbranch_execz .LBB95_13
	s_branch .LBB95_18
.LBB95_12:
                                        ; implicit-def: $vgpr8_vgpr9
                                        ; implicit-def: $vgpr10_vgpr11
.LBB95_13:
	v_mov_b32_e32 v8, 0
	v_mov_b32_e32 v10, 0
	v_mov_b32_e32 v9, 0
	v_mov_b32_e32 v11, 0
	s_and_saveexec_b64 s[6:7], s[0:1]
	s_cbranch_execz .LBB95_17
; %bb.14:
	v_mad_u64_u32 v[12:13], s[0:1], v6, 10, 9
	v_mov_b32_e32 v8, 0
	v_mov_b32_e32 v10, 0
	;; [unrolled: 1-line block ×3, first 2 shown]
	s_mov_b64 s[0:1], 0
	v_mov_b32_e32 v16, s11
	v_mov_b32_e32 v15, 0
	;; [unrolled: 1-line block ×5, first 2 shown]
.LBB95_15:                              ; =>This Inner Loop Header: Depth=1
	v_ashrrev_i32_e32 v7, 31, v6
	v_lshlrev_b64 v[22:23], 2, v[6:7]
	v_add_u32_e32 v14, -9, v12
	v_add_co_u32_e32 v22, vcc, s10, v22
	v_addc_co_u32_e32 v23, vcc, v16, v23, vcc
	global_load_dword v7, v[22:23], off
	v_lshlrev_b64 v[24:25], 3, v[14:15]
	v_add_u32_e32 v20, -4, v12
	v_mov_b32_e32 v21, v15
	v_lshlrev_b64 v[20:21], 3, v[20:21]
	v_add_co_u32_e32 v24, vcc, s12, v24
	v_mov_b32_e32 v13, v15
	v_addc_co_u32_e32 v25, vcc, v17, v25, vcc
	v_lshlrev_b64 v[13:14], 3, v[12:13]
	v_add_co_u32_e32 v20, vcc, s12, v20
	v_addc_co_u32_e32 v21, vcc, v17, v21, vcc
	v_add_co_u32_e32 v26, vcc, s12, v13
	v_addc_co_u32_e32 v27, vcc, v17, v14, vcc
	v_mov_b32_e32 v14, v15
	v_add_u32_e32 v6, 64, v6
	s_waitcnt vmcnt(0)
	v_subrev_u32_e32 v7, s2, v7
	v_lshl_add_u32 v13, v7, 2, v7
	v_lshlrev_b64 v[22:23], 3, v[13:14]
	v_add_u32_e32 v14, 1, v13
	v_add_co_u32_e32 v22, vcc, s14, v22
	v_addc_co_u32_e32 v23, vcc, v19, v23, vcc
	global_load_dwordx2 v[30:31], v[20:21], off
	global_load_dwordx2 v[32:33], v[22:23], off
	v_lshlrev_b64 v[28:29], 3, v[14:15]
	global_load_dwordx4 v[20:23], v[24:25], off
	v_add_co_u32_e32 v28, vcc, s14, v28
	v_addc_co_u32_e32 v29, vcc, v19, v29, vcc
	v_add_u32_e32 v14, -3, v12
	s_waitcnt vmcnt(1)
	v_fma_f64 v[10:11], v[30:31], v[32:33], v[10:11]
	s_waitcnt vmcnt(0)
	v_fma_f64 v[7:8], v[20:21], v[32:33], v[8:9]
	global_load_dwordx2 v[20:21], v[28:29], off
	s_waitcnt vmcnt(0)
	v_fma_f64 v[7:8], v[22:23], v[20:21], v[7:8]
	v_lshlrev_b64 v[22:23], 3, v[14:15]
	v_add_u32_e32 v14, -7, v12
	v_add_co_u32_e32 v22, vcc, s12, v22
	v_lshlrev_b64 v[24:25], 3, v[14:15]
	v_addc_co_u32_e32 v23, vcc, v17, v23, vcc
	v_add_co_u32_e32 v24, vcc, s12, v24
	v_addc_co_u32_e32 v25, vcc, v17, v25, vcc
	global_load_dwordx2 v[28:29], v[22:23], off
	global_load_dwordx2 v[30:31], v[24:25], off
	v_add_u32_e32 v14, 2, v13
	s_waitcnt vmcnt(1)
	v_fma_f64 v[9:10], v[28:29], v[20:21], v[10:11]
	v_lshlrev_b64 v[20:21], 3, v[14:15]
	v_add_u32_e32 v14, -2, v12
	v_add_co_u32_e32 v20, vcc, s14, v20
	v_addc_co_u32_e32 v21, vcc, v19, v21, vcc
	global_load_dwordx2 v[20:21], v[20:21], off
	v_lshlrev_b64 v[22:23], 3, v[14:15]
	v_add_u32_e32 v14, -6, v12
	v_add_co_u32_e32 v22, vcc, s12, v22
	v_lshlrev_b64 v[24:25], 3, v[14:15]
	v_addc_co_u32_e32 v23, vcc, v17, v23, vcc
	v_add_co_u32_e32 v24, vcc, s12, v24
	v_addc_co_u32_e32 v25, vcc, v17, v25, vcc
	v_add_u32_e32 v14, 3, v13
	s_waitcnt vmcnt(0)
	v_fma_f64 v[7:8], v[30:31], v[20:21], v[7:8]
	global_load_dwordx2 v[28:29], v[22:23], off
	global_load_dwordx2 v[30:31], v[24:25], off
	s_waitcnt vmcnt(1)
	v_fma_f64 v[9:10], v[28:29], v[20:21], v[9:10]
	v_lshlrev_b64 v[20:21], 3, v[14:15]
	v_add_u32_e32 v14, -1, v12
	v_add_co_u32_e32 v20, vcc, s14, v20
	v_addc_co_u32_e32 v21, vcc, v19, v21, vcc
	global_load_dwordx2 v[20:21], v[20:21], off
	v_lshlrev_b64 v[22:23], 3, v[14:15]
	v_add_u32_e32 v14, -5, v12
	v_lshlrev_b64 v[24:25], 3, v[14:15]
	v_add_co_u32_e32 v22, vcc, s12, v22
	v_add_u32_e32 v14, 4, v13
	v_addc_co_u32_e32 v23, vcc, v17, v23, vcc
	v_add_co_u32_e32 v24, vcc, s12, v24
	v_lshlrev_b64 v[13:14], 3, v[14:15]
	v_addc_co_u32_e32 v25, vcc, v17, v25, vcc
	v_add_co_u32_e32 v13, vcc, s14, v13
	v_addc_co_u32_e32 v14, vcc, v19, v14, vcc
	v_cmp_ge_i32_e32 vcc, v6, v18
	s_or_b64 s[0:1], vcc, s[0:1]
	v_add_u32_e32 v12, 0x280, v12
	s_waitcnt vmcnt(0)
	v_fma_f64 v[7:8], v[30:31], v[20:21], v[7:8]
	global_load_dwordx2 v[28:29], v[22:23], off
	global_load_dwordx2 v[30:31], v[26:27], off
	;; [unrolled: 1-line block ×4, first 2 shown]
	s_waitcnt vmcnt(3)
	v_fma_f64 v[10:11], v[28:29], v[20:21], v[9:10]
	s_waitcnt vmcnt(0)
	v_fma_f64 v[8:9], v[32:33], v[34:35], v[7:8]
	v_fma_f64 v[10:11], v[30:31], v[34:35], v[10:11]
	s_andn2_b64 exec, exec, s[0:1]
	s_cbranch_execnz .LBB95_15
; %bb.16:
	s_or_b64 exec, exec, s[0:1]
.LBB95_17:
	s_or_b64 exec, exec, s[6:7]
.LBB95_18:
	v_mov_b32_dpp v6, v8 row_shr:1 row_mask:0xf bank_mask:0xf
	v_mov_b32_dpp v7, v9 row_shr:1 row_mask:0xf bank_mask:0xf
	v_add_f64 v[6:7], v[8:9], v[6:7]
	v_mov_b32_dpp v8, v10 row_shr:1 row_mask:0xf bank_mask:0xf
	v_mov_b32_dpp v9, v11 row_shr:1 row_mask:0xf bank_mask:0xf
	v_add_f64 v[8:9], v[10:11], v[8:9]
	v_cmp_eq_u32_e32 vcc, 63, v0
	v_mov_b32_dpp v10, v6 row_shr:2 row_mask:0xf bank_mask:0xf
	v_mov_b32_dpp v11, v7 row_shr:2 row_mask:0xf bank_mask:0xf
	v_add_f64 v[6:7], v[6:7], v[10:11]
	v_mov_b32_dpp v12, v8 row_shr:2 row_mask:0xf bank_mask:0xf
	v_mov_b32_dpp v13, v9 row_shr:2 row_mask:0xf bank_mask:0xf
	v_add_f64 v[8:9], v[8:9], v[12:13]
	;; [unrolled: 3-line block ×6, first 2 shown]
	v_mov_b32_dpp v10, v6 row_bcast:15 row_mask:0xa bank_mask:0xf
	v_mov_b32_dpp v11, v7 row_bcast:15 row_mask:0xa bank_mask:0xf
	v_add_f64 v[6:7], v[6:7], v[10:11]
	v_mov_b32_dpp v12, v8 row_bcast:15 row_mask:0xa bank_mask:0xf
	v_mov_b32_dpp v13, v9 row_bcast:15 row_mask:0xa bank_mask:0xf
	v_add_f64 v[10:11], v[8:9], v[12:13]
	v_mov_b32_dpp v8, v6 row_bcast:31 row_mask:0xc bank_mask:0xf
	v_mov_b32_dpp v9, v7 row_bcast:31 row_mask:0xc bank_mask:0xf
	;; [unrolled: 1-line block ×4, first 2 shown]
	s_and_b64 exec, exec, vcc
	s_cbranch_execz .LBB95_23
; %bb.19:
	v_add_f64 v[8:9], v[6:7], v[8:9]
	v_add_f64 v[6:7], v[10:11], v[12:13]
	v_cmp_eq_f64_e32 vcc, 0, v[3:4]
	s_load_dwordx2 s[0:1], s[4:5], 0x38
	s_and_saveexec_b64 s[2:3], vcc
	s_xor_b64 s[2:3], exec, s[2:3]
	s_cbranch_execz .LBB95_21
; %bb.20:
	v_mul_f64 v[3:4], v[1:2], v[8:9]
	v_lshlrev_b32_e32 v0, 1, v5
	v_mul_f64 v[5:6], v[1:2], v[6:7]
	v_ashrrev_i32_e32 v1, 31, v0
	v_lshlrev_b64 v[0:1], 3, v[0:1]
	s_waitcnt lgkmcnt(0)
	v_mov_b32_e32 v2, s1
	v_add_co_u32_e32 v0, vcc, s0, v0
	v_addc_co_u32_e32 v1, vcc, v2, v1, vcc
	global_store_dwordx4 v[0:1], v[3:6], off
                                        ; implicit-def: $vgpr5
                                        ; implicit-def: $vgpr1_vgpr2
                                        ; implicit-def: $vgpr8_vgpr9
                                        ; implicit-def: $vgpr3_vgpr4
                                        ; implicit-def: $vgpr6_vgpr7
.LBB95_21:
	s_andn2_saveexec_b64 s[2:3], s[2:3]
	s_cbranch_execz .LBB95_23
; %bb.22:
	v_lshlrev_b32_e32 v10, 1, v5
	v_ashrrev_i32_e32 v11, 31, v10
	v_lshlrev_b64 v[10:11], 3, v[10:11]
	s_waitcnt lgkmcnt(0)
	v_mov_b32_e32 v0, s1
	v_add_co_u32_e32 v14, vcc, s0, v10
	v_addc_co_u32_e32 v15, vcc, v0, v11, vcc
	global_load_dwordx4 v[10:13], v[14:15], off
	v_mul_f64 v[8:9], v[1:2], v[8:9]
	v_mul_f64 v[5:6], v[1:2], v[6:7]
	s_waitcnt vmcnt(0)
	v_fma_f64 v[0:1], v[3:4], v[10:11], v[8:9]
	v_fma_f64 v[2:3], v[3:4], v[12:13], v[5:6]
	global_store_dwordx4 v[14:15], v[0:3], off
.LBB95_23:
	s_endpgm
	.section	.rodata,"a",@progbits
	.p2align	6, 0x0
	.amdhsa_kernel _ZN9rocsparseL19gebsrmvn_2xn_kernelILj128ELj5ELj64EdEEvi20rocsparse_direction_NS_24const_host_device_scalarIT2_EEPKiS6_PKS3_S8_S4_PS3_21rocsparse_index_base_b
		.amdhsa_group_segment_fixed_size 0
		.amdhsa_private_segment_fixed_size 0
		.amdhsa_kernarg_size 72
		.amdhsa_user_sgpr_count 6
		.amdhsa_user_sgpr_private_segment_buffer 1
		.amdhsa_user_sgpr_dispatch_ptr 0
		.amdhsa_user_sgpr_queue_ptr 0
		.amdhsa_user_sgpr_kernarg_segment_ptr 1
		.amdhsa_user_sgpr_dispatch_id 0
		.amdhsa_user_sgpr_flat_scratch_init 0
		.amdhsa_user_sgpr_private_segment_size 0
		.amdhsa_uses_dynamic_stack 0
		.amdhsa_system_sgpr_private_segment_wavefront_offset 0
		.amdhsa_system_sgpr_workgroup_id_x 1
		.amdhsa_system_sgpr_workgroup_id_y 0
		.amdhsa_system_sgpr_workgroup_id_z 0
		.amdhsa_system_sgpr_workgroup_info 0
		.amdhsa_system_vgpr_workitem_id 0
		.amdhsa_next_free_vgpr 38
		.amdhsa_next_free_sgpr 16
		.amdhsa_reserve_vcc 1
		.amdhsa_reserve_flat_scratch 0
		.amdhsa_float_round_mode_32 0
		.amdhsa_float_round_mode_16_64 0
		.amdhsa_float_denorm_mode_32 3
		.amdhsa_float_denorm_mode_16_64 3
		.amdhsa_dx10_clamp 1
		.amdhsa_ieee_mode 1
		.amdhsa_fp16_overflow 0
		.amdhsa_exception_fp_ieee_invalid_op 0
		.amdhsa_exception_fp_denorm_src 0
		.amdhsa_exception_fp_ieee_div_zero 0
		.amdhsa_exception_fp_ieee_overflow 0
		.amdhsa_exception_fp_ieee_underflow 0
		.amdhsa_exception_fp_ieee_inexact 0
		.amdhsa_exception_int_div_zero 0
	.end_amdhsa_kernel
	.section	.text._ZN9rocsparseL19gebsrmvn_2xn_kernelILj128ELj5ELj64EdEEvi20rocsparse_direction_NS_24const_host_device_scalarIT2_EEPKiS6_PKS3_S8_S4_PS3_21rocsparse_index_base_b,"axG",@progbits,_ZN9rocsparseL19gebsrmvn_2xn_kernelILj128ELj5ELj64EdEEvi20rocsparse_direction_NS_24const_host_device_scalarIT2_EEPKiS6_PKS3_S8_S4_PS3_21rocsparse_index_base_b,comdat
.Lfunc_end95:
	.size	_ZN9rocsparseL19gebsrmvn_2xn_kernelILj128ELj5ELj64EdEEvi20rocsparse_direction_NS_24const_host_device_scalarIT2_EEPKiS6_PKS3_S8_S4_PS3_21rocsparse_index_base_b, .Lfunc_end95-_ZN9rocsparseL19gebsrmvn_2xn_kernelILj128ELj5ELj64EdEEvi20rocsparse_direction_NS_24const_host_device_scalarIT2_EEPKiS6_PKS3_S8_S4_PS3_21rocsparse_index_base_b
                                        ; -- End function
	.set _ZN9rocsparseL19gebsrmvn_2xn_kernelILj128ELj5ELj64EdEEvi20rocsparse_direction_NS_24const_host_device_scalarIT2_EEPKiS6_PKS3_S8_S4_PS3_21rocsparse_index_base_b.num_vgpr, 38
	.set _ZN9rocsparseL19gebsrmvn_2xn_kernelILj128ELj5ELj64EdEEvi20rocsparse_direction_NS_24const_host_device_scalarIT2_EEPKiS6_PKS3_S8_S4_PS3_21rocsparse_index_base_b.num_agpr, 0
	.set _ZN9rocsparseL19gebsrmvn_2xn_kernelILj128ELj5ELj64EdEEvi20rocsparse_direction_NS_24const_host_device_scalarIT2_EEPKiS6_PKS3_S8_S4_PS3_21rocsparse_index_base_b.numbered_sgpr, 16
	.set _ZN9rocsparseL19gebsrmvn_2xn_kernelILj128ELj5ELj64EdEEvi20rocsparse_direction_NS_24const_host_device_scalarIT2_EEPKiS6_PKS3_S8_S4_PS3_21rocsparse_index_base_b.num_named_barrier, 0
	.set _ZN9rocsparseL19gebsrmvn_2xn_kernelILj128ELj5ELj64EdEEvi20rocsparse_direction_NS_24const_host_device_scalarIT2_EEPKiS6_PKS3_S8_S4_PS3_21rocsparse_index_base_b.private_seg_size, 0
	.set _ZN9rocsparseL19gebsrmvn_2xn_kernelILj128ELj5ELj64EdEEvi20rocsparse_direction_NS_24const_host_device_scalarIT2_EEPKiS6_PKS3_S8_S4_PS3_21rocsparse_index_base_b.uses_vcc, 1
	.set _ZN9rocsparseL19gebsrmvn_2xn_kernelILj128ELj5ELj64EdEEvi20rocsparse_direction_NS_24const_host_device_scalarIT2_EEPKiS6_PKS3_S8_S4_PS3_21rocsparse_index_base_b.uses_flat_scratch, 0
	.set _ZN9rocsparseL19gebsrmvn_2xn_kernelILj128ELj5ELj64EdEEvi20rocsparse_direction_NS_24const_host_device_scalarIT2_EEPKiS6_PKS3_S8_S4_PS3_21rocsparse_index_base_b.has_dyn_sized_stack, 0
	.set _ZN9rocsparseL19gebsrmvn_2xn_kernelILj128ELj5ELj64EdEEvi20rocsparse_direction_NS_24const_host_device_scalarIT2_EEPKiS6_PKS3_S8_S4_PS3_21rocsparse_index_base_b.has_recursion, 0
	.set _ZN9rocsparseL19gebsrmvn_2xn_kernelILj128ELj5ELj64EdEEvi20rocsparse_direction_NS_24const_host_device_scalarIT2_EEPKiS6_PKS3_S8_S4_PS3_21rocsparse_index_base_b.has_indirect_call, 0
	.section	.AMDGPU.csdata,"",@progbits
; Kernel info:
; codeLenInByte = 1924
; TotalNumSgprs: 20
; NumVgprs: 38
; ScratchSize: 0
; MemoryBound: 0
; FloatMode: 240
; IeeeMode: 1
; LDSByteSize: 0 bytes/workgroup (compile time only)
; SGPRBlocks: 2
; VGPRBlocks: 9
; NumSGPRsForWavesPerEU: 20
; NumVGPRsForWavesPerEU: 38
; Occupancy: 6
; WaveLimiterHint : 1
; COMPUTE_PGM_RSRC2:SCRATCH_EN: 0
; COMPUTE_PGM_RSRC2:USER_SGPR: 6
; COMPUTE_PGM_RSRC2:TRAP_HANDLER: 0
; COMPUTE_PGM_RSRC2:TGID_X_EN: 1
; COMPUTE_PGM_RSRC2:TGID_Y_EN: 0
; COMPUTE_PGM_RSRC2:TGID_Z_EN: 0
; COMPUTE_PGM_RSRC2:TIDIG_COMP_CNT: 0
	.section	.text._ZN9rocsparseL19gebsrmvn_2xn_kernelILj128ELj6ELj4EdEEvi20rocsparse_direction_NS_24const_host_device_scalarIT2_EEPKiS6_PKS3_S8_S4_PS3_21rocsparse_index_base_b,"axG",@progbits,_ZN9rocsparseL19gebsrmvn_2xn_kernelILj128ELj6ELj4EdEEvi20rocsparse_direction_NS_24const_host_device_scalarIT2_EEPKiS6_PKS3_S8_S4_PS3_21rocsparse_index_base_b,comdat
	.globl	_ZN9rocsparseL19gebsrmvn_2xn_kernelILj128ELj6ELj4EdEEvi20rocsparse_direction_NS_24const_host_device_scalarIT2_EEPKiS6_PKS3_S8_S4_PS3_21rocsparse_index_base_b ; -- Begin function _ZN9rocsparseL19gebsrmvn_2xn_kernelILj128ELj6ELj4EdEEvi20rocsparse_direction_NS_24const_host_device_scalarIT2_EEPKiS6_PKS3_S8_S4_PS3_21rocsparse_index_base_b
	.p2align	8
	.type	_ZN9rocsparseL19gebsrmvn_2xn_kernelILj128ELj6ELj4EdEEvi20rocsparse_direction_NS_24const_host_device_scalarIT2_EEPKiS6_PKS3_S8_S4_PS3_21rocsparse_index_base_b,@function
_ZN9rocsparseL19gebsrmvn_2xn_kernelILj128ELj6ELj4EdEEvi20rocsparse_direction_NS_24const_host_device_scalarIT2_EEPKiS6_PKS3_S8_S4_PS3_21rocsparse_index_base_b: ; @_ZN9rocsparseL19gebsrmvn_2xn_kernelILj128ELj6ELj4EdEEvi20rocsparse_direction_NS_24const_host_device_scalarIT2_EEPKiS6_PKS3_S8_S4_PS3_21rocsparse_index_base_b
; %bb.0:
	s_load_dwordx2 s[2:3], s[4:5], 0x40
	s_load_dwordx2 s[10:11], s[4:5], 0x8
	;; [unrolled: 1-line block ×3, first 2 shown]
	s_waitcnt lgkmcnt(0)
	s_bitcmp1_b32 s3, 0
	s_cselect_b64 s[12:13], -1, 0
	v_mov_b32_e32 v1, s10
	s_xor_b64 s[8:9], s[12:13], -1
	s_and_b64 vcc, exec, s[12:13]
	v_mov_b32_e32 v2, s11
	s_cbranch_vccnz .LBB96_2
; %bb.1:
	v_mov_b32_e32 v1, s10
	v_mov_b32_e32 v2, s11
	flat_load_dwordx2 v[1:2], v[1:2]
.LBB96_2:
	v_mov_b32_e32 v4, s1
	s_andn2_b64 vcc, exec, s[8:9]
	v_mov_b32_e32 v3, s0
	s_cbranch_vccnz .LBB96_4
; %bb.3:
	v_mov_b32_e32 v4, s1
	v_mov_b32_e32 v3, s0
	flat_load_dwordx2 v[3:4], v[3:4]
.LBB96_4:
	s_waitcnt vmcnt(0) lgkmcnt(0)
	v_cmp_neq_f64_e32 vcc, 0, v[1:2]
	v_cmp_neq_f64_e64 s[0:1], 1.0, v[3:4]
	s_or_b64 s[0:1], vcc, s[0:1]
	s_and_saveexec_b64 s[8:9], s[0:1]
	s_cbranch_execz .LBB96_23
; %bb.5:
	s_load_dwordx2 s[0:1], s[4:5], 0x0
	v_lshrrev_b32_e32 v5, 2, v0
	v_lshl_or_b32 v5, s6, 5, v5
	s_waitcnt lgkmcnt(0)
	v_cmp_gt_i32_e32 vcc, s0, v5
	s_and_b64 exec, exec, vcc
	s_cbranch_execz .LBB96_23
; %bb.6:
	s_load_dwordx8 s[8:15], s[4:5], 0x10
	v_ashrrev_i32_e32 v6, 31, v5
	v_lshlrev_b64 v[6:7], 2, v[5:6]
	v_and_b32_e32 v0, 3, v0
	s_cmp_lg_u32 s1, 0
	s_waitcnt lgkmcnt(0)
	v_mov_b32_e32 v8, s9
	v_add_co_u32_e32 v6, vcc, s8, v6
	v_addc_co_u32_e32 v7, vcc, v8, v7, vcc
	global_load_dwordx2 v[6:7], v[6:7], off
	s_waitcnt vmcnt(0)
	v_subrev_u32_e32 v6, s2, v6
	v_subrev_u32_e32 v18, s2, v7
	v_add_u32_e32 v6, v6, v0
	v_cmp_lt_i32_e64 s[0:1], v6, v18
	s_cbranch_scc0 .LBB96_12
; %bb.7:
	v_mov_b32_e32 v10, 0
	v_mov_b32_e32 v8, 0
	;; [unrolled: 1-line block ×4, first 2 shown]
	s_and_saveexec_b64 s[6:7], s[0:1]
	s_cbranch_execz .LBB96_11
; %bb.8:
	v_mad_u64_u32 v[12:13], s[8:9], v6, 12, 10
	v_mov_b32_e32 v10, 0
	v_mov_b32_e32 v8, 0
	;; [unrolled: 1-line block ×3, first 2 shown]
	s_mov_b64 s[8:9], 0
	v_mov_b32_e32 v7, s11
	v_mov_b32_e32 v15, 0
	;; [unrolled: 1-line block ×6, first 2 shown]
.LBB96_9:                               ; =>This Inner Loop Header: Depth=1
	v_ashrrev_i32_e32 v17, 31, v16
	v_lshlrev_b64 v[21:22], 2, v[16:17]
	v_add_u32_e32 v14, -10, v12
	v_lshlrev_b64 v[23:24], 3, v[14:15]
	v_add_co_u32_e32 v29, vcc, s10, v21
	v_mov_b32_e32 v13, v15
	v_addc_co_u32_e32 v30, vcc, v7, v22, vcc
	v_lshlrev_b64 v[25:26], 3, v[12:13]
	v_add_co_u32_e32 v31, vcc, s12, v23
	v_addc_co_u32_e32 v32, vcc, v19, v24, vcc
	v_add_co_u32_e32 v35, vcc, s12, v25
	v_addc_co_u32_e32 v36, vcc, v19, v26, vcc
	global_load_dword v17, v[29:30], off
	global_load_dwordx4 v[21:24], v[31:32], off
	global_load_dwordx4 v[25:28], v[31:32], off offset:16
	v_add_u32_e32 v14, -6, v12
	v_lshlrev_b64 v[13:14], 3, v[14:15]
	v_mov_b32_e32 v34, v15
	v_add_co_u32_e32 v13, vcc, s12, v13
	v_addc_co_u32_e32 v14, vcc, v19, v14, vcc
	v_add_u32_e32 v16, 4, v16
	s_waitcnt vmcnt(2)
	v_subrev_u32_e32 v17, s2, v17
	v_mul_lo_u32 v33, v17, 6
	v_lshlrev_b64 v[29:30], 3, v[33:34]
	v_add_co_u32_e32 v29, vcc, s14, v29
	v_addc_co_u32_e32 v30, vcc, v20, v30, vcc
	global_load_dwordx4 v[29:32], v[29:30], off
	s_waitcnt vmcnt(0)
	v_fma_f64 v[21:22], v[21:22], v[29:30], v[10:11]
	v_fma_f64 v[23:24], v[23:24], v[29:30], v[8:9]
	global_load_dwordx4 v[8:11], v[13:14], off
	v_add_u32_e32 v14, 2, v33
	v_lshlrev_b64 v[29:30], 3, v[14:15]
	v_add_u32_e32 v14, -4, v12
	v_fma_f64 v[37:38], v[25:26], v[31:32], v[21:22]
	v_add_co_u32_e32 v21, vcc, s14, v29
	v_addc_co_u32_e32 v22, vcc, v20, v30, vcc
	v_fma_f64 v[31:32], v[27:28], v[31:32], v[23:24]
	global_load_dwordx4 v[21:24], v[21:22], off
	v_lshlrev_b64 v[25:26], 3, v[14:15]
	v_add_u32_e32 v14, -2, v12
	v_lshlrev_b64 v[27:28], 3, v[14:15]
	v_add_co_u32_e32 v25, vcc, s12, v25
	v_addc_co_u32_e32 v26, vcc, v19, v26, vcc
	v_add_u32_e32 v14, 4, v33
	v_add_co_u32_e32 v33, vcc, s12, v27
	v_addc_co_u32_e32 v34, vcc, v19, v28, vcc
	global_load_dwordx4 v[25:28], v[25:26], off
	v_lshlrev_b64 v[13:14], 3, v[14:15]
	v_add_u32_e32 v12, 48, v12
	v_add_co_u32_e32 v13, vcc, s14, v13
	v_addc_co_u32_e32 v14, vcc, v20, v14, vcc
	v_cmp_ge_i32_e32 vcc, v16, v18
	s_or_b64 s[8:9], vcc, s[8:9]
	s_waitcnt vmcnt(1)
	v_fma_f64 v[37:38], v[8:9], v[21:22], v[37:38]
	v_fma_f64 v[21:22], v[10:11], v[21:22], v[31:32]
	global_load_dwordx4 v[8:11], v[33:34], off
	global_load_dwordx4 v[29:32], v[13:14], off
	s_waitcnt vmcnt(2)
	v_fma_f64 v[13:14], v[25:26], v[23:24], v[37:38]
	v_fma_f64 v[25:26], v[27:28], v[23:24], v[21:22]
	global_load_dwordx4 v[21:24], v[35:36], off
	s_waitcnt vmcnt(1)
	v_fma_f64 v[8:9], v[8:9], v[29:30], v[13:14]
	v_fma_f64 v[13:14], v[10:11], v[29:30], v[25:26]
	s_waitcnt vmcnt(0)
	v_fma_f64 v[10:11], v[21:22], v[31:32], v[8:9]
	v_fma_f64 v[8:9], v[23:24], v[31:32], v[13:14]
	s_andn2_b64 exec, exec, s[8:9]
	s_cbranch_execnz .LBB96_9
; %bb.10:
	s_or_b64 exec, exec, s[8:9]
.LBB96_11:
	s_or_b64 exec, exec, s[6:7]
	s_cbranch_execz .LBB96_13
	s_branch .LBB96_18
.LBB96_12:
                                        ; implicit-def: $vgpr10_vgpr11
                                        ; implicit-def: $vgpr8_vgpr9
.LBB96_13:
	v_mov_b32_e32 v10, 0
	v_mov_b32_e32 v8, 0
	;; [unrolled: 1-line block ×4, first 2 shown]
	s_and_saveexec_b64 s[6:7], s[0:1]
	s_cbranch_execz .LBB96_17
; %bb.14:
	v_mad_u64_u32 v[12:13], s[0:1], v6, 12, 11
	v_mov_b32_e32 v10, 0
	v_mov_b32_e32 v8, 0
	;; [unrolled: 1-line block ×3, first 2 shown]
	s_mov_b64 s[0:1], 0
	v_mov_b32_e32 v15, s11
	v_mov_b32_e32 v14, 0
	;; [unrolled: 1-line block ×5, first 2 shown]
.LBB96_15:                              ; =>This Inner Loop Header: Depth=1
	v_ashrrev_i32_e32 v7, 31, v6
	v_lshlrev_b64 v[19:20], 2, v[6:7]
	v_add_u32_e32 v13, -11, v12
	v_lshlrev_b64 v[21:22], 3, v[13:14]
	v_add_co_u32_e32 v27, vcc, s10, v19
	v_addc_co_u32_e32 v28, vcc, v15, v20, vcc
	v_add_co_u32_e32 v29, vcc, s12, v21
	v_addc_co_u32_e32 v30, vcc, v16, v22, vcc
	global_load_dword v7, v[27:28], off
	global_load_dwordx4 v[19:22], v[29:30], off
	global_load_dwordx4 v[23:26], v[29:30], off offset:16
	v_mov_b32_e32 v32, v14
	v_mov_b32_e32 v13, v14
	v_add_u32_e32 v6, 4, v6
	s_waitcnt vmcnt(2)
	v_subrev_u32_e32 v7, s2, v7
	v_mul_lo_u32 v31, v7, 6
	v_lshlrev_b64 v[27:28], 3, v[31:32]
	v_add_co_u32_e32 v27, vcc, s14, v27
	v_addc_co_u32_e32 v28, vcc, v17, v28, vcc
	global_load_dwordx4 v[27:30], v[27:28], off
	s_waitcnt vmcnt(0)
	v_fma_f64 v[10:11], v[19:20], v[27:28], v[10:11]
	v_fma_f64 v[19:20], v[21:22], v[29:30], v[10:11]
	v_add_u32_e32 v10, -5, v12
	v_mov_b32_e32 v11, v14
	v_lshlrev_b64 v[10:11], 3, v[10:11]
	v_lshlrev_b64 v[21:22], 3, v[12:13]
	v_add_co_u32_e32 v10, vcc, s12, v10
	v_addc_co_u32_e32 v11, vcc, v16, v11, vcc
	v_add_co_u32_e32 v32, vcc, s12, v21
	v_add_u32_e32 v13, -4, v12
	v_addc_co_u32_e32 v33, vcc, v16, v22, vcc
	v_lshlrev_b64 v[21:22], 3, v[13:14]
	v_add_u32_e32 v13, 2, v31
	v_add_co_u32_e32 v21, vcc, s12, v21
	v_addc_co_u32_e32 v22, vcc, v16, v22, vcc
	global_load_dwordx2 v[34:35], v[10:11], off
	global_load_dwordx2 v[36:37], v[21:22], off
	s_waitcnt vmcnt(1)
	v_fma_f64 v[7:8], v[34:35], v[27:28], v[8:9]
	s_waitcnt vmcnt(0)
	v_fma_f64 v[21:22], v[36:37], v[29:30], v[7:8]
	v_lshlrev_b64 v[7:8], 3, v[13:14]
	v_add_u32_e32 v13, -3, v12
	v_add_co_u32_e32 v7, vcc, s14, v7
	v_addc_co_u32_e32 v8, vcc, v17, v8, vcc
	global_load_dwordx4 v[7:10], v[7:8], off
	v_lshlrev_b64 v[27:28], 3, v[13:14]
	v_add_u32_e32 v13, -2, v12
	s_waitcnt vmcnt(0)
	v_fma_f64 v[19:20], v[23:24], v[7:8], v[19:20]
	v_fma_f64 v[23:24], v[25:26], v[9:10], v[19:20]
	v_lshlrev_b64 v[19:20], 3, v[13:14]
	v_add_co_u32_e32 v25, vcc, s12, v27
	v_add_u32_e32 v13, -7, v12
	v_addc_co_u32_e32 v26, vcc, v16, v28, vcc
	v_lshlrev_b64 v[27:28], 3, v[13:14]
	v_add_co_u32_e32 v19, vcc, s12, v19
	v_addc_co_u32_e32 v20, vcc, v16, v20, vcc
	v_add_co_u32_e32 v27, vcc, s12, v27
	v_addc_co_u32_e32 v28, vcc, v16, v28, vcc
	global_load_dwordx2 v[36:37], v[25:26], off
	global_load_dwordx2 v[38:39], v[19:20], off
	;; [unrolled: 1-line block ×3, first 2 shown]
	v_add_u32_e32 v13, 4, v31
	v_lshlrev_b64 v[29:30], 3, v[13:14]
	v_add_u32_e32 v13, -1, v12
	v_add_co_u32_e32 v29, vcc, s14, v29
	v_lshlrev_b64 v[34:35], 3, v[13:14]
	v_addc_co_u32_e32 v30, vcc, v17, v30, vcc
	v_add_co_u32_e32 v34, vcc, s12, v34
	v_addc_co_u32_e32 v35, vcc, v16, v35, vcc
	v_add_u32_e32 v13, -6, v12
	v_lshlrev_b64 v[25:26], 3, v[13:14]
	v_add_u32_e32 v12, 48, v12
	v_add_co_u32_e32 v25, vcc, s12, v25
	v_addc_co_u32_e32 v26, vcc, v16, v26, vcc
	v_cmp_ge_i32_e32 vcc, v6, v18
	s_or_b64 s[0:1], vcc, s[0:1]
	s_waitcnt vmcnt(2)
	v_fma_f64 v[7:8], v[36:37], v[7:8], v[21:22]
	s_waitcnt vmcnt(1)
	v_fma_f64 v[7:8], v[38:39], v[9:10], v[7:8]
	global_load_dwordx4 v[19:22], v[29:30], off
	global_load_dwordx2 v[9:10], v[34:35], off
	global_load_dwordx2 v[27:28], v[25:26], off
	s_nop 0
	global_load_dwordx2 v[29:30], v[32:33], off
	s_waitcnt vmcnt(3)
	v_fma_f64 v[23:24], v[40:41], v[19:20], v[23:24]
	s_waitcnt vmcnt(2)
	v_fma_f64 v[7:8], v[9:10], v[19:20], v[7:8]
	;; [unrolled: 2-line block ×4, first 2 shown]
	s_andn2_b64 exec, exec, s[0:1]
	s_cbranch_execnz .LBB96_15
; %bb.16:
	s_or_b64 exec, exec, s[0:1]
.LBB96_17:
	s_or_b64 exec, exec, s[6:7]
.LBB96_18:
	v_mov_b32_dpp v6, v10 row_shr:1 row_mask:0xf bank_mask:0xf
	v_mov_b32_dpp v7, v11 row_shr:1 row_mask:0xf bank_mask:0xf
	v_add_f64 v[6:7], v[10:11], v[6:7]
	v_mov_b32_dpp v10, v8 row_shr:1 row_mask:0xf bank_mask:0xf
	v_mov_b32_dpp v11, v9 row_shr:1 row_mask:0xf bank_mask:0xf
	v_add_f64 v[10:11], v[8:9], v[10:11]
	v_cmp_eq_u32_e32 vcc, 3, v0
	v_mov_b32_dpp v8, v6 row_shr:2 row_mask:0xf bank_mask:0xf
	v_mov_b32_dpp v9, v7 row_shr:2 row_mask:0xf bank_mask:0xf
	;; [unrolled: 1-line block ×4, first 2 shown]
	s_and_b64 exec, exec, vcc
	s_cbranch_execz .LBB96_23
; %bb.19:
	v_add_f64 v[8:9], v[6:7], v[8:9]
	v_add_f64 v[6:7], v[10:11], v[12:13]
	v_cmp_eq_f64_e32 vcc, 0, v[3:4]
	s_load_dwordx2 s[0:1], s[4:5], 0x38
	s_and_saveexec_b64 s[2:3], vcc
	s_xor_b64 s[2:3], exec, s[2:3]
	s_cbranch_execz .LBB96_21
; %bb.20:
	v_mul_f64 v[3:4], v[1:2], v[8:9]
	v_lshlrev_b32_e32 v0, 1, v5
	v_mul_f64 v[5:6], v[1:2], v[6:7]
	v_ashrrev_i32_e32 v1, 31, v0
	v_lshlrev_b64 v[0:1], 3, v[0:1]
	s_waitcnt lgkmcnt(0)
	v_mov_b32_e32 v2, s1
	v_add_co_u32_e32 v0, vcc, s0, v0
	v_addc_co_u32_e32 v1, vcc, v2, v1, vcc
	global_store_dwordx4 v[0:1], v[3:6], off
                                        ; implicit-def: $vgpr5
                                        ; implicit-def: $vgpr1_vgpr2
                                        ; implicit-def: $vgpr8_vgpr9
                                        ; implicit-def: $vgpr3_vgpr4
                                        ; implicit-def: $vgpr6_vgpr7
.LBB96_21:
	s_andn2_saveexec_b64 s[2:3], s[2:3]
	s_cbranch_execz .LBB96_23
; %bb.22:
	v_lshlrev_b32_e32 v10, 1, v5
	v_ashrrev_i32_e32 v11, 31, v10
	v_lshlrev_b64 v[10:11], 3, v[10:11]
	s_waitcnt lgkmcnt(0)
	v_mov_b32_e32 v0, s1
	v_add_co_u32_e32 v14, vcc, s0, v10
	v_addc_co_u32_e32 v15, vcc, v0, v11, vcc
	global_load_dwordx4 v[10:13], v[14:15], off
	v_mul_f64 v[8:9], v[1:2], v[8:9]
	v_mul_f64 v[5:6], v[1:2], v[6:7]
	s_waitcnt vmcnt(0)
	v_fma_f64 v[0:1], v[3:4], v[10:11], v[8:9]
	v_fma_f64 v[2:3], v[3:4], v[12:13], v[5:6]
	global_store_dwordx4 v[14:15], v[0:3], off
.LBB96_23:
	s_endpgm
	.section	.rodata,"a",@progbits
	.p2align	6, 0x0
	.amdhsa_kernel _ZN9rocsparseL19gebsrmvn_2xn_kernelILj128ELj6ELj4EdEEvi20rocsparse_direction_NS_24const_host_device_scalarIT2_EEPKiS6_PKS3_S8_S4_PS3_21rocsparse_index_base_b
		.amdhsa_group_segment_fixed_size 0
		.amdhsa_private_segment_fixed_size 0
		.amdhsa_kernarg_size 72
		.amdhsa_user_sgpr_count 6
		.amdhsa_user_sgpr_private_segment_buffer 1
		.amdhsa_user_sgpr_dispatch_ptr 0
		.amdhsa_user_sgpr_queue_ptr 0
		.amdhsa_user_sgpr_kernarg_segment_ptr 1
		.amdhsa_user_sgpr_dispatch_id 0
		.amdhsa_user_sgpr_flat_scratch_init 0
		.amdhsa_user_sgpr_private_segment_size 0
		.amdhsa_uses_dynamic_stack 0
		.amdhsa_system_sgpr_private_segment_wavefront_offset 0
		.amdhsa_system_sgpr_workgroup_id_x 1
		.amdhsa_system_sgpr_workgroup_id_y 0
		.amdhsa_system_sgpr_workgroup_id_z 0
		.amdhsa_system_sgpr_workgroup_info 0
		.amdhsa_system_vgpr_workitem_id 0
		.amdhsa_next_free_vgpr 42
		.amdhsa_next_free_sgpr 16
		.amdhsa_reserve_vcc 1
		.amdhsa_reserve_flat_scratch 0
		.amdhsa_float_round_mode_32 0
		.amdhsa_float_round_mode_16_64 0
		.amdhsa_float_denorm_mode_32 3
		.amdhsa_float_denorm_mode_16_64 3
		.amdhsa_dx10_clamp 1
		.amdhsa_ieee_mode 1
		.amdhsa_fp16_overflow 0
		.amdhsa_exception_fp_ieee_invalid_op 0
		.amdhsa_exception_fp_denorm_src 0
		.amdhsa_exception_fp_ieee_div_zero 0
		.amdhsa_exception_fp_ieee_overflow 0
		.amdhsa_exception_fp_ieee_underflow 0
		.amdhsa_exception_fp_ieee_inexact 0
		.amdhsa_exception_int_div_zero 0
	.end_amdhsa_kernel
	.section	.text._ZN9rocsparseL19gebsrmvn_2xn_kernelILj128ELj6ELj4EdEEvi20rocsparse_direction_NS_24const_host_device_scalarIT2_EEPKiS6_PKS3_S8_S4_PS3_21rocsparse_index_base_b,"axG",@progbits,_ZN9rocsparseL19gebsrmvn_2xn_kernelILj128ELj6ELj4EdEEvi20rocsparse_direction_NS_24const_host_device_scalarIT2_EEPKiS6_PKS3_S8_S4_PS3_21rocsparse_index_base_b,comdat
.Lfunc_end96:
	.size	_ZN9rocsparseL19gebsrmvn_2xn_kernelILj128ELj6ELj4EdEEvi20rocsparse_direction_NS_24const_host_device_scalarIT2_EEPKiS6_PKS3_S8_S4_PS3_21rocsparse_index_base_b, .Lfunc_end96-_ZN9rocsparseL19gebsrmvn_2xn_kernelILj128ELj6ELj4EdEEvi20rocsparse_direction_NS_24const_host_device_scalarIT2_EEPKiS6_PKS3_S8_S4_PS3_21rocsparse_index_base_b
                                        ; -- End function
	.set _ZN9rocsparseL19gebsrmvn_2xn_kernelILj128ELj6ELj4EdEEvi20rocsparse_direction_NS_24const_host_device_scalarIT2_EEPKiS6_PKS3_S8_S4_PS3_21rocsparse_index_base_b.num_vgpr, 42
	.set _ZN9rocsparseL19gebsrmvn_2xn_kernelILj128ELj6ELj4EdEEvi20rocsparse_direction_NS_24const_host_device_scalarIT2_EEPKiS6_PKS3_S8_S4_PS3_21rocsparse_index_base_b.num_agpr, 0
	.set _ZN9rocsparseL19gebsrmvn_2xn_kernelILj128ELj6ELj4EdEEvi20rocsparse_direction_NS_24const_host_device_scalarIT2_EEPKiS6_PKS3_S8_S4_PS3_21rocsparse_index_base_b.numbered_sgpr, 16
	.set _ZN9rocsparseL19gebsrmvn_2xn_kernelILj128ELj6ELj4EdEEvi20rocsparse_direction_NS_24const_host_device_scalarIT2_EEPKiS6_PKS3_S8_S4_PS3_21rocsparse_index_base_b.num_named_barrier, 0
	.set _ZN9rocsparseL19gebsrmvn_2xn_kernelILj128ELj6ELj4EdEEvi20rocsparse_direction_NS_24const_host_device_scalarIT2_EEPKiS6_PKS3_S8_S4_PS3_21rocsparse_index_base_b.private_seg_size, 0
	.set _ZN9rocsparseL19gebsrmvn_2xn_kernelILj128ELj6ELj4EdEEvi20rocsparse_direction_NS_24const_host_device_scalarIT2_EEPKiS6_PKS3_S8_S4_PS3_21rocsparse_index_base_b.uses_vcc, 1
	.set _ZN9rocsparseL19gebsrmvn_2xn_kernelILj128ELj6ELj4EdEEvi20rocsparse_direction_NS_24const_host_device_scalarIT2_EEPKiS6_PKS3_S8_S4_PS3_21rocsparse_index_base_b.uses_flat_scratch, 0
	.set _ZN9rocsparseL19gebsrmvn_2xn_kernelILj128ELj6ELj4EdEEvi20rocsparse_direction_NS_24const_host_device_scalarIT2_EEPKiS6_PKS3_S8_S4_PS3_21rocsparse_index_base_b.has_dyn_sized_stack, 0
	.set _ZN9rocsparseL19gebsrmvn_2xn_kernelILj128ELj6ELj4EdEEvi20rocsparse_direction_NS_24const_host_device_scalarIT2_EEPKiS6_PKS3_S8_S4_PS3_21rocsparse_index_base_b.has_recursion, 0
	.set _ZN9rocsparseL19gebsrmvn_2xn_kernelILj128ELj6ELj4EdEEvi20rocsparse_direction_NS_24const_host_device_scalarIT2_EEPKiS6_PKS3_S8_S4_PS3_21rocsparse_index_base_b.has_indirect_call, 0
	.section	.AMDGPU.csdata,"",@progbits
; Kernel info:
; codeLenInByte = 1668
; TotalNumSgprs: 20
; NumVgprs: 42
; ScratchSize: 0
; MemoryBound: 0
; FloatMode: 240
; IeeeMode: 1
; LDSByteSize: 0 bytes/workgroup (compile time only)
; SGPRBlocks: 2
; VGPRBlocks: 10
; NumSGPRsForWavesPerEU: 20
; NumVGPRsForWavesPerEU: 42
; Occupancy: 5
; WaveLimiterHint : 1
; COMPUTE_PGM_RSRC2:SCRATCH_EN: 0
; COMPUTE_PGM_RSRC2:USER_SGPR: 6
; COMPUTE_PGM_RSRC2:TRAP_HANDLER: 0
; COMPUTE_PGM_RSRC2:TGID_X_EN: 1
; COMPUTE_PGM_RSRC2:TGID_Y_EN: 0
; COMPUTE_PGM_RSRC2:TGID_Z_EN: 0
; COMPUTE_PGM_RSRC2:TIDIG_COMP_CNT: 0
	.section	.text._ZN9rocsparseL19gebsrmvn_2xn_kernelILj128ELj6ELj8EdEEvi20rocsparse_direction_NS_24const_host_device_scalarIT2_EEPKiS6_PKS3_S8_S4_PS3_21rocsparse_index_base_b,"axG",@progbits,_ZN9rocsparseL19gebsrmvn_2xn_kernelILj128ELj6ELj8EdEEvi20rocsparse_direction_NS_24const_host_device_scalarIT2_EEPKiS6_PKS3_S8_S4_PS3_21rocsparse_index_base_b,comdat
	.globl	_ZN9rocsparseL19gebsrmvn_2xn_kernelILj128ELj6ELj8EdEEvi20rocsparse_direction_NS_24const_host_device_scalarIT2_EEPKiS6_PKS3_S8_S4_PS3_21rocsparse_index_base_b ; -- Begin function _ZN9rocsparseL19gebsrmvn_2xn_kernelILj128ELj6ELj8EdEEvi20rocsparse_direction_NS_24const_host_device_scalarIT2_EEPKiS6_PKS3_S8_S4_PS3_21rocsparse_index_base_b
	.p2align	8
	.type	_ZN9rocsparseL19gebsrmvn_2xn_kernelILj128ELj6ELj8EdEEvi20rocsparse_direction_NS_24const_host_device_scalarIT2_EEPKiS6_PKS3_S8_S4_PS3_21rocsparse_index_base_b,@function
_ZN9rocsparseL19gebsrmvn_2xn_kernelILj128ELj6ELj8EdEEvi20rocsparse_direction_NS_24const_host_device_scalarIT2_EEPKiS6_PKS3_S8_S4_PS3_21rocsparse_index_base_b: ; @_ZN9rocsparseL19gebsrmvn_2xn_kernelILj128ELj6ELj8EdEEvi20rocsparse_direction_NS_24const_host_device_scalarIT2_EEPKiS6_PKS3_S8_S4_PS3_21rocsparse_index_base_b
; %bb.0:
	s_load_dwordx2 s[2:3], s[4:5], 0x40
	s_load_dwordx2 s[10:11], s[4:5], 0x8
	;; [unrolled: 1-line block ×3, first 2 shown]
	s_waitcnt lgkmcnt(0)
	s_bitcmp1_b32 s3, 0
	s_cselect_b64 s[12:13], -1, 0
	v_mov_b32_e32 v1, s10
	s_xor_b64 s[8:9], s[12:13], -1
	s_and_b64 vcc, exec, s[12:13]
	v_mov_b32_e32 v2, s11
	s_cbranch_vccnz .LBB97_2
; %bb.1:
	v_mov_b32_e32 v1, s10
	v_mov_b32_e32 v2, s11
	flat_load_dwordx2 v[1:2], v[1:2]
.LBB97_2:
	v_mov_b32_e32 v4, s1
	s_andn2_b64 vcc, exec, s[8:9]
	v_mov_b32_e32 v3, s0
	s_cbranch_vccnz .LBB97_4
; %bb.3:
	v_mov_b32_e32 v4, s1
	v_mov_b32_e32 v3, s0
	flat_load_dwordx2 v[3:4], v[3:4]
.LBB97_4:
	s_waitcnt vmcnt(0) lgkmcnt(0)
	v_cmp_neq_f64_e32 vcc, 0, v[1:2]
	v_cmp_neq_f64_e64 s[0:1], 1.0, v[3:4]
	s_or_b64 s[0:1], vcc, s[0:1]
	s_and_saveexec_b64 s[8:9], s[0:1]
	s_cbranch_execz .LBB97_23
; %bb.5:
	s_load_dwordx2 s[0:1], s[4:5], 0x0
	v_lshrrev_b32_e32 v5, 3, v0
	v_lshl_or_b32 v5, s6, 4, v5
	s_waitcnt lgkmcnt(0)
	v_cmp_gt_i32_e32 vcc, s0, v5
	s_and_b64 exec, exec, vcc
	s_cbranch_execz .LBB97_23
; %bb.6:
	s_load_dwordx8 s[8:15], s[4:5], 0x10
	v_ashrrev_i32_e32 v6, 31, v5
	v_lshlrev_b64 v[6:7], 2, v[5:6]
	v_and_b32_e32 v0, 7, v0
	s_cmp_lg_u32 s1, 0
	s_waitcnt lgkmcnt(0)
	v_mov_b32_e32 v8, s9
	v_add_co_u32_e32 v6, vcc, s8, v6
	v_addc_co_u32_e32 v7, vcc, v8, v7, vcc
	global_load_dwordx2 v[6:7], v[6:7], off
	s_waitcnt vmcnt(0)
	v_subrev_u32_e32 v6, s2, v6
	v_subrev_u32_e32 v18, s2, v7
	v_add_u32_e32 v6, v6, v0
	v_cmp_lt_i32_e64 s[0:1], v6, v18
	s_cbranch_scc0 .LBB97_12
; %bb.7:
	v_mov_b32_e32 v10, 0
	v_mov_b32_e32 v8, 0
	;; [unrolled: 1-line block ×4, first 2 shown]
	s_and_saveexec_b64 s[6:7], s[0:1]
	s_cbranch_execz .LBB97_11
; %bb.8:
	v_mad_u64_u32 v[12:13], s[8:9], v6, 12, 10
	v_mov_b32_e32 v10, 0
	v_mov_b32_e32 v8, 0
	;; [unrolled: 1-line block ×3, first 2 shown]
	s_mov_b64 s[8:9], 0
	v_mov_b32_e32 v7, s11
	v_mov_b32_e32 v15, 0
	;; [unrolled: 1-line block ×6, first 2 shown]
.LBB97_9:                               ; =>This Inner Loop Header: Depth=1
	v_ashrrev_i32_e32 v17, 31, v16
	v_lshlrev_b64 v[21:22], 2, v[16:17]
	v_add_u32_e32 v14, -10, v12
	v_lshlrev_b64 v[23:24], 3, v[14:15]
	v_add_co_u32_e32 v29, vcc, s10, v21
	v_mov_b32_e32 v13, v15
	v_addc_co_u32_e32 v30, vcc, v7, v22, vcc
	v_lshlrev_b64 v[25:26], 3, v[12:13]
	v_add_co_u32_e32 v31, vcc, s12, v23
	v_addc_co_u32_e32 v32, vcc, v19, v24, vcc
	v_add_co_u32_e32 v35, vcc, s12, v25
	v_addc_co_u32_e32 v36, vcc, v19, v26, vcc
	global_load_dword v17, v[29:30], off
	global_load_dwordx4 v[21:24], v[31:32], off
	global_load_dwordx4 v[25:28], v[31:32], off offset:16
	v_add_u32_e32 v14, -6, v12
	v_lshlrev_b64 v[13:14], 3, v[14:15]
	v_mov_b32_e32 v34, v15
	v_add_co_u32_e32 v13, vcc, s12, v13
	v_addc_co_u32_e32 v14, vcc, v19, v14, vcc
	v_add_u32_e32 v16, 8, v16
	s_waitcnt vmcnt(2)
	v_subrev_u32_e32 v17, s2, v17
	v_mul_lo_u32 v33, v17, 6
	v_lshlrev_b64 v[29:30], 3, v[33:34]
	v_add_co_u32_e32 v29, vcc, s14, v29
	v_addc_co_u32_e32 v30, vcc, v20, v30, vcc
	global_load_dwordx4 v[29:32], v[29:30], off
	s_waitcnt vmcnt(0)
	v_fma_f64 v[21:22], v[21:22], v[29:30], v[10:11]
	v_fma_f64 v[23:24], v[23:24], v[29:30], v[8:9]
	global_load_dwordx4 v[8:11], v[13:14], off
	v_add_u32_e32 v14, 2, v33
	v_lshlrev_b64 v[29:30], 3, v[14:15]
	v_add_u32_e32 v14, -4, v12
	v_fma_f64 v[37:38], v[25:26], v[31:32], v[21:22]
	v_add_co_u32_e32 v21, vcc, s14, v29
	v_addc_co_u32_e32 v22, vcc, v20, v30, vcc
	v_fma_f64 v[31:32], v[27:28], v[31:32], v[23:24]
	global_load_dwordx4 v[21:24], v[21:22], off
	v_lshlrev_b64 v[25:26], 3, v[14:15]
	v_add_u32_e32 v14, -2, v12
	v_lshlrev_b64 v[27:28], 3, v[14:15]
	v_add_co_u32_e32 v25, vcc, s12, v25
	v_addc_co_u32_e32 v26, vcc, v19, v26, vcc
	v_add_u32_e32 v14, 4, v33
	v_add_co_u32_e32 v33, vcc, s12, v27
	v_addc_co_u32_e32 v34, vcc, v19, v28, vcc
	global_load_dwordx4 v[25:28], v[25:26], off
	v_lshlrev_b64 v[13:14], 3, v[14:15]
	v_add_u32_e32 v12, 0x60, v12
	v_add_co_u32_e32 v13, vcc, s14, v13
	v_addc_co_u32_e32 v14, vcc, v20, v14, vcc
	v_cmp_ge_i32_e32 vcc, v16, v18
	s_or_b64 s[8:9], vcc, s[8:9]
	s_waitcnt vmcnt(1)
	v_fma_f64 v[37:38], v[8:9], v[21:22], v[37:38]
	v_fma_f64 v[21:22], v[10:11], v[21:22], v[31:32]
	global_load_dwordx4 v[8:11], v[33:34], off
	global_load_dwordx4 v[29:32], v[13:14], off
	s_waitcnt vmcnt(2)
	v_fma_f64 v[13:14], v[25:26], v[23:24], v[37:38]
	v_fma_f64 v[25:26], v[27:28], v[23:24], v[21:22]
	global_load_dwordx4 v[21:24], v[35:36], off
	s_waitcnt vmcnt(1)
	v_fma_f64 v[8:9], v[8:9], v[29:30], v[13:14]
	v_fma_f64 v[13:14], v[10:11], v[29:30], v[25:26]
	s_waitcnt vmcnt(0)
	v_fma_f64 v[10:11], v[21:22], v[31:32], v[8:9]
	v_fma_f64 v[8:9], v[23:24], v[31:32], v[13:14]
	s_andn2_b64 exec, exec, s[8:9]
	s_cbranch_execnz .LBB97_9
; %bb.10:
	s_or_b64 exec, exec, s[8:9]
.LBB97_11:
	s_or_b64 exec, exec, s[6:7]
	s_cbranch_execz .LBB97_13
	s_branch .LBB97_18
.LBB97_12:
                                        ; implicit-def: $vgpr10_vgpr11
                                        ; implicit-def: $vgpr8_vgpr9
.LBB97_13:
	v_mov_b32_e32 v10, 0
	v_mov_b32_e32 v8, 0
	;; [unrolled: 1-line block ×4, first 2 shown]
	s_and_saveexec_b64 s[6:7], s[0:1]
	s_cbranch_execz .LBB97_17
; %bb.14:
	v_mad_u64_u32 v[12:13], s[0:1], v6, 12, 11
	v_mov_b32_e32 v10, 0
	v_mov_b32_e32 v8, 0
	;; [unrolled: 1-line block ×3, first 2 shown]
	s_mov_b64 s[0:1], 0
	v_mov_b32_e32 v15, s11
	v_mov_b32_e32 v14, 0
	;; [unrolled: 1-line block ×5, first 2 shown]
.LBB97_15:                              ; =>This Inner Loop Header: Depth=1
	v_ashrrev_i32_e32 v7, 31, v6
	v_lshlrev_b64 v[19:20], 2, v[6:7]
	v_add_u32_e32 v13, -11, v12
	v_lshlrev_b64 v[21:22], 3, v[13:14]
	v_add_co_u32_e32 v27, vcc, s10, v19
	v_addc_co_u32_e32 v28, vcc, v15, v20, vcc
	v_add_co_u32_e32 v29, vcc, s12, v21
	v_addc_co_u32_e32 v30, vcc, v16, v22, vcc
	global_load_dword v7, v[27:28], off
	global_load_dwordx4 v[19:22], v[29:30], off
	global_load_dwordx4 v[23:26], v[29:30], off offset:16
	v_mov_b32_e32 v32, v14
	v_mov_b32_e32 v13, v14
	v_add_u32_e32 v6, 8, v6
	s_waitcnt vmcnt(2)
	v_subrev_u32_e32 v7, s2, v7
	v_mul_lo_u32 v31, v7, 6
	v_lshlrev_b64 v[27:28], 3, v[31:32]
	v_add_co_u32_e32 v27, vcc, s14, v27
	v_addc_co_u32_e32 v28, vcc, v17, v28, vcc
	global_load_dwordx4 v[27:30], v[27:28], off
	s_waitcnt vmcnt(0)
	v_fma_f64 v[10:11], v[19:20], v[27:28], v[10:11]
	v_fma_f64 v[19:20], v[21:22], v[29:30], v[10:11]
	v_add_u32_e32 v10, -5, v12
	v_mov_b32_e32 v11, v14
	v_lshlrev_b64 v[10:11], 3, v[10:11]
	v_lshlrev_b64 v[21:22], 3, v[12:13]
	v_add_co_u32_e32 v10, vcc, s12, v10
	v_addc_co_u32_e32 v11, vcc, v16, v11, vcc
	v_add_co_u32_e32 v32, vcc, s12, v21
	v_add_u32_e32 v13, -4, v12
	v_addc_co_u32_e32 v33, vcc, v16, v22, vcc
	v_lshlrev_b64 v[21:22], 3, v[13:14]
	v_add_u32_e32 v13, 2, v31
	v_add_co_u32_e32 v21, vcc, s12, v21
	v_addc_co_u32_e32 v22, vcc, v16, v22, vcc
	global_load_dwordx2 v[34:35], v[10:11], off
	global_load_dwordx2 v[36:37], v[21:22], off
	s_waitcnt vmcnt(1)
	v_fma_f64 v[7:8], v[34:35], v[27:28], v[8:9]
	s_waitcnt vmcnt(0)
	v_fma_f64 v[21:22], v[36:37], v[29:30], v[7:8]
	v_lshlrev_b64 v[7:8], 3, v[13:14]
	v_add_u32_e32 v13, -3, v12
	v_add_co_u32_e32 v7, vcc, s14, v7
	v_addc_co_u32_e32 v8, vcc, v17, v8, vcc
	global_load_dwordx4 v[7:10], v[7:8], off
	v_lshlrev_b64 v[27:28], 3, v[13:14]
	v_add_u32_e32 v13, -2, v12
	s_waitcnt vmcnt(0)
	v_fma_f64 v[19:20], v[23:24], v[7:8], v[19:20]
	v_fma_f64 v[23:24], v[25:26], v[9:10], v[19:20]
	v_lshlrev_b64 v[19:20], 3, v[13:14]
	v_add_co_u32_e32 v25, vcc, s12, v27
	v_add_u32_e32 v13, -7, v12
	v_addc_co_u32_e32 v26, vcc, v16, v28, vcc
	v_lshlrev_b64 v[27:28], 3, v[13:14]
	v_add_co_u32_e32 v19, vcc, s12, v19
	v_addc_co_u32_e32 v20, vcc, v16, v20, vcc
	v_add_co_u32_e32 v27, vcc, s12, v27
	v_addc_co_u32_e32 v28, vcc, v16, v28, vcc
	global_load_dwordx2 v[36:37], v[25:26], off
	global_load_dwordx2 v[38:39], v[19:20], off
	;; [unrolled: 1-line block ×3, first 2 shown]
	v_add_u32_e32 v13, 4, v31
	v_lshlrev_b64 v[29:30], 3, v[13:14]
	v_add_u32_e32 v13, -1, v12
	v_add_co_u32_e32 v29, vcc, s14, v29
	v_lshlrev_b64 v[34:35], 3, v[13:14]
	v_addc_co_u32_e32 v30, vcc, v17, v30, vcc
	v_add_co_u32_e32 v34, vcc, s12, v34
	v_addc_co_u32_e32 v35, vcc, v16, v35, vcc
	v_add_u32_e32 v13, -6, v12
	v_lshlrev_b64 v[25:26], 3, v[13:14]
	v_add_u32_e32 v12, 0x60, v12
	v_add_co_u32_e32 v25, vcc, s12, v25
	v_addc_co_u32_e32 v26, vcc, v16, v26, vcc
	v_cmp_ge_i32_e32 vcc, v6, v18
	s_or_b64 s[0:1], vcc, s[0:1]
	s_waitcnt vmcnt(2)
	v_fma_f64 v[7:8], v[36:37], v[7:8], v[21:22]
	s_waitcnt vmcnt(1)
	v_fma_f64 v[7:8], v[38:39], v[9:10], v[7:8]
	global_load_dwordx4 v[19:22], v[29:30], off
	global_load_dwordx2 v[9:10], v[34:35], off
	global_load_dwordx2 v[27:28], v[25:26], off
	s_nop 0
	global_load_dwordx2 v[29:30], v[32:33], off
	s_waitcnt vmcnt(3)
	v_fma_f64 v[23:24], v[40:41], v[19:20], v[23:24]
	s_waitcnt vmcnt(2)
	v_fma_f64 v[7:8], v[9:10], v[19:20], v[7:8]
	;; [unrolled: 2-line block ×4, first 2 shown]
	s_andn2_b64 exec, exec, s[0:1]
	s_cbranch_execnz .LBB97_15
; %bb.16:
	s_or_b64 exec, exec, s[0:1]
.LBB97_17:
	s_or_b64 exec, exec, s[6:7]
.LBB97_18:
	v_mov_b32_dpp v6, v10 row_shr:1 row_mask:0xf bank_mask:0xf
	v_mov_b32_dpp v7, v11 row_shr:1 row_mask:0xf bank_mask:0xf
	v_add_f64 v[6:7], v[10:11], v[6:7]
	v_mov_b32_dpp v10, v8 row_shr:1 row_mask:0xf bank_mask:0xf
	v_mov_b32_dpp v11, v9 row_shr:1 row_mask:0xf bank_mask:0xf
	v_add_f64 v[8:9], v[8:9], v[10:11]
	v_cmp_eq_u32_e32 vcc, 7, v0
	v_mov_b32_dpp v10, v6 row_shr:2 row_mask:0xf bank_mask:0xf
	v_mov_b32_dpp v11, v7 row_shr:2 row_mask:0xf bank_mask:0xf
	v_add_f64 v[6:7], v[6:7], v[10:11]
	v_mov_b32_dpp v12, v8 row_shr:2 row_mask:0xf bank_mask:0xf
	v_mov_b32_dpp v13, v9 row_shr:2 row_mask:0xf bank_mask:0xf
	v_add_f64 v[10:11], v[8:9], v[12:13]
	v_mov_b32_dpp v8, v6 row_shr:4 row_mask:0xf bank_mask:0xe
	v_mov_b32_dpp v9, v7 row_shr:4 row_mask:0xf bank_mask:0xe
	;; [unrolled: 1-line block ×4, first 2 shown]
	s_and_b64 exec, exec, vcc
	s_cbranch_execz .LBB97_23
; %bb.19:
	v_add_f64 v[8:9], v[6:7], v[8:9]
	v_add_f64 v[6:7], v[10:11], v[12:13]
	v_cmp_eq_f64_e32 vcc, 0, v[3:4]
	s_load_dwordx2 s[0:1], s[4:5], 0x38
	s_and_saveexec_b64 s[2:3], vcc
	s_xor_b64 s[2:3], exec, s[2:3]
	s_cbranch_execz .LBB97_21
; %bb.20:
	v_mul_f64 v[3:4], v[1:2], v[8:9]
	v_lshlrev_b32_e32 v0, 1, v5
	v_mul_f64 v[5:6], v[1:2], v[6:7]
	v_ashrrev_i32_e32 v1, 31, v0
	v_lshlrev_b64 v[0:1], 3, v[0:1]
	s_waitcnt lgkmcnt(0)
	v_mov_b32_e32 v2, s1
	v_add_co_u32_e32 v0, vcc, s0, v0
	v_addc_co_u32_e32 v1, vcc, v2, v1, vcc
	global_store_dwordx4 v[0:1], v[3:6], off
                                        ; implicit-def: $vgpr5
                                        ; implicit-def: $vgpr1_vgpr2
                                        ; implicit-def: $vgpr8_vgpr9
                                        ; implicit-def: $vgpr3_vgpr4
                                        ; implicit-def: $vgpr6_vgpr7
.LBB97_21:
	s_andn2_saveexec_b64 s[2:3], s[2:3]
	s_cbranch_execz .LBB97_23
; %bb.22:
	v_lshlrev_b32_e32 v10, 1, v5
	v_ashrrev_i32_e32 v11, 31, v10
	v_lshlrev_b64 v[10:11], 3, v[10:11]
	s_waitcnt lgkmcnt(0)
	v_mov_b32_e32 v0, s1
	v_add_co_u32_e32 v14, vcc, s0, v10
	v_addc_co_u32_e32 v15, vcc, v0, v11, vcc
	global_load_dwordx4 v[10:13], v[14:15], off
	v_mul_f64 v[8:9], v[1:2], v[8:9]
	v_mul_f64 v[5:6], v[1:2], v[6:7]
	s_waitcnt vmcnt(0)
	v_fma_f64 v[0:1], v[3:4], v[10:11], v[8:9]
	v_fma_f64 v[2:3], v[3:4], v[12:13], v[5:6]
	global_store_dwordx4 v[14:15], v[0:3], off
.LBB97_23:
	s_endpgm
	.section	.rodata,"a",@progbits
	.p2align	6, 0x0
	.amdhsa_kernel _ZN9rocsparseL19gebsrmvn_2xn_kernelILj128ELj6ELj8EdEEvi20rocsparse_direction_NS_24const_host_device_scalarIT2_EEPKiS6_PKS3_S8_S4_PS3_21rocsparse_index_base_b
		.amdhsa_group_segment_fixed_size 0
		.amdhsa_private_segment_fixed_size 0
		.amdhsa_kernarg_size 72
		.amdhsa_user_sgpr_count 6
		.amdhsa_user_sgpr_private_segment_buffer 1
		.amdhsa_user_sgpr_dispatch_ptr 0
		.amdhsa_user_sgpr_queue_ptr 0
		.amdhsa_user_sgpr_kernarg_segment_ptr 1
		.amdhsa_user_sgpr_dispatch_id 0
		.amdhsa_user_sgpr_flat_scratch_init 0
		.amdhsa_user_sgpr_private_segment_size 0
		.amdhsa_uses_dynamic_stack 0
		.amdhsa_system_sgpr_private_segment_wavefront_offset 0
		.amdhsa_system_sgpr_workgroup_id_x 1
		.amdhsa_system_sgpr_workgroup_id_y 0
		.amdhsa_system_sgpr_workgroup_id_z 0
		.amdhsa_system_sgpr_workgroup_info 0
		.amdhsa_system_vgpr_workitem_id 0
		.amdhsa_next_free_vgpr 42
		.amdhsa_next_free_sgpr 16
		.amdhsa_reserve_vcc 1
		.amdhsa_reserve_flat_scratch 0
		.amdhsa_float_round_mode_32 0
		.amdhsa_float_round_mode_16_64 0
		.amdhsa_float_denorm_mode_32 3
		.amdhsa_float_denorm_mode_16_64 3
		.amdhsa_dx10_clamp 1
		.amdhsa_ieee_mode 1
		.amdhsa_fp16_overflow 0
		.amdhsa_exception_fp_ieee_invalid_op 0
		.amdhsa_exception_fp_denorm_src 0
		.amdhsa_exception_fp_ieee_div_zero 0
		.amdhsa_exception_fp_ieee_overflow 0
		.amdhsa_exception_fp_ieee_underflow 0
		.amdhsa_exception_fp_ieee_inexact 0
		.amdhsa_exception_int_div_zero 0
	.end_amdhsa_kernel
	.section	.text._ZN9rocsparseL19gebsrmvn_2xn_kernelILj128ELj6ELj8EdEEvi20rocsparse_direction_NS_24const_host_device_scalarIT2_EEPKiS6_PKS3_S8_S4_PS3_21rocsparse_index_base_b,"axG",@progbits,_ZN9rocsparseL19gebsrmvn_2xn_kernelILj128ELj6ELj8EdEEvi20rocsparse_direction_NS_24const_host_device_scalarIT2_EEPKiS6_PKS3_S8_S4_PS3_21rocsparse_index_base_b,comdat
.Lfunc_end97:
	.size	_ZN9rocsparseL19gebsrmvn_2xn_kernelILj128ELj6ELj8EdEEvi20rocsparse_direction_NS_24const_host_device_scalarIT2_EEPKiS6_PKS3_S8_S4_PS3_21rocsparse_index_base_b, .Lfunc_end97-_ZN9rocsparseL19gebsrmvn_2xn_kernelILj128ELj6ELj8EdEEvi20rocsparse_direction_NS_24const_host_device_scalarIT2_EEPKiS6_PKS3_S8_S4_PS3_21rocsparse_index_base_b
                                        ; -- End function
	.set _ZN9rocsparseL19gebsrmvn_2xn_kernelILj128ELj6ELj8EdEEvi20rocsparse_direction_NS_24const_host_device_scalarIT2_EEPKiS6_PKS3_S8_S4_PS3_21rocsparse_index_base_b.num_vgpr, 42
	.set _ZN9rocsparseL19gebsrmvn_2xn_kernelILj128ELj6ELj8EdEEvi20rocsparse_direction_NS_24const_host_device_scalarIT2_EEPKiS6_PKS3_S8_S4_PS3_21rocsparse_index_base_b.num_agpr, 0
	.set _ZN9rocsparseL19gebsrmvn_2xn_kernelILj128ELj6ELj8EdEEvi20rocsparse_direction_NS_24const_host_device_scalarIT2_EEPKiS6_PKS3_S8_S4_PS3_21rocsparse_index_base_b.numbered_sgpr, 16
	.set _ZN9rocsparseL19gebsrmvn_2xn_kernelILj128ELj6ELj8EdEEvi20rocsparse_direction_NS_24const_host_device_scalarIT2_EEPKiS6_PKS3_S8_S4_PS3_21rocsparse_index_base_b.num_named_barrier, 0
	.set _ZN9rocsparseL19gebsrmvn_2xn_kernelILj128ELj6ELj8EdEEvi20rocsparse_direction_NS_24const_host_device_scalarIT2_EEPKiS6_PKS3_S8_S4_PS3_21rocsparse_index_base_b.private_seg_size, 0
	.set _ZN9rocsparseL19gebsrmvn_2xn_kernelILj128ELj6ELj8EdEEvi20rocsparse_direction_NS_24const_host_device_scalarIT2_EEPKiS6_PKS3_S8_S4_PS3_21rocsparse_index_base_b.uses_vcc, 1
	.set _ZN9rocsparseL19gebsrmvn_2xn_kernelILj128ELj6ELj8EdEEvi20rocsparse_direction_NS_24const_host_device_scalarIT2_EEPKiS6_PKS3_S8_S4_PS3_21rocsparse_index_base_b.uses_flat_scratch, 0
	.set _ZN9rocsparseL19gebsrmvn_2xn_kernelILj128ELj6ELj8EdEEvi20rocsparse_direction_NS_24const_host_device_scalarIT2_EEPKiS6_PKS3_S8_S4_PS3_21rocsparse_index_base_b.has_dyn_sized_stack, 0
	.set _ZN9rocsparseL19gebsrmvn_2xn_kernelILj128ELj6ELj8EdEEvi20rocsparse_direction_NS_24const_host_device_scalarIT2_EEPKiS6_PKS3_S8_S4_PS3_21rocsparse_index_base_b.has_recursion, 0
	.set _ZN9rocsparseL19gebsrmvn_2xn_kernelILj128ELj6ELj8EdEEvi20rocsparse_direction_NS_24const_host_device_scalarIT2_EEPKiS6_PKS3_S8_S4_PS3_21rocsparse_index_base_b.has_indirect_call, 0
	.section	.AMDGPU.csdata,"",@progbits
; Kernel info:
; codeLenInByte = 1724
; TotalNumSgprs: 20
; NumVgprs: 42
; ScratchSize: 0
; MemoryBound: 0
; FloatMode: 240
; IeeeMode: 1
; LDSByteSize: 0 bytes/workgroup (compile time only)
; SGPRBlocks: 2
; VGPRBlocks: 10
; NumSGPRsForWavesPerEU: 20
; NumVGPRsForWavesPerEU: 42
; Occupancy: 5
; WaveLimiterHint : 1
; COMPUTE_PGM_RSRC2:SCRATCH_EN: 0
; COMPUTE_PGM_RSRC2:USER_SGPR: 6
; COMPUTE_PGM_RSRC2:TRAP_HANDLER: 0
; COMPUTE_PGM_RSRC2:TGID_X_EN: 1
; COMPUTE_PGM_RSRC2:TGID_Y_EN: 0
; COMPUTE_PGM_RSRC2:TGID_Z_EN: 0
; COMPUTE_PGM_RSRC2:TIDIG_COMP_CNT: 0
	.section	.text._ZN9rocsparseL19gebsrmvn_2xn_kernelILj128ELj6ELj16EdEEvi20rocsparse_direction_NS_24const_host_device_scalarIT2_EEPKiS6_PKS3_S8_S4_PS3_21rocsparse_index_base_b,"axG",@progbits,_ZN9rocsparseL19gebsrmvn_2xn_kernelILj128ELj6ELj16EdEEvi20rocsparse_direction_NS_24const_host_device_scalarIT2_EEPKiS6_PKS3_S8_S4_PS3_21rocsparse_index_base_b,comdat
	.globl	_ZN9rocsparseL19gebsrmvn_2xn_kernelILj128ELj6ELj16EdEEvi20rocsparse_direction_NS_24const_host_device_scalarIT2_EEPKiS6_PKS3_S8_S4_PS3_21rocsparse_index_base_b ; -- Begin function _ZN9rocsparseL19gebsrmvn_2xn_kernelILj128ELj6ELj16EdEEvi20rocsparse_direction_NS_24const_host_device_scalarIT2_EEPKiS6_PKS3_S8_S4_PS3_21rocsparse_index_base_b
	.p2align	8
	.type	_ZN9rocsparseL19gebsrmvn_2xn_kernelILj128ELj6ELj16EdEEvi20rocsparse_direction_NS_24const_host_device_scalarIT2_EEPKiS6_PKS3_S8_S4_PS3_21rocsparse_index_base_b,@function
_ZN9rocsparseL19gebsrmvn_2xn_kernelILj128ELj6ELj16EdEEvi20rocsparse_direction_NS_24const_host_device_scalarIT2_EEPKiS6_PKS3_S8_S4_PS3_21rocsparse_index_base_b: ; @_ZN9rocsparseL19gebsrmvn_2xn_kernelILj128ELj6ELj16EdEEvi20rocsparse_direction_NS_24const_host_device_scalarIT2_EEPKiS6_PKS3_S8_S4_PS3_21rocsparse_index_base_b
; %bb.0:
	s_load_dwordx2 s[2:3], s[4:5], 0x40
	s_load_dwordx2 s[10:11], s[4:5], 0x8
	;; [unrolled: 1-line block ×3, first 2 shown]
	s_waitcnt lgkmcnt(0)
	s_bitcmp1_b32 s3, 0
	s_cselect_b64 s[12:13], -1, 0
	v_mov_b32_e32 v1, s10
	s_xor_b64 s[8:9], s[12:13], -1
	s_and_b64 vcc, exec, s[12:13]
	v_mov_b32_e32 v2, s11
	s_cbranch_vccnz .LBB98_2
; %bb.1:
	v_mov_b32_e32 v1, s10
	v_mov_b32_e32 v2, s11
	flat_load_dwordx2 v[1:2], v[1:2]
.LBB98_2:
	v_mov_b32_e32 v4, s1
	s_andn2_b64 vcc, exec, s[8:9]
	v_mov_b32_e32 v3, s0
	s_cbranch_vccnz .LBB98_4
; %bb.3:
	v_mov_b32_e32 v4, s1
	v_mov_b32_e32 v3, s0
	flat_load_dwordx2 v[3:4], v[3:4]
.LBB98_4:
	s_waitcnt vmcnt(0) lgkmcnt(0)
	v_cmp_neq_f64_e32 vcc, 0, v[1:2]
	v_cmp_neq_f64_e64 s[0:1], 1.0, v[3:4]
	s_or_b64 s[0:1], vcc, s[0:1]
	s_and_saveexec_b64 s[8:9], s[0:1]
	s_cbranch_execz .LBB98_23
; %bb.5:
	s_load_dwordx2 s[0:1], s[4:5], 0x0
	v_lshrrev_b32_e32 v5, 4, v0
	v_lshl_or_b32 v5, s6, 3, v5
	s_waitcnt lgkmcnt(0)
	v_cmp_gt_i32_e32 vcc, s0, v5
	s_and_b64 exec, exec, vcc
	s_cbranch_execz .LBB98_23
; %bb.6:
	s_load_dwordx8 s[8:15], s[4:5], 0x10
	v_ashrrev_i32_e32 v6, 31, v5
	v_lshlrev_b64 v[6:7], 2, v[5:6]
	v_and_b32_e32 v0, 15, v0
	s_cmp_lg_u32 s1, 0
	s_waitcnt lgkmcnt(0)
	v_mov_b32_e32 v8, s9
	v_add_co_u32_e32 v6, vcc, s8, v6
	v_addc_co_u32_e32 v7, vcc, v8, v7, vcc
	global_load_dwordx2 v[6:7], v[6:7], off
	s_waitcnt vmcnt(0)
	v_subrev_u32_e32 v6, s2, v6
	v_subrev_u32_e32 v18, s2, v7
	v_add_u32_e32 v6, v6, v0
	v_cmp_lt_i32_e64 s[0:1], v6, v18
	s_cbranch_scc0 .LBB98_12
; %bb.7:
	v_mov_b32_e32 v10, 0
	v_mov_b32_e32 v8, 0
	;; [unrolled: 1-line block ×4, first 2 shown]
	s_and_saveexec_b64 s[6:7], s[0:1]
	s_cbranch_execz .LBB98_11
; %bb.8:
	v_mad_u64_u32 v[12:13], s[8:9], v6, 12, 10
	v_mov_b32_e32 v10, 0
	v_mov_b32_e32 v8, 0
	;; [unrolled: 1-line block ×3, first 2 shown]
	s_mov_b64 s[8:9], 0
	v_mov_b32_e32 v7, s11
	v_mov_b32_e32 v15, 0
	v_mov_b32_e32 v19, s13
	v_mov_b32_e32 v20, s15
	v_mov_b32_e32 v9, 0
	v_mov_b32_e32 v16, v6
.LBB98_9:                               ; =>This Inner Loop Header: Depth=1
	v_ashrrev_i32_e32 v17, 31, v16
	v_lshlrev_b64 v[21:22], 2, v[16:17]
	v_add_u32_e32 v14, -10, v12
	v_lshlrev_b64 v[23:24], 3, v[14:15]
	v_add_co_u32_e32 v29, vcc, s10, v21
	v_mov_b32_e32 v13, v15
	v_addc_co_u32_e32 v30, vcc, v7, v22, vcc
	v_lshlrev_b64 v[25:26], 3, v[12:13]
	v_add_co_u32_e32 v31, vcc, s12, v23
	v_addc_co_u32_e32 v32, vcc, v19, v24, vcc
	v_add_co_u32_e32 v35, vcc, s12, v25
	v_addc_co_u32_e32 v36, vcc, v19, v26, vcc
	global_load_dword v17, v[29:30], off
	global_load_dwordx4 v[21:24], v[31:32], off
	global_load_dwordx4 v[25:28], v[31:32], off offset:16
	v_add_u32_e32 v14, -6, v12
	v_lshlrev_b64 v[13:14], 3, v[14:15]
	v_mov_b32_e32 v34, v15
	v_add_co_u32_e32 v13, vcc, s12, v13
	v_addc_co_u32_e32 v14, vcc, v19, v14, vcc
	v_add_u32_e32 v16, 16, v16
	s_waitcnt vmcnt(2)
	v_subrev_u32_e32 v17, s2, v17
	v_mul_lo_u32 v33, v17, 6
	v_lshlrev_b64 v[29:30], 3, v[33:34]
	v_add_co_u32_e32 v29, vcc, s14, v29
	v_addc_co_u32_e32 v30, vcc, v20, v30, vcc
	global_load_dwordx4 v[29:32], v[29:30], off
	s_waitcnt vmcnt(0)
	v_fma_f64 v[21:22], v[21:22], v[29:30], v[10:11]
	v_fma_f64 v[23:24], v[23:24], v[29:30], v[8:9]
	global_load_dwordx4 v[8:11], v[13:14], off
	v_add_u32_e32 v14, 2, v33
	v_lshlrev_b64 v[29:30], 3, v[14:15]
	v_add_u32_e32 v14, -4, v12
	v_fma_f64 v[37:38], v[25:26], v[31:32], v[21:22]
	v_add_co_u32_e32 v21, vcc, s14, v29
	v_addc_co_u32_e32 v22, vcc, v20, v30, vcc
	v_fma_f64 v[31:32], v[27:28], v[31:32], v[23:24]
	global_load_dwordx4 v[21:24], v[21:22], off
	v_lshlrev_b64 v[25:26], 3, v[14:15]
	v_add_u32_e32 v14, -2, v12
	v_lshlrev_b64 v[27:28], 3, v[14:15]
	v_add_co_u32_e32 v25, vcc, s12, v25
	v_addc_co_u32_e32 v26, vcc, v19, v26, vcc
	v_add_u32_e32 v14, 4, v33
	v_add_co_u32_e32 v33, vcc, s12, v27
	v_addc_co_u32_e32 v34, vcc, v19, v28, vcc
	global_load_dwordx4 v[25:28], v[25:26], off
	v_lshlrev_b64 v[13:14], 3, v[14:15]
	v_add_u32_e32 v12, 0xc0, v12
	v_add_co_u32_e32 v13, vcc, s14, v13
	v_addc_co_u32_e32 v14, vcc, v20, v14, vcc
	v_cmp_ge_i32_e32 vcc, v16, v18
	s_or_b64 s[8:9], vcc, s[8:9]
	s_waitcnt vmcnt(1)
	v_fma_f64 v[37:38], v[8:9], v[21:22], v[37:38]
	v_fma_f64 v[21:22], v[10:11], v[21:22], v[31:32]
	global_load_dwordx4 v[8:11], v[33:34], off
	global_load_dwordx4 v[29:32], v[13:14], off
	s_waitcnt vmcnt(2)
	v_fma_f64 v[13:14], v[25:26], v[23:24], v[37:38]
	v_fma_f64 v[25:26], v[27:28], v[23:24], v[21:22]
	global_load_dwordx4 v[21:24], v[35:36], off
	s_waitcnt vmcnt(1)
	v_fma_f64 v[8:9], v[8:9], v[29:30], v[13:14]
	v_fma_f64 v[13:14], v[10:11], v[29:30], v[25:26]
	s_waitcnt vmcnt(0)
	v_fma_f64 v[10:11], v[21:22], v[31:32], v[8:9]
	v_fma_f64 v[8:9], v[23:24], v[31:32], v[13:14]
	s_andn2_b64 exec, exec, s[8:9]
	s_cbranch_execnz .LBB98_9
; %bb.10:
	s_or_b64 exec, exec, s[8:9]
.LBB98_11:
	s_or_b64 exec, exec, s[6:7]
	s_cbranch_execz .LBB98_13
	s_branch .LBB98_18
.LBB98_12:
                                        ; implicit-def: $vgpr10_vgpr11
                                        ; implicit-def: $vgpr8_vgpr9
.LBB98_13:
	v_mov_b32_e32 v10, 0
	v_mov_b32_e32 v8, 0
	;; [unrolled: 1-line block ×4, first 2 shown]
	s_and_saveexec_b64 s[6:7], s[0:1]
	s_cbranch_execz .LBB98_17
; %bb.14:
	v_mad_u64_u32 v[12:13], s[0:1], v6, 12, 11
	v_mov_b32_e32 v10, 0
	v_mov_b32_e32 v8, 0
	;; [unrolled: 1-line block ×3, first 2 shown]
	s_mov_b64 s[0:1], 0
	v_mov_b32_e32 v15, s11
	v_mov_b32_e32 v14, 0
	;; [unrolled: 1-line block ×5, first 2 shown]
.LBB98_15:                              ; =>This Inner Loop Header: Depth=1
	v_ashrrev_i32_e32 v7, 31, v6
	v_lshlrev_b64 v[19:20], 2, v[6:7]
	v_add_u32_e32 v13, -11, v12
	v_lshlrev_b64 v[21:22], 3, v[13:14]
	v_add_co_u32_e32 v27, vcc, s10, v19
	v_addc_co_u32_e32 v28, vcc, v15, v20, vcc
	v_add_co_u32_e32 v29, vcc, s12, v21
	v_addc_co_u32_e32 v30, vcc, v16, v22, vcc
	global_load_dword v7, v[27:28], off
	global_load_dwordx4 v[19:22], v[29:30], off
	global_load_dwordx4 v[23:26], v[29:30], off offset:16
	v_mov_b32_e32 v32, v14
	v_mov_b32_e32 v13, v14
	v_add_u32_e32 v6, 16, v6
	s_waitcnt vmcnt(2)
	v_subrev_u32_e32 v7, s2, v7
	v_mul_lo_u32 v31, v7, 6
	v_lshlrev_b64 v[27:28], 3, v[31:32]
	v_add_co_u32_e32 v27, vcc, s14, v27
	v_addc_co_u32_e32 v28, vcc, v17, v28, vcc
	global_load_dwordx4 v[27:30], v[27:28], off
	s_waitcnt vmcnt(0)
	v_fma_f64 v[10:11], v[19:20], v[27:28], v[10:11]
	v_fma_f64 v[19:20], v[21:22], v[29:30], v[10:11]
	v_add_u32_e32 v10, -5, v12
	v_mov_b32_e32 v11, v14
	v_lshlrev_b64 v[10:11], 3, v[10:11]
	v_lshlrev_b64 v[21:22], 3, v[12:13]
	v_add_co_u32_e32 v10, vcc, s12, v10
	v_addc_co_u32_e32 v11, vcc, v16, v11, vcc
	v_add_co_u32_e32 v32, vcc, s12, v21
	v_add_u32_e32 v13, -4, v12
	v_addc_co_u32_e32 v33, vcc, v16, v22, vcc
	v_lshlrev_b64 v[21:22], 3, v[13:14]
	v_add_u32_e32 v13, 2, v31
	v_add_co_u32_e32 v21, vcc, s12, v21
	v_addc_co_u32_e32 v22, vcc, v16, v22, vcc
	global_load_dwordx2 v[34:35], v[10:11], off
	global_load_dwordx2 v[36:37], v[21:22], off
	s_waitcnt vmcnt(1)
	v_fma_f64 v[7:8], v[34:35], v[27:28], v[8:9]
	s_waitcnt vmcnt(0)
	v_fma_f64 v[21:22], v[36:37], v[29:30], v[7:8]
	v_lshlrev_b64 v[7:8], 3, v[13:14]
	v_add_u32_e32 v13, -3, v12
	v_add_co_u32_e32 v7, vcc, s14, v7
	v_addc_co_u32_e32 v8, vcc, v17, v8, vcc
	global_load_dwordx4 v[7:10], v[7:8], off
	v_lshlrev_b64 v[27:28], 3, v[13:14]
	v_add_u32_e32 v13, -2, v12
	s_waitcnt vmcnt(0)
	v_fma_f64 v[19:20], v[23:24], v[7:8], v[19:20]
	v_fma_f64 v[23:24], v[25:26], v[9:10], v[19:20]
	v_lshlrev_b64 v[19:20], 3, v[13:14]
	v_add_co_u32_e32 v25, vcc, s12, v27
	v_add_u32_e32 v13, -7, v12
	v_addc_co_u32_e32 v26, vcc, v16, v28, vcc
	v_lshlrev_b64 v[27:28], 3, v[13:14]
	v_add_co_u32_e32 v19, vcc, s12, v19
	v_addc_co_u32_e32 v20, vcc, v16, v20, vcc
	v_add_co_u32_e32 v27, vcc, s12, v27
	v_addc_co_u32_e32 v28, vcc, v16, v28, vcc
	global_load_dwordx2 v[36:37], v[25:26], off
	global_load_dwordx2 v[38:39], v[19:20], off
	;; [unrolled: 1-line block ×3, first 2 shown]
	v_add_u32_e32 v13, 4, v31
	v_lshlrev_b64 v[29:30], 3, v[13:14]
	v_add_u32_e32 v13, -1, v12
	v_add_co_u32_e32 v29, vcc, s14, v29
	v_lshlrev_b64 v[34:35], 3, v[13:14]
	v_addc_co_u32_e32 v30, vcc, v17, v30, vcc
	v_add_co_u32_e32 v34, vcc, s12, v34
	v_addc_co_u32_e32 v35, vcc, v16, v35, vcc
	v_add_u32_e32 v13, -6, v12
	v_lshlrev_b64 v[25:26], 3, v[13:14]
	v_add_u32_e32 v12, 0xc0, v12
	v_add_co_u32_e32 v25, vcc, s12, v25
	v_addc_co_u32_e32 v26, vcc, v16, v26, vcc
	v_cmp_ge_i32_e32 vcc, v6, v18
	s_or_b64 s[0:1], vcc, s[0:1]
	s_waitcnt vmcnt(2)
	v_fma_f64 v[7:8], v[36:37], v[7:8], v[21:22]
	s_waitcnt vmcnt(1)
	v_fma_f64 v[7:8], v[38:39], v[9:10], v[7:8]
	global_load_dwordx4 v[19:22], v[29:30], off
	global_load_dwordx2 v[9:10], v[34:35], off
	global_load_dwordx2 v[27:28], v[25:26], off
	s_nop 0
	global_load_dwordx2 v[29:30], v[32:33], off
	s_waitcnt vmcnt(3)
	v_fma_f64 v[23:24], v[40:41], v[19:20], v[23:24]
	s_waitcnt vmcnt(2)
	v_fma_f64 v[7:8], v[9:10], v[19:20], v[7:8]
	;; [unrolled: 2-line block ×4, first 2 shown]
	s_andn2_b64 exec, exec, s[0:1]
	s_cbranch_execnz .LBB98_15
; %bb.16:
	s_or_b64 exec, exec, s[0:1]
.LBB98_17:
	s_or_b64 exec, exec, s[6:7]
.LBB98_18:
	v_mov_b32_dpp v6, v10 row_shr:1 row_mask:0xf bank_mask:0xf
	v_mov_b32_dpp v7, v11 row_shr:1 row_mask:0xf bank_mask:0xf
	v_add_f64 v[6:7], v[10:11], v[6:7]
	v_mov_b32_dpp v10, v8 row_shr:1 row_mask:0xf bank_mask:0xf
	v_mov_b32_dpp v11, v9 row_shr:1 row_mask:0xf bank_mask:0xf
	v_add_f64 v[8:9], v[8:9], v[10:11]
	v_cmp_eq_u32_e32 vcc, 15, v0
	v_mov_b32_dpp v10, v6 row_shr:2 row_mask:0xf bank_mask:0xf
	v_mov_b32_dpp v11, v7 row_shr:2 row_mask:0xf bank_mask:0xf
	v_add_f64 v[6:7], v[6:7], v[10:11]
	v_mov_b32_dpp v12, v8 row_shr:2 row_mask:0xf bank_mask:0xf
	v_mov_b32_dpp v13, v9 row_shr:2 row_mask:0xf bank_mask:0xf
	v_add_f64 v[8:9], v[8:9], v[12:13]
	;; [unrolled: 3-line block ×4, first 2 shown]
	v_mov_b32_dpp v8, v6 row_shr:8 row_mask:0xf bank_mask:0xc
	v_mov_b32_dpp v9, v7 row_shr:8 row_mask:0xf bank_mask:0xc
	v_mov_b32_dpp v12, v10 row_shr:8 row_mask:0xf bank_mask:0xc
	v_mov_b32_dpp v13, v11 row_shr:8 row_mask:0xf bank_mask:0xc
	s_and_b64 exec, exec, vcc
	s_cbranch_execz .LBB98_23
; %bb.19:
	v_add_f64 v[8:9], v[6:7], v[8:9]
	v_add_f64 v[6:7], v[10:11], v[12:13]
	v_cmp_eq_f64_e32 vcc, 0, v[3:4]
	s_load_dwordx2 s[0:1], s[4:5], 0x38
	s_and_saveexec_b64 s[2:3], vcc
	s_xor_b64 s[2:3], exec, s[2:3]
	s_cbranch_execz .LBB98_21
; %bb.20:
	v_mul_f64 v[3:4], v[1:2], v[8:9]
	v_lshlrev_b32_e32 v0, 1, v5
	v_mul_f64 v[5:6], v[1:2], v[6:7]
	v_ashrrev_i32_e32 v1, 31, v0
	v_lshlrev_b64 v[0:1], 3, v[0:1]
	s_waitcnt lgkmcnt(0)
	v_mov_b32_e32 v2, s1
	v_add_co_u32_e32 v0, vcc, s0, v0
	v_addc_co_u32_e32 v1, vcc, v2, v1, vcc
	global_store_dwordx4 v[0:1], v[3:6], off
                                        ; implicit-def: $vgpr5
                                        ; implicit-def: $vgpr1_vgpr2
                                        ; implicit-def: $vgpr8_vgpr9
                                        ; implicit-def: $vgpr3_vgpr4
                                        ; implicit-def: $vgpr6_vgpr7
.LBB98_21:
	s_andn2_saveexec_b64 s[2:3], s[2:3]
	s_cbranch_execz .LBB98_23
; %bb.22:
	v_lshlrev_b32_e32 v10, 1, v5
	v_ashrrev_i32_e32 v11, 31, v10
	v_lshlrev_b64 v[10:11], 3, v[10:11]
	s_waitcnt lgkmcnt(0)
	v_mov_b32_e32 v0, s1
	v_add_co_u32_e32 v14, vcc, s0, v10
	v_addc_co_u32_e32 v15, vcc, v0, v11, vcc
	global_load_dwordx4 v[10:13], v[14:15], off
	v_mul_f64 v[8:9], v[1:2], v[8:9]
	v_mul_f64 v[5:6], v[1:2], v[6:7]
	s_waitcnt vmcnt(0)
	v_fma_f64 v[0:1], v[3:4], v[10:11], v[8:9]
	v_fma_f64 v[2:3], v[3:4], v[12:13], v[5:6]
	global_store_dwordx4 v[14:15], v[0:3], off
.LBB98_23:
	s_endpgm
	.section	.rodata,"a",@progbits
	.p2align	6, 0x0
	.amdhsa_kernel _ZN9rocsparseL19gebsrmvn_2xn_kernelILj128ELj6ELj16EdEEvi20rocsparse_direction_NS_24const_host_device_scalarIT2_EEPKiS6_PKS3_S8_S4_PS3_21rocsparse_index_base_b
		.amdhsa_group_segment_fixed_size 0
		.amdhsa_private_segment_fixed_size 0
		.amdhsa_kernarg_size 72
		.amdhsa_user_sgpr_count 6
		.amdhsa_user_sgpr_private_segment_buffer 1
		.amdhsa_user_sgpr_dispatch_ptr 0
		.amdhsa_user_sgpr_queue_ptr 0
		.amdhsa_user_sgpr_kernarg_segment_ptr 1
		.amdhsa_user_sgpr_dispatch_id 0
		.amdhsa_user_sgpr_flat_scratch_init 0
		.amdhsa_user_sgpr_private_segment_size 0
		.amdhsa_uses_dynamic_stack 0
		.amdhsa_system_sgpr_private_segment_wavefront_offset 0
		.amdhsa_system_sgpr_workgroup_id_x 1
		.amdhsa_system_sgpr_workgroup_id_y 0
		.amdhsa_system_sgpr_workgroup_id_z 0
		.amdhsa_system_sgpr_workgroup_info 0
		.amdhsa_system_vgpr_workitem_id 0
		.amdhsa_next_free_vgpr 42
		.amdhsa_next_free_sgpr 16
		.amdhsa_reserve_vcc 1
		.amdhsa_reserve_flat_scratch 0
		.amdhsa_float_round_mode_32 0
		.amdhsa_float_round_mode_16_64 0
		.amdhsa_float_denorm_mode_32 3
		.amdhsa_float_denorm_mode_16_64 3
		.amdhsa_dx10_clamp 1
		.amdhsa_ieee_mode 1
		.amdhsa_fp16_overflow 0
		.amdhsa_exception_fp_ieee_invalid_op 0
		.amdhsa_exception_fp_denorm_src 0
		.amdhsa_exception_fp_ieee_div_zero 0
		.amdhsa_exception_fp_ieee_overflow 0
		.amdhsa_exception_fp_ieee_underflow 0
		.amdhsa_exception_fp_ieee_inexact 0
		.amdhsa_exception_int_div_zero 0
	.end_amdhsa_kernel
	.section	.text._ZN9rocsparseL19gebsrmvn_2xn_kernelILj128ELj6ELj16EdEEvi20rocsparse_direction_NS_24const_host_device_scalarIT2_EEPKiS6_PKS3_S8_S4_PS3_21rocsparse_index_base_b,"axG",@progbits,_ZN9rocsparseL19gebsrmvn_2xn_kernelILj128ELj6ELj16EdEEvi20rocsparse_direction_NS_24const_host_device_scalarIT2_EEPKiS6_PKS3_S8_S4_PS3_21rocsparse_index_base_b,comdat
.Lfunc_end98:
	.size	_ZN9rocsparseL19gebsrmvn_2xn_kernelILj128ELj6ELj16EdEEvi20rocsparse_direction_NS_24const_host_device_scalarIT2_EEPKiS6_PKS3_S8_S4_PS3_21rocsparse_index_base_b, .Lfunc_end98-_ZN9rocsparseL19gebsrmvn_2xn_kernelILj128ELj6ELj16EdEEvi20rocsparse_direction_NS_24const_host_device_scalarIT2_EEPKiS6_PKS3_S8_S4_PS3_21rocsparse_index_base_b
                                        ; -- End function
	.set _ZN9rocsparseL19gebsrmvn_2xn_kernelILj128ELj6ELj16EdEEvi20rocsparse_direction_NS_24const_host_device_scalarIT2_EEPKiS6_PKS3_S8_S4_PS3_21rocsparse_index_base_b.num_vgpr, 42
	.set _ZN9rocsparseL19gebsrmvn_2xn_kernelILj128ELj6ELj16EdEEvi20rocsparse_direction_NS_24const_host_device_scalarIT2_EEPKiS6_PKS3_S8_S4_PS3_21rocsparse_index_base_b.num_agpr, 0
	.set _ZN9rocsparseL19gebsrmvn_2xn_kernelILj128ELj6ELj16EdEEvi20rocsparse_direction_NS_24const_host_device_scalarIT2_EEPKiS6_PKS3_S8_S4_PS3_21rocsparse_index_base_b.numbered_sgpr, 16
	.set _ZN9rocsparseL19gebsrmvn_2xn_kernelILj128ELj6ELj16EdEEvi20rocsparse_direction_NS_24const_host_device_scalarIT2_EEPKiS6_PKS3_S8_S4_PS3_21rocsparse_index_base_b.num_named_barrier, 0
	.set _ZN9rocsparseL19gebsrmvn_2xn_kernelILj128ELj6ELj16EdEEvi20rocsparse_direction_NS_24const_host_device_scalarIT2_EEPKiS6_PKS3_S8_S4_PS3_21rocsparse_index_base_b.private_seg_size, 0
	.set _ZN9rocsparseL19gebsrmvn_2xn_kernelILj128ELj6ELj16EdEEvi20rocsparse_direction_NS_24const_host_device_scalarIT2_EEPKiS6_PKS3_S8_S4_PS3_21rocsparse_index_base_b.uses_vcc, 1
	.set _ZN9rocsparseL19gebsrmvn_2xn_kernelILj128ELj6ELj16EdEEvi20rocsparse_direction_NS_24const_host_device_scalarIT2_EEPKiS6_PKS3_S8_S4_PS3_21rocsparse_index_base_b.uses_flat_scratch, 0
	.set _ZN9rocsparseL19gebsrmvn_2xn_kernelILj128ELj6ELj16EdEEvi20rocsparse_direction_NS_24const_host_device_scalarIT2_EEPKiS6_PKS3_S8_S4_PS3_21rocsparse_index_base_b.has_dyn_sized_stack, 0
	.set _ZN9rocsparseL19gebsrmvn_2xn_kernelILj128ELj6ELj16EdEEvi20rocsparse_direction_NS_24const_host_device_scalarIT2_EEPKiS6_PKS3_S8_S4_PS3_21rocsparse_index_base_b.has_recursion, 0
	.set _ZN9rocsparseL19gebsrmvn_2xn_kernelILj128ELj6ELj16EdEEvi20rocsparse_direction_NS_24const_host_device_scalarIT2_EEPKiS6_PKS3_S8_S4_PS3_21rocsparse_index_base_b.has_indirect_call, 0
	.section	.AMDGPU.csdata,"",@progbits
; Kernel info:
; codeLenInByte = 1772
; TotalNumSgprs: 20
; NumVgprs: 42
; ScratchSize: 0
; MemoryBound: 0
; FloatMode: 240
; IeeeMode: 1
; LDSByteSize: 0 bytes/workgroup (compile time only)
; SGPRBlocks: 2
; VGPRBlocks: 10
; NumSGPRsForWavesPerEU: 20
; NumVGPRsForWavesPerEU: 42
; Occupancy: 5
; WaveLimiterHint : 1
; COMPUTE_PGM_RSRC2:SCRATCH_EN: 0
; COMPUTE_PGM_RSRC2:USER_SGPR: 6
; COMPUTE_PGM_RSRC2:TRAP_HANDLER: 0
; COMPUTE_PGM_RSRC2:TGID_X_EN: 1
; COMPUTE_PGM_RSRC2:TGID_Y_EN: 0
; COMPUTE_PGM_RSRC2:TGID_Z_EN: 0
; COMPUTE_PGM_RSRC2:TIDIG_COMP_CNT: 0
	.section	.text._ZN9rocsparseL19gebsrmvn_2xn_kernelILj128ELj6ELj32EdEEvi20rocsparse_direction_NS_24const_host_device_scalarIT2_EEPKiS6_PKS3_S8_S4_PS3_21rocsparse_index_base_b,"axG",@progbits,_ZN9rocsparseL19gebsrmvn_2xn_kernelILj128ELj6ELj32EdEEvi20rocsparse_direction_NS_24const_host_device_scalarIT2_EEPKiS6_PKS3_S8_S4_PS3_21rocsparse_index_base_b,comdat
	.globl	_ZN9rocsparseL19gebsrmvn_2xn_kernelILj128ELj6ELj32EdEEvi20rocsparse_direction_NS_24const_host_device_scalarIT2_EEPKiS6_PKS3_S8_S4_PS3_21rocsparse_index_base_b ; -- Begin function _ZN9rocsparseL19gebsrmvn_2xn_kernelILj128ELj6ELj32EdEEvi20rocsparse_direction_NS_24const_host_device_scalarIT2_EEPKiS6_PKS3_S8_S4_PS3_21rocsparse_index_base_b
	.p2align	8
	.type	_ZN9rocsparseL19gebsrmvn_2xn_kernelILj128ELj6ELj32EdEEvi20rocsparse_direction_NS_24const_host_device_scalarIT2_EEPKiS6_PKS3_S8_S4_PS3_21rocsparse_index_base_b,@function
_ZN9rocsparseL19gebsrmvn_2xn_kernelILj128ELj6ELj32EdEEvi20rocsparse_direction_NS_24const_host_device_scalarIT2_EEPKiS6_PKS3_S8_S4_PS3_21rocsparse_index_base_b: ; @_ZN9rocsparseL19gebsrmvn_2xn_kernelILj128ELj6ELj32EdEEvi20rocsparse_direction_NS_24const_host_device_scalarIT2_EEPKiS6_PKS3_S8_S4_PS3_21rocsparse_index_base_b
; %bb.0:
	s_load_dwordx2 s[2:3], s[4:5], 0x40
	s_load_dwordx2 s[10:11], s[4:5], 0x8
	;; [unrolled: 1-line block ×3, first 2 shown]
	s_waitcnt lgkmcnt(0)
	s_bitcmp1_b32 s3, 0
	s_cselect_b64 s[12:13], -1, 0
	v_mov_b32_e32 v1, s10
	s_xor_b64 s[8:9], s[12:13], -1
	s_and_b64 vcc, exec, s[12:13]
	v_mov_b32_e32 v2, s11
	s_cbranch_vccnz .LBB99_2
; %bb.1:
	v_mov_b32_e32 v1, s10
	v_mov_b32_e32 v2, s11
	flat_load_dwordx2 v[1:2], v[1:2]
.LBB99_2:
	v_mov_b32_e32 v4, s1
	s_andn2_b64 vcc, exec, s[8:9]
	v_mov_b32_e32 v3, s0
	s_cbranch_vccnz .LBB99_4
; %bb.3:
	v_mov_b32_e32 v4, s1
	v_mov_b32_e32 v3, s0
	flat_load_dwordx2 v[3:4], v[3:4]
.LBB99_4:
	s_waitcnt vmcnt(0) lgkmcnt(0)
	v_cmp_neq_f64_e32 vcc, 0, v[1:2]
	v_cmp_neq_f64_e64 s[0:1], 1.0, v[3:4]
	s_or_b64 s[0:1], vcc, s[0:1]
	s_and_saveexec_b64 s[8:9], s[0:1]
	s_cbranch_execz .LBB99_23
; %bb.5:
	s_load_dwordx2 s[0:1], s[4:5], 0x0
	v_lshrrev_b32_e32 v5, 5, v0
	v_lshl_or_b32 v5, s6, 2, v5
	s_waitcnt lgkmcnt(0)
	v_cmp_gt_i32_e32 vcc, s0, v5
	s_and_b64 exec, exec, vcc
	s_cbranch_execz .LBB99_23
; %bb.6:
	s_load_dwordx8 s[8:15], s[4:5], 0x10
	v_ashrrev_i32_e32 v6, 31, v5
	v_lshlrev_b64 v[6:7], 2, v[5:6]
	v_and_b32_e32 v0, 31, v0
	s_cmp_lg_u32 s1, 0
	s_waitcnt lgkmcnt(0)
	v_mov_b32_e32 v8, s9
	v_add_co_u32_e32 v6, vcc, s8, v6
	v_addc_co_u32_e32 v7, vcc, v8, v7, vcc
	global_load_dwordx2 v[6:7], v[6:7], off
	s_waitcnt vmcnt(0)
	v_subrev_u32_e32 v6, s2, v6
	v_subrev_u32_e32 v18, s2, v7
	v_add_u32_e32 v6, v6, v0
	v_cmp_lt_i32_e64 s[0:1], v6, v18
	s_cbranch_scc0 .LBB99_12
; %bb.7:
	v_mov_b32_e32 v10, 0
	v_mov_b32_e32 v8, 0
	;; [unrolled: 1-line block ×4, first 2 shown]
	s_and_saveexec_b64 s[6:7], s[0:1]
	s_cbranch_execz .LBB99_11
; %bb.8:
	v_mad_u64_u32 v[12:13], s[8:9], v6, 12, 10
	v_mov_b32_e32 v10, 0
	v_mov_b32_e32 v8, 0
	;; [unrolled: 1-line block ×3, first 2 shown]
	s_mov_b64 s[8:9], 0
	v_mov_b32_e32 v7, s11
	v_mov_b32_e32 v15, 0
	;; [unrolled: 1-line block ×6, first 2 shown]
.LBB99_9:                               ; =>This Inner Loop Header: Depth=1
	v_ashrrev_i32_e32 v17, 31, v16
	v_lshlrev_b64 v[21:22], 2, v[16:17]
	v_add_u32_e32 v14, -10, v12
	v_lshlrev_b64 v[23:24], 3, v[14:15]
	v_add_co_u32_e32 v29, vcc, s10, v21
	v_mov_b32_e32 v13, v15
	v_addc_co_u32_e32 v30, vcc, v7, v22, vcc
	v_lshlrev_b64 v[25:26], 3, v[12:13]
	v_add_co_u32_e32 v31, vcc, s12, v23
	v_addc_co_u32_e32 v32, vcc, v19, v24, vcc
	v_add_co_u32_e32 v35, vcc, s12, v25
	v_addc_co_u32_e32 v36, vcc, v19, v26, vcc
	global_load_dword v17, v[29:30], off
	global_load_dwordx4 v[21:24], v[31:32], off
	global_load_dwordx4 v[25:28], v[31:32], off offset:16
	v_add_u32_e32 v14, -6, v12
	v_lshlrev_b64 v[13:14], 3, v[14:15]
	v_mov_b32_e32 v34, v15
	v_add_co_u32_e32 v13, vcc, s12, v13
	v_addc_co_u32_e32 v14, vcc, v19, v14, vcc
	v_add_u32_e32 v16, 32, v16
	s_waitcnt vmcnt(2)
	v_subrev_u32_e32 v17, s2, v17
	v_mul_lo_u32 v33, v17, 6
	v_lshlrev_b64 v[29:30], 3, v[33:34]
	v_add_co_u32_e32 v29, vcc, s14, v29
	v_addc_co_u32_e32 v30, vcc, v20, v30, vcc
	global_load_dwordx4 v[29:32], v[29:30], off
	s_waitcnt vmcnt(0)
	v_fma_f64 v[21:22], v[21:22], v[29:30], v[10:11]
	v_fma_f64 v[23:24], v[23:24], v[29:30], v[8:9]
	global_load_dwordx4 v[8:11], v[13:14], off
	v_add_u32_e32 v14, 2, v33
	v_lshlrev_b64 v[29:30], 3, v[14:15]
	v_add_u32_e32 v14, -4, v12
	v_fma_f64 v[37:38], v[25:26], v[31:32], v[21:22]
	v_add_co_u32_e32 v21, vcc, s14, v29
	v_addc_co_u32_e32 v22, vcc, v20, v30, vcc
	v_fma_f64 v[31:32], v[27:28], v[31:32], v[23:24]
	global_load_dwordx4 v[21:24], v[21:22], off
	v_lshlrev_b64 v[25:26], 3, v[14:15]
	v_add_u32_e32 v14, -2, v12
	v_lshlrev_b64 v[27:28], 3, v[14:15]
	v_add_co_u32_e32 v25, vcc, s12, v25
	v_addc_co_u32_e32 v26, vcc, v19, v26, vcc
	v_add_u32_e32 v14, 4, v33
	v_add_co_u32_e32 v33, vcc, s12, v27
	v_addc_co_u32_e32 v34, vcc, v19, v28, vcc
	global_load_dwordx4 v[25:28], v[25:26], off
	v_lshlrev_b64 v[13:14], 3, v[14:15]
	v_add_u32_e32 v12, 0x180, v12
	v_add_co_u32_e32 v13, vcc, s14, v13
	v_addc_co_u32_e32 v14, vcc, v20, v14, vcc
	v_cmp_ge_i32_e32 vcc, v16, v18
	s_or_b64 s[8:9], vcc, s[8:9]
	s_waitcnt vmcnt(1)
	v_fma_f64 v[37:38], v[8:9], v[21:22], v[37:38]
	v_fma_f64 v[21:22], v[10:11], v[21:22], v[31:32]
	global_load_dwordx4 v[8:11], v[33:34], off
	global_load_dwordx4 v[29:32], v[13:14], off
	s_waitcnt vmcnt(2)
	v_fma_f64 v[13:14], v[25:26], v[23:24], v[37:38]
	v_fma_f64 v[25:26], v[27:28], v[23:24], v[21:22]
	global_load_dwordx4 v[21:24], v[35:36], off
	s_waitcnt vmcnt(1)
	v_fma_f64 v[8:9], v[8:9], v[29:30], v[13:14]
	v_fma_f64 v[13:14], v[10:11], v[29:30], v[25:26]
	s_waitcnt vmcnt(0)
	v_fma_f64 v[10:11], v[21:22], v[31:32], v[8:9]
	v_fma_f64 v[8:9], v[23:24], v[31:32], v[13:14]
	s_andn2_b64 exec, exec, s[8:9]
	s_cbranch_execnz .LBB99_9
; %bb.10:
	s_or_b64 exec, exec, s[8:9]
.LBB99_11:
	s_or_b64 exec, exec, s[6:7]
	s_cbranch_execz .LBB99_13
	s_branch .LBB99_18
.LBB99_12:
                                        ; implicit-def: $vgpr10_vgpr11
                                        ; implicit-def: $vgpr8_vgpr9
.LBB99_13:
	v_mov_b32_e32 v10, 0
	v_mov_b32_e32 v8, 0
	;; [unrolled: 1-line block ×4, first 2 shown]
	s_and_saveexec_b64 s[6:7], s[0:1]
	s_cbranch_execz .LBB99_17
; %bb.14:
	v_mad_u64_u32 v[12:13], s[0:1], v6, 12, 11
	v_mov_b32_e32 v10, 0
	v_mov_b32_e32 v8, 0
	;; [unrolled: 1-line block ×3, first 2 shown]
	s_mov_b64 s[0:1], 0
	v_mov_b32_e32 v15, s11
	v_mov_b32_e32 v14, 0
	;; [unrolled: 1-line block ×5, first 2 shown]
.LBB99_15:                              ; =>This Inner Loop Header: Depth=1
	v_ashrrev_i32_e32 v7, 31, v6
	v_lshlrev_b64 v[19:20], 2, v[6:7]
	v_add_u32_e32 v13, -11, v12
	v_lshlrev_b64 v[21:22], 3, v[13:14]
	v_add_co_u32_e32 v27, vcc, s10, v19
	v_addc_co_u32_e32 v28, vcc, v15, v20, vcc
	v_add_co_u32_e32 v29, vcc, s12, v21
	v_addc_co_u32_e32 v30, vcc, v16, v22, vcc
	global_load_dword v7, v[27:28], off
	global_load_dwordx4 v[19:22], v[29:30], off
	global_load_dwordx4 v[23:26], v[29:30], off offset:16
	v_mov_b32_e32 v32, v14
	v_mov_b32_e32 v13, v14
	v_add_u32_e32 v6, 32, v6
	s_waitcnt vmcnt(2)
	v_subrev_u32_e32 v7, s2, v7
	v_mul_lo_u32 v31, v7, 6
	v_lshlrev_b64 v[27:28], 3, v[31:32]
	v_add_co_u32_e32 v27, vcc, s14, v27
	v_addc_co_u32_e32 v28, vcc, v17, v28, vcc
	global_load_dwordx4 v[27:30], v[27:28], off
	s_waitcnt vmcnt(0)
	v_fma_f64 v[10:11], v[19:20], v[27:28], v[10:11]
	v_fma_f64 v[19:20], v[21:22], v[29:30], v[10:11]
	v_add_u32_e32 v10, -5, v12
	v_mov_b32_e32 v11, v14
	v_lshlrev_b64 v[10:11], 3, v[10:11]
	v_lshlrev_b64 v[21:22], 3, v[12:13]
	v_add_co_u32_e32 v10, vcc, s12, v10
	v_addc_co_u32_e32 v11, vcc, v16, v11, vcc
	v_add_co_u32_e32 v32, vcc, s12, v21
	v_add_u32_e32 v13, -4, v12
	v_addc_co_u32_e32 v33, vcc, v16, v22, vcc
	v_lshlrev_b64 v[21:22], 3, v[13:14]
	v_add_u32_e32 v13, 2, v31
	v_add_co_u32_e32 v21, vcc, s12, v21
	v_addc_co_u32_e32 v22, vcc, v16, v22, vcc
	global_load_dwordx2 v[34:35], v[10:11], off
	global_load_dwordx2 v[36:37], v[21:22], off
	s_waitcnt vmcnt(1)
	v_fma_f64 v[7:8], v[34:35], v[27:28], v[8:9]
	s_waitcnt vmcnt(0)
	v_fma_f64 v[21:22], v[36:37], v[29:30], v[7:8]
	v_lshlrev_b64 v[7:8], 3, v[13:14]
	v_add_u32_e32 v13, -3, v12
	v_add_co_u32_e32 v7, vcc, s14, v7
	v_addc_co_u32_e32 v8, vcc, v17, v8, vcc
	global_load_dwordx4 v[7:10], v[7:8], off
	v_lshlrev_b64 v[27:28], 3, v[13:14]
	v_add_u32_e32 v13, -2, v12
	s_waitcnt vmcnt(0)
	v_fma_f64 v[19:20], v[23:24], v[7:8], v[19:20]
	v_fma_f64 v[23:24], v[25:26], v[9:10], v[19:20]
	v_lshlrev_b64 v[19:20], 3, v[13:14]
	v_add_co_u32_e32 v25, vcc, s12, v27
	v_add_u32_e32 v13, -7, v12
	v_addc_co_u32_e32 v26, vcc, v16, v28, vcc
	v_lshlrev_b64 v[27:28], 3, v[13:14]
	v_add_co_u32_e32 v19, vcc, s12, v19
	v_addc_co_u32_e32 v20, vcc, v16, v20, vcc
	v_add_co_u32_e32 v27, vcc, s12, v27
	v_addc_co_u32_e32 v28, vcc, v16, v28, vcc
	global_load_dwordx2 v[36:37], v[25:26], off
	global_load_dwordx2 v[38:39], v[19:20], off
	;; [unrolled: 1-line block ×3, first 2 shown]
	v_add_u32_e32 v13, 4, v31
	v_lshlrev_b64 v[29:30], 3, v[13:14]
	v_add_u32_e32 v13, -1, v12
	v_add_co_u32_e32 v29, vcc, s14, v29
	v_lshlrev_b64 v[34:35], 3, v[13:14]
	v_addc_co_u32_e32 v30, vcc, v17, v30, vcc
	v_add_co_u32_e32 v34, vcc, s12, v34
	v_addc_co_u32_e32 v35, vcc, v16, v35, vcc
	v_add_u32_e32 v13, -6, v12
	v_lshlrev_b64 v[25:26], 3, v[13:14]
	v_add_u32_e32 v12, 0x180, v12
	v_add_co_u32_e32 v25, vcc, s12, v25
	v_addc_co_u32_e32 v26, vcc, v16, v26, vcc
	v_cmp_ge_i32_e32 vcc, v6, v18
	s_or_b64 s[0:1], vcc, s[0:1]
	s_waitcnt vmcnt(2)
	v_fma_f64 v[7:8], v[36:37], v[7:8], v[21:22]
	s_waitcnt vmcnt(1)
	v_fma_f64 v[7:8], v[38:39], v[9:10], v[7:8]
	global_load_dwordx4 v[19:22], v[29:30], off
	global_load_dwordx2 v[9:10], v[34:35], off
	global_load_dwordx2 v[27:28], v[25:26], off
	s_nop 0
	global_load_dwordx2 v[29:30], v[32:33], off
	s_waitcnt vmcnt(3)
	v_fma_f64 v[23:24], v[40:41], v[19:20], v[23:24]
	s_waitcnt vmcnt(2)
	v_fma_f64 v[7:8], v[9:10], v[19:20], v[7:8]
	;; [unrolled: 2-line block ×4, first 2 shown]
	s_andn2_b64 exec, exec, s[0:1]
	s_cbranch_execnz .LBB99_15
; %bb.16:
	s_or_b64 exec, exec, s[0:1]
.LBB99_17:
	s_or_b64 exec, exec, s[6:7]
.LBB99_18:
	v_mov_b32_dpp v6, v10 row_shr:1 row_mask:0xf bank_mask:0xf
	v_mov_b32_dpp v7, v11 row_shr:1 row_mask:0xf bank_mask:0xf
	v_add_f64 v[6:7], v[10:11], v[6:7]
	v_mov_b32_dpp v10, v8 row_shr:1 row_mask:0xf bank_mask:0xf
	v_mov_b32_dpp v11, v9 row_shr:1 row_mask:0xf bank_mask:0xf
	v_add_f64 v[8:9], v[8:9], v[10:11]
	v_cmp_eq_u32_e32 vcc, 31, v0
	v_mov_b32_dpp v10, v6 row_shr:2 row_mask:0xf bank_mask:0xf
	v_mov_b32_dpp v11, v7 row_shr:2 row_mask:0xf bank_mask:0xf
	v_add_f64 v[6:7], v[6:7], v[10:11]
	v_mov_b32_dpp v12, v8 row_shr:2 row_mask:0xf bank_mask:0xf
	v_mov_b32_dpp v13, v9 row_shr:2 row_mask:0xf bank_mask:0xf
	v_add_f64 v[8:9], v[8:9], v[12:13]
	;; [unrolled: 3-line block ×6, first 2 shown]
	v_mov_b32_dpp v8, v6 row_bcast:15 row_mask:0xa bank_mask:0xf
	v_mov_b32_dpp v9, v7 row_bcast:15 row_mask:0xa bank_mask:0xf
	;; [unrolled: 1-line block ×4, first 2 shown]
	s_and_b64 exec, exec, vcc
	s_cbranch_execz .LBB99_23
; %bb.19:
	v_add_f64 v[8:9], v[6:7], v[8:9]
	v_add_f64 v[6:7], v[10:11], v[12:13]
	v_cmp_eq_f64_e32 vcc, 0, v[3:4]
	s_load_dwordx2 s[0:1], s[4:5], 0x38
	s_and_saveexec_b64 s[2:3], vcc
	s_xor_b64 s[2:3], exec, s[2:3]
	s_cbranch_execz .LBB99_21
; %bb.20:
	v_mul_f64 v[3:4], v[1:2], v[8:9]
	v_lshlrev_b32_e32 v0, 1, v5
	v_mul_f64 v[5:6], v[1:2], v[6:7]
	v_ashrrev_i32_e32 v1, 31, v0
	v_lshlrev_b64 v[0:1], 3, v[0:1]
	s_waitcnt lgkmcnt(0)
	v_mov_b32_e32 v2, s1
	v_add_co_u32_e32 v0, vcc, s0, v0
	v_addc_co_u32_e32 v1, vcc, v2, v1, vcc
	global_store_dwordx4 v[0:1], v[3:6], off
                                        ; implicit-def: $vgpr5
                                        ; implicit-def: $vgpr1_vgpr2
                                        ; implicit-def: $vgpr8_vgpr9
                                        ; implicit-def: $vgpr3_vgpr4
                                        ; implicit-def: $vgpr6_vgpr7
.LBB99_21:
	s_andn2_saveexec_b64 s[2:3], s[2:3]
	s_cbranch_execz .LBB99_23
; %bb.22:
	v_lshlrev_b32_e32 v10, 1, v5
	v_ashrrev_i32_e32 v11, 31, v10
	v_lshlrev_b64 v[10:11], 3, v[10:11]
	s_waitcnt lgkmcnt(0)
	v_mov_b32_e32 v0, s1
	v_add_co_u32_e32 v14, vcc, s0, v10
	v_addc_co_u32_e32 v15, vcc, v0, v11, vcc
	global_load_dwordx4 v[10:13], v[14:15], off
	v_mul_f64 v[8:9], v[1:2], v[8:9]
	v_mul_f64 v[5:6], v[1:2], v[6:7]
	s_waitcnt vmcnt(0)
	v_fma_f64 v[0:1], v[3:4], v[10:11], v[8:9]
	v_fma_f64 v[2:3], v[3:4], v[12:13], v[5:6]
	global_store_dwordx4 v[14:15], v[0:3], off
.LBB99_23:
	s_endpgm
	.section	.rodata,"a",@progbits
	.p2align	6, 0x0
	.amdhsa_kernel _ZN9rocsparseL19gebsrmvn_2xn_kernelILj128ELj6ELj32EdEEvi20rocsparse_direction_NS_24const_host_device_scalarIT2_EEPKiS6_PKS3_S8_S4_PS3_21rocsparse_index_base_b
		.amdhsa_group_segment_fixed_size 0
		.amdhsa_private_segment_fixed_size 0
		.amdhsa_kernarg_size 72
		.amdhsa_user_sgpr_count 6
		.amdhsa_user_sgpr_private_segment_buffer 1
		.amdhsa_user_sgpr_dispatch_ptr 0
		.amdhsa_user_sgpr_queue_ptr 0
		.amdhsa_user_sgpr_kernarg_segment_ptr 1
		.amdhsa_user_sgpr_dispatch_id 0
		.amdhsa_user_sgpr_flat_scratch_init 0
		.amdhsa_user_sgpr_private_segment_size 0
		.amdhsa_uses_dynamic_stack 0
		.amdhsa_system_sgpr_private_segment_wavefront_offset 0
		.amdhsa_system_sgpr_workgroup_id_x 1
		.amdhsa_system_sgpr_workgroup_id_y 0
		.amdhsa_system_sgpr_workgroup_id_z 0
		.amdhsa_system_sgpr_workgroup_info 0
		.amdhsa_system_vgpr_workitem_id 0
		.amdhsa_next_free_vgpr 42
		.amdhsa_next_free_sgpr 16
		.amdhsa_reserve_vcc 1
		.amdhsa_reserve_flat_scratch 0
		.amdhsa_float_round_mode_32 0
		.amdhsa_float_round_mode_16_64 0
		.amdhsa_float_denorm_mode_32 3
		.amdhsa_float_denorm_mode_16_64 3
		.amdhsa_dx10_clamp 1
		.amdhsa_ieee_mode 1
		.amdhsa_fp16_overflow 0
		.amdhsa_exception_fp_ieee_invalid_op 0
		.amdhsa_exception_fp_denorm_src 0
		.amdhsa_exception_fp_ieee_div_zero 0
		.amdhsa_exception_fp_ieee_overflow 0
		.amdhsa_exception_fp_ieee_underflow 0
		.amdhsa_exception_fp_ieee_inexact 0
		.amdhsa_exception_int_div_zero 0
	.end_amdhsa_kernel
	.section	.text._ZN9rocsparseL19gebsrmvn_2xn_kernelILj128ELj6ELj32EdEEvi20rocsparse_direction_NS_24const_host_device_scalarIT2_EEPKiS6_PKS3_S8_S4_PS3_21rocsparse_index_base_b,"axG",@progbits,_ZN9rocsparseL19gebsrmvn_2xn_kernelILj128ELj6ELj32EdEEvi20rocsparse_direction_NS_24const_host_device_scalarIT2_EEPKiS6_PKS3_S8_S4_PS3_21rocsparse_index_base_b,comdat
.Lfunc_end99:
	.size	_ZN9rocsparseL19gebsrmvn_2xn_kernelILj128ELj6ELj32EdEEvi20rocsparse_direction_NS_24const_host_device_scalarIT2_EEPKiS6_PKS3_S8_S4_PS3_21rocsparse_index_base_b, .Lfunc_end99-_ZN9rocsparseL19gebsrmvn_2xn_kernelILj128ELj6ELj32EdEEvi20rocsparse_direction_NS_24const_host_device_scalarIT2_EEPKiS6_PKS3_S8_S4_PS3_21rocsparse_index_base_b
                                        ; -- End function
	.set _ZN9rocsparseL19gebsrmvn_2xn_kernelILj128ELj6ELj32EdEEvi20rocsparse_direction_NS_24const_host_device_scalarIT2_EEPKiS6_PKS3_S8_S4_PS3_21rocsparse_index_base_b.num_vgpr, 42
	.set _ZN9rocsparseL19gebsrmvn_2xn_kernelILj128ELj6ELj32EdEEvi20rocsparse_direction_NS_24const_host_device_scalarIT2_EEPKiS6_PKS3_S8_S4_PS3_21rocsparse_index_base_b.num_agpr, 0
	.set _ZN9rocsparseL19gebsrmvn_2xn_kernelILj128ELj6ELj32EdEEvi20rocsparse_direction_NS_24const_host_device_scalarIT2_EEPKiS6_PKS3_S8_S4_PS3_21rocsparse_index_base_b.numbered_sgpr, 16
	.set _ZN9rocsparseL19gebsrmvn_2xn_kernelILj128ELj6ELj32EdEEvi20rocsparse_direction_NS_24const_host_device_scalarIT2_EEPKiS6_PKS3_S8_S4_PS3_21rocsparse_index_base_b.num_named_barrier, 0
	.set _ZN9rocsparseL19gebsrmvn_2xn_kernelILj128ELj6ELj32EdEEvi20rocsparse_direction_NS_24const_host_device_scalarIT2_EEPKiS6_PKS3_S8_S4_PS3_21rocsparse_index_base_b.private_seg_size, 0
	.set _ZN9rocsparseL19gebsrmvn_2xn_kernelILj128ELj6ELj32EdEEvi20rocsparse_direction_NS_24const_host_device_scalarIT2_EEPKiS6_PKS3_S8_S4_PS3_21rocsparse_index_base_b.uses_vcc, 1
	.set _ZN9rocsparseL19gebsrmvn_2xn_kernelILj128ELj6ELj32EdEEvi20rocsparse_direction_NS_24const_host_device_scalarIT2_EEPKiS6_PKS3_S8_S4_PS3_21rocsparse_index_base_b.uses_flat_scratch, 0
	.set _ZN9rocsparseL19gebsrmvn_2xn_kernelILj128ELj6ELj32EdEEvi20rocsparse_direction_NS_24const_host_device_scalarIT2_EEPKiS6_PKS3_S8_S4_PS3_21rocsparse_index_base_b.has_dyn_sized_stack, 0
	.set _ZN9rocsparseL19gebsrmvn_2xn_kernelILj128ELj6ELj32EdEEvi20rocsparse_direction_NS_24const_host_device_scalarIT2_EEPKiS6_PKS3_S8_S4_PS3_21rocsparse_index_base_b.has_recursion, 0
	.set _ZN9rocsparseL19gebsrmvn_2xn_kernelILj128ELj6ELj32EdEEvi20rocsparse_direction_NS_24const_host_device_scalarIT2_EEPKiS6_PKS3_S8_S4_PS3_21rocsparse_index_base_b.has_indirect_call, 0
	.section	.AMDGPU.csdata,"",@progbits
; Kernel info:
; codeLenInByte = 1820
; TotalNumSgprs: 20
; NumVgprs: 42
; ScratchSize: 0
; MemoryBound: 0
; FloatMode: 240
; IeeeMode: 1
; LDSByteSize: 0 bytes/workgroup (compile time only)
; SGPRBlocks: 2
; VGPRBlocks: 10
; NumSGPRsForWavesPerEU: 20
; NumVGPRsForWavesPerEU: 42
; Occupancy: 5
; WaveLimiterHint : 1
; COMPUTE_PGM_RSRC2:SCRATCH_EN: 0
; COMPUTE_PGM_RSRC2:USER_SGPR: 6
; COMPUTE_PGM_RSRC2:TRAP_HANDLER: 0
; COMPUTE_PGM_RSRC2:TGID_X_EN: 1
; COMPUTE_PGM_RSRC2:TGID_Y_EN: 0
; COMPUTE_PGM_RSRC2:TGID_Z_EN: 0
; COMPUTE_PGM_RSRC2:TIDIG_COMP_CNT: 0
	.section	.text._ZN9rocsparseL19gebsrmvn_2xn_kernelILj128ELj6ELj64EdEEvi20rocsparse_direction_NS_24const_host_device_scalarIT2_EEPKiS6_PKS3_S8_S4_PS3_21rocsparse_index_base_b,"axG",@progbits,_ZN9rocsparseL19gebsrmvn_2xn_kernelILj128ELj6ELj64EdEEvi20rocsparse_direction_NS_24const_host_device_scalarIT2_EEPKiS6_PKS3_S8_S4_PS3_21rocsparse_index_base_b,comdat
	.globl	_ZN9rocsparseL19gebsrmvn_2xn_kernelILj128ELj6ELj64EdEEvi20rocsparse_direction_NS_24const_host_device_scalarIT2_EEPKiS6_PKS3_S8_S4_PS3_21rocsparse_index_base_b ; -- Begin function _ZN9rocsparseL19gebsrmvn_2xn_kernelILj128ELj6ELj64EdEEvi20rocsparse_direction_NS_24const_host_device_scalarIT2_EEPKiS6_PKS3_S8_S4_PS3_21rocsparse_index_base_b
	.p2align	8
	.type	_ZN9rocsparseL19gebsrmvn_2xn_kernelILj128ELj6ELj64EdEEvi20rocsparse_direction_NS_24const_host_device_scalarIT2_EEPKiS6_PKS3_S8_S4_PS3_21rocsparse_index_base_b,@function
_ZN9rocsparseL19gebsrmvn_2xn_kernelILj128ELj6ELj64EdEEvi20rocsparse_direction_NS_24const_host_device_scalarIT2_EEPKiS6_PKS3_S8_S4_PS3_21rocsparse_index_base_b: ; @_ZN9rocsparseL19gebsrmvn_2xn_kernelILj128ELj6ELj64EdEEvi20rocsparse_direction_NS_24const_host_device_scalarIT2_EEPKiS6_PKS3_S8_S4_PS3_21rocsparse_index_base_b
; %bb.0:
	s_load_dwordx2 s[2:3], s[4:5], 0x40
	s_load_dwordx2 s[10:11], s[4:5], 0x8
	;; [unrolled: 1-line block ×3, first 2 shown]
	s_waitcnt lgkmcnt(0)
	s_bitcmp1_b32 s3, 0
	s_cselect_b64 s[12:13], -1, 0
	v_mov_b32_e32 v1, s10
	s_xor_b64 s[8:9], s[12:13], -1
	s_and_b64 vcc, exec, s[12:13]
	v_mov_b32_e32 v2, s11
	s_cbranch_vccnz .LBB100_2
; %bb.1:
	v_mov_b32_e32 v1, s10
	v_mov_b32_e32 v2, s11
	flat_load_dwordx2 v[1:2], v[1:2]
.LBB100_2:
	v_mov_b32_e32 v4, s1
	s_andn2_b64 vcc, exec, s[8:9]
	v_mov_b32_e32 v3, s0
	s_cbranch_vccnz .LBB100_4
; %bb.3:
	v_mov_b32_e32 v4, s1
	v_mov_b32_e32 v3, s0
	flat_load_dwordx2 v[3:4], v[3:4]
.LBB100_4:
	s_waitcnt vmcnt(0) lgkmcnt(0)
	v_cmp_neq_f64_e32 vcc, 0, v[1:2]
	v_cmp_neq_f64_e64 s[0:1], 1.0, v[3:4]
	s_or_b64 s[0:1], vcc, s[0:1]
	s_and_saveexec_b64 s[8:9], s[0:1]
	s_cbranch_execz .LBB100_23
; %bb.5:
	s_load_dwordx2 s[0:1], s[4:5], 0x0
	v_lshrrev_b32_e32 v5, 6, v0
	v_lshl_or_b32 v5, s6, 1, v5
	s_waitcnt lgkmcnt(0)
	v_cmp_gt_i32_e32 vcc, s0, v5
	s_and_b64 exec, exec, vcc
	s_cbranch_execz .LBB100_23
; %bb.6:
	s_load_dwordx8 s[8:15], s[4:5], 0x10
	v_ashrrev_i32_e32 v6, 31, v5
	v_lshlrev_b64 v[6:7], 2, v[5:6]
	v_and_b32_e32 v0, 63, v0
	s_cmp_lg_u32 s1, 0
	s_waitcnt lgkmcnt(0)
	v_mov_b32_e32 v8, s9
	v_add_co_u32_e32 v6, vcc, s8, v6
	v_addc_co_u32_e32 v7, vcc, v8, v7, vcc
	global_load_dwordx2 v[6:7], v[6:7], off
	s_waitcnt vmcnt(0)
	v_subrev_u32_e32 v6, s2, v6
	v_subrev_u32_e32 v18, s2, v7
	v_add_u32_e32 v6, v6, v0
	v_cmp_lt_i32_e64 s[0:1], v6, v18
	s_cbranch_scc0 .LBB100_12
; %bb.7:
	v_mov_b32_e32 v10, 0
	v_mov_b32_e32 v8, 0
	;; [unrolled: 1-line block ×4, first 2 shown]
	s_and_saveexec_b64 s[6:7], s[0:1]
	s_cbranch_execz .LBB100_11
; %bb.8:
	v_mad_u64_u32 v[12:13], s[8:9], v6, 12, 10
	v_mov_b32_e32 v10, 0
	v_mov_b32_e32 v8, 0
	;; [unrolled: 1-line block ×3, first 2 shown]
	s_mov_b64 s[8:9], 0
	v_mov_b32_e32 v7, s11
	v_mov_b32_e32 v15, 0
	;; [unrolled: 1-line block ×6, first 2 shown]
.LBB100_9:                              ; =>This Inner Loop Header: Depth=1
	v_ashrrev_i32_e32 v17, 31, v16
	v_lshlrev_b64 v[21:22], 2, v[16:17]
	v_add_u32_e32 v14, -10, v12
	v_lshlrev_b64 v[23:24], 3, v[14:15]
	v_add_co_u32_e32 v29, vcc, s10, v21
	v_mov_b32_e32 v13, v15
	v_addc_co_u32_e32 v30, vcc, v7, v22, vcc
	v_lshlrev_b64 v[25:26], 3, v[12:13]
	v_add_co_u32_e32 v31, vcc, s12, v23
	v_addc_co_u32_e32 v32, vcc, v19, v24, vcc
	v_add_co_u32_e32 v35, vcc, s12, v25
	v_addc_co_u32_e32 v36, vcc, v19, v26, vcc
	global_load_dword v17, v[29:30], off
	global_load_dwordx4 v[21:24], v[31:32], off
	global_load_dwordx4 v[25:28], v[31:32], off offset:16
	v_add_u32_e32 v14, -6, v12
	v_lshlrev_b64 v[13:14], 3, v[14:15]
	v_mov_b32_e32 v34, v15
	v_add_co_u32_e32 v13, vcc, s12, v13
	v_addc_co_u32_e32 v14, vcc, v19, v14, vcc
	v_add_u32_e32 v16, 64, v16
	s_waitcnt vmcnt(2)
	v_subrev_u32_e32 v17, s2, v17
	v_mul_lo_u32 v33, v17, 6
	v_lshlrev_b64 v[29:30], 3, v[33:34]
	v_add_co_u32_e32 v29, vcc, s14, v29
	v_addc_co_u32_e32 v30, vcc, v20, v30, vcc
	global_load_dwordx4 v[29:32], v[29:30], off
	s_waitcnt vmcnt(0)
	v_fma_f64 v[21:22], v[21:22], v[29:30], v[10:11]
	v_fma_f64 v[23:24], v[23:24], v[29:30], v[8:9]
	global_load_dwordx4 v[8:11], v[13:14], off
	v_add_u32_e32 v14, 2, v33
	v_lshlrev_b64 v[29:30], 3, v[14:15]
	v_add_u32_e32 v14, -4, v12
	v_fma_f64 v[37:38], v[25:26], v[31:32], v[21:22]
	v_add_co_u32_e32 v21, vcc, s14, v29
	v_addc_co_u32_e32 v22, vcc, v20, v30, vcc
	v_fma_f64 v[31:32], v[27:28], v[31:32], v[23:24]
	global_load_dwordx4 v[21:24], v[21:22], off
	v_lshlrev_b64 v[25:26], 3, v[14:15]
	v_add_u32_e32 v14, -2, v12
	v_lshlrev_b64 v[27:28], 3, v[14:15]
	v_add_co_u32_e32 v25, vcc, s12, v25
	v_addc_co_u32_e32 v26, vcc, v19, v26, vcc
	v_add_u32_e32 v14, 4, v33
	v_add_co_u32_e32 v33, vcc, s12, v27
	v_addc_co_u32_e32 v34, vcc, v19, v28, vcc
	global_load_dwordx4 v[25:28], v[25:26], off
	v_lshlrev_b64 v[13:14], 3, v[14:15]
	v_add_u32_e32 v12, 0x300, v12
	v_add_co_u32_e32 v13, vcc, s14, v13
	v_addc_co_u32_e32 v14, vcc, v20, v14, vcc
	v_cmp_ge_i32_e32 vcc, v16, v18
	s_or_b64 s[8:9], vcc, s[8:9]
	s_waitcnt vmcnt(1)
	v_fma_f64 v[37:38], v[8:9], v[21:22], v[37:38]
	v_fma_f64 v[21:22], v[10:11], v[21:22], v[31:32]
	global_load_dwordx4 v[8:11], v[33:34], off
	global_load_dwordx4 v[29:32], v[13:14], off
	s_waitcnt vmcnt(2)
	v_fma_f64 v[13:14], v[25:26], v[23:24], v[37:38]
	v_fma_f64 v[25:26], v[27:28], v[23:24], v[21:22]
	global_load_dwordx4 v[21:24], v[35:36], off
	s_waitcnt vmcnt(1)
	v_fma_f64 v[8:9], v[8:9], v[29:30], v[13:14]
	v_fma_f64 v[13:14], v[10:11], v[29:30], v[25:26]
	s_waitcnt vmcnt(0)
	v_fma_f64 v[10:11], v[21:22], v[31:32], v[8:9]
	v_fma_f64 v[8:9], v[23:24], v[31:32], v[13:14]
	s_andn2_b64 exec, exec, s[8:9]
	s_cbranch_execnz .LBB100_9
; %bb.10:
	s_or_b64 exec, exec, s[8:9]
.LBB100_11:
	s_or_b64 exec, exec, s[6:7]
	s_cbranch_execz .LBB100_13
	s_branch .LBB100_18
.LBB100_12:
                                        ; implicit-def: $vgpr10_vgpr11
                                        ; implicit-def: $vgpr8_vgpr9
.LBB100_13:
	v_mov_b32_e32 v10, 0
	v_mov_b32_e32 v8, 0
	;; [unrolled: 1-line block ×4, first 2 shown]
	s_and_saveexec_b64 s[6:7], s[0:1]
	s_cbranch_execz .LBB100_17
; %bb.14:
	v_mad_u64_u32 v[12:13], s[0:1], v6, 12, 11
	v_mov_b32_e32 v10, 0
	v_mov_b32_e32 v8, 0
	;; [unrolled: 1-line block ×3, first 2 shown]
	s_mov_b64 s[0:1], 0
	v_mov_b32_e32 v15, s11
	v_mov_b32_e32 v14, 0
	;; [unrolled: 1-line block ×5, first 2 shown]
.LBB100_15:                             ; =>This Inner Loop Header: Depth=1
	v_ashrrev_i32_e32 v7, 31, v6
	v_lshlrev_b64 v[19:20], 2, v[6:7]
	v_add_u32_e32 v13, -11, v12
	v_lshlrev_b64 v[21:22], 3, v[13:14]
	v_add_co_u32_e32 v27, vcc, s10, v19
	v_addc_co_u32_e32 v28, vcc, v15, v20, vcc
	v_add_co_u32_e32 v29, vcc, s12, v21
	v_addc_co_u32_e32 v30, vcc, v16, v22, vcc
	global_load_dword v7, v[27:28], off
	global_load_dwordx4 v[19:22], v[29:30], off
	global_load_dwordx4 v[23:26], v[29:30], off offset:16
	v_mov_b32_e32 v32, v14
	v_mov_b32_e32 v13, v14
	v_add_u32_e32 v6, 64, v6
	s_waitcnt vmcnt(2)
	v_subrev_u32_e32 v7, s2, v7
	v_mul_lo_u32 v31, v7, 6
	v_lshlrev_b64 v[27:28], 3, v[31:32]
	v_add_co_u32_e32 v27, vcc, s14, v27
	v_addc_co_u32_e32 v28, vcc, v17, v28, vcc
	global_load_dwordx4 v[27:30], v[27:28], off
	s_waitcnt vmcnt(0)
	v_fma_f64 v[10:11], v[19:20], v[27:28], v[10:11]
	v_fma_f64 v[19:20], v[21:22], v[29:30], v[10:11]
	v_add_u32_e32 v10, -5, v12
	v_mov_b32_e32 v11, v14
	v_lshlrev_b64 v[10:11], 3, v[10:11]
	v_lshlrev_b64 v[21:22], 3, v[12:13]
	v_add_co_u32_e32 v10, vcc, s12, v10
	v_addc_co_u32_e32 v11, vcc, v16, v11, vcc
	v_add_co_u32_e32 v32, vcc, s12, v21
	v_add_u32_e32 v13, -4, v12
	v_addc_co_u32_e32 v33, vcc, v16, v22, vcc
	v_lshlrev_b64 v[21:22], 3, v[13:14]
	v_add_u32_e32 v13, 2, v31
	v_add_co_u32_e32 v21, vcc, s12, v21
	v_addc_co_u32_e32 v22, vcc, v16, v22, vcc
	global_load_dwordx2 v[34:35], v[10:11], off
	global_load_dwordx2 v[36:37], v[21:22], off
	s_waitcnt vmcnt(1)
	v_fma_f64 v[7:8], v[34:35], v[27:28], v[8:9]
	s_waitcnt vmcnt(0)
	v_fma_f64 v[21:22], v[36:37], v[29:30], v[7:8]
	v_lshlrev_b64 v[7:8], 3, v[13:14]
	v_add_u32_e32 v13, -3, v12
	v_add_co_u32_e32 v7, vcc, s14, v7
	v_addc_co_u32_e32 v8, vcc, v17, v8, vcc
	global_load_dwordx4 v[7:10], v[7:8], off
	v_lshlrev_b64 v[27:28], 3, v[13:14]
	v_add_u32_e32 v13, -2, v12
	s_waitcnt vmcnt(0)
	v_fma_f64 v[19:20], v[23:24], v[7:8], v[19:20]
	v_fma_f64 v[23:24], v[25:26], v[9:10], v[19:20]
	v_lshlrev_b64 v[19:20], 3, v[13:14]
	v_add_co_u32_e32 v25, vcc, s12, v27
	v_add_u32_e32 v13, -7, v12
	v_addc_co_u32_e32 v26, vcc, v16, v28, vcc
	v_lshlrev_b64 v[27:28], 3, v[13:14]
	v_add_co_u32_e32 v19, vcc, s12, v19
	v_addc_co_u32_e32 v20, vcc, v16, v20, vcc
	v_add_co_u32_e32 v27, vcc, s12, v27
	v_addc_co_u32_e32 v28, vcc, v16, v28, vcc
	global_load_dwordx2 v[36:37], v[25:26], off
	global_load_dwordx2 v[38:39], v[19:20], off
	;; [unrolled: 1-line block ×3, first 2 shown]
	v_add_u32_e32 v13, 4, v31
	v_lshlrev_b64 v[29:30], 3, v[13:14]
	v_add_u32_e32 v13, -1, v12
	v_add_co_u32_e32 v29, vcc, s14, v29
	v_lshlrev_b64 v[34:35], 3, v[13:14]
	v_addc_co_u32_e32 v30, vcc, v17, v30, vcc
	v_add_co_u32_e32 v34, vcc, s12, v34
	v_addc_co_u32_e32 v35, vcc, v16, v35, vcc
	v_add_u32_e32 v13, -6, v12
	v_lshlrev_b64 v[25:26], 3, v[13:14]
	v_add_u32_e32 v12, 0x300, v12
	v_add_co_u32_e32 v25, vcc, s12, v25
	v_addc_co_u32_e32 v26, vcc, v16, v26, vcc
	v_cmp_ge_i32_e32 vcc, v6, v18
	s_or_b64 s[0:1], vcc, s[0:1]
	s_waitcnt vmcnt(2)
	v_fma_f64 v[7:8], v[36:37], v[7:8], v[21:22]
	s_waitcnt vmcnt(1)
	v_fma_f64 v[7:8], v[38:39], v[9:10], v[7:8]
	global_load_dwordx4 v[19:22], v[29:30], off
	global_load_dwordx2 v[9:10], v[34:35], off
	global_load_dwordx2 v[27:28], v[25:26], off
	s_nop 0
	global_load_dwordx2 v[29:30], v[32:33], off
	s_waitcnt vmcnt(3)
	v_fma_f64 v[23:24], v[40:41], v[19:20], v[23:24]
	s_waitcnt vmcnt(2)
	v_fma_f64 v[7:8], v[9:10], v[19:20], v[7:8]
	;; [unrolled: 2-line block ×4, first 2 shown]
	s_andn2_b64 exec, exec, s[0:1]
	s_cbranch_execnz .LBB100_15
; %bb.16:
	s_or_b64 exec, exec, s[0:1]
.LBB100_17:
	s_or_b64 exec, exec, s[6:7]
.LBB100_18:
	v_mov_b32_dpp v6, v10 row_shr:1 row_mask:0xf bank_mask:0xf
	v_mov_b32_dpp v7, v11 row_shr:1 row_mask:0xf bank_mask:0xf
	v_add_f64 v[6:7], v[10:11], v[6:7]
	v_mov_b32_dpp v10, v8 row_shr:1 row_mask:0xf bank_mask:0xf
	v_mov_b32_dpp v11, v9 row_shr:1 row_mask:0xf bank_mask:0xf
	v_add_f64 v[8:9], v[8:9], v[10:11]
	v_cmp_eq_u32_e32 vcc, 63, v0
	v_mov_b32_dpp v10, v6 row_shr:2 row_mask:0xf bank_mask:0xf
	v_mov_b32_dpp v11, v7 row_shr:2 row_mask:0xf bank_mask:0xf
	v_add_f64 v[6:7], v[6:7], v[10:11]
	v_mov_b32_dpp v12, v8 row_shr:2 row_mask:0xf bank_mask:0xf
	v_mov_b32_dpp v13, v9 row_shr:2 row_mask:0xf bank_mask:0xf
	v_add_f64 v[8:9], v[8:9], v[12:13]
	;; [unrolled: 3-line block ×6, first 2 shown]
	v_mov_b32_dpp v10, v6 row_bcast:15 row_mask:0xa bank_mask:0xf
	v_mov_b32_dpp v11, v7 row_bcast:15 row_mask:0xa bank_mask:0xf
	v_add_f64 v[6:7], v[6:7], v[10:11]
	v_mov_b32_dpp v12, v8 row_bcast:15 row_mask:0xa bank_mask:0xf
	v_mov_b32_dpp v13, v9 row_bcast:15 row_mask:0xa bank_mask:0xf
	v_add_f64 v[10:11], v[8:9], v[12:13]
	v_mov_b32_dpp v8, v6 row_bcast:31 row_mask:0xc bank_mask:0xf
	v_mov_b32_dpp v9, v7 row_bcast:31 row_mask:0xc bank_mask:0xf
	;; [unrolled: 1-line block ×4, first 2 shown]
	s_and_b64 exec, exec, vcc
	s_cbranch_execz .LBB100_23
; %bb.19:
	v_add_f64 v[8:9], v[6:7], v[8:9]
	v_add_f64 v[6:7], v[10:11], v[12:13]
	v_cmp_eq_f64_e32 vcc, 0, v[3:4]
	s_load_dwordx2 s[0:1], s[4:5], 0x38
	s_and_saveexec_b64 s[2:3], vcc
	s_xor_b64 s[2:3], exec, s[2:3]
	s_cbranch_execz .LBB100_21
; %bb.20:
	v_mul_f64 v[3:4], v[1:2], v[8:9]
	v_lshlrev_b32_e32 v0, 1, v5
	v_mul_f64 v[5:6], v[1:2], v[6:7]
	v_ashrrev_i32_e32 v1, 31, v0
	v_lshlrev_b64 v[0:1], 3, v[0:1]
	s_waitcnt lgkmcnt(0)
	v_mov_b32_e32 v2, s1
	v_add_co_u32_e32 v0, vcc, s0, v0
	v_addc_co_u32_e32 v1, vcc, v2, v1, vcc
	global_store_dwordx4 v[0:1], v[3:6], off
                                        ; implicit-def: $vgpr5
                                        ; implicit-def: $vgpr1_vgpr2
                                        ; implicit-def: $vgpr8_vgpr9
                                        ; implicit-def: $vgpr3_vgpr4
                                        ; implicit-def: $vgpr6_vgpr7
.LBB100_21:
	s_andn2_saveexec_b64 s[2:3], s[2:3]
	s_cbranch_execz .LBB100_23
; %bb.22:
	v_lshlrev_b32_e32 v10, 1, v5
	v_ashrrev_i32_e32 v11, 31, v10
	v_lshlrev_b64 v[10:11], 3, v[10:11]
	s_waitcnt lgkmcnt(0)
	v_mov_b32_e32 v0, s1
	v_add_co_u32_e32 v14, vcc, s0, v10
	v_addc_co_u32_e32 v15, vcc, v0, v11, vcc
	global_load_dwordx4 v[10:13], v[14:15], off
	v_mul_f64 v[8:9], v[1:2], v[8:9]
	v_mul_f64 v[5:6], v[1:2], v[6:7]
	s_waitcnt vmcnt(0)
	v_fma_f64 v[0:1], v[3:4], v[10:11], v[8:9]
	v_fma_f64 v[2:3], v[3:4], v[12:13], v[5:6]
	global_store_dwordx4 v[14:15], v[0:3], off
.LBB100_23:
	s_endpgm
	.section	.rodata,"a",@progbits
	.p2align	6, 0x0
	.amdhsa_kernel _ZN9rocsparseL19gebsrmvn_2xn_kernelILj128ELj6ELj64EdEEvi20rocsparse_direction_NS_24const_host_device_scalarIT2_EEPKiS6_PKS3_S8_S4_PS3_21rocsparse_index_base_b
		.amdhsa_group_segment_fixed_size 0
		.amdhsa_private_segment_fixed_size 0
		.amdhsa_kernarg_size 72
		.amdhsa_user_sgpr_count 6
		.amdhsa_user_sgpr_private_segment_buffer 1
		.amdhsa_user_sgpr_dispatch_ptr 0
		.amdhsa_user_sgpr_queue_ptr 0
		.amdhsa_user_sgpr_kernarg_segment_ptr 1
		.amdhsa_user_sgpr_dispatch_id 0
		.amdhsa_user_sgpr_flat_scratch_init 0
		.amdhsa_user_sgpr_private_segment_size 0
		.amdhsa_uses_dynamic_stack 0
		.amdhsa_system_sgpr_private_segment_wavefront_offset 0
		.amdhsa_system_sgpr_workgroup_id_x 1
		.amdhsa_system_sgpr_workgroup_id_y 0
		.amdhsa_system_sgpr_workgroup_id_z 0
		.amdhsa_system_sgpr_workgroup_info 0
		.amdhsa_system_vgpr_workitem_id 0
		.amdhsa_next_free_vgpr 42
		.amdhsa_next_free_sgpr 16
		.amdhsa_reserve_vcc 1
		.amdhsa_reserve_flat_scratch 0
		.amdhsa_float_round_mode_32 0
		.amdhsa_float_round_mode_16_64 0
		.amdhsa_float_denorm_mode_32 3
		.amdhsa_float_denorm_mode_16_64 3
		.amdhsa_dx10_clamp 1
		.amdhsa_ieee_mode 1
		.amdhsa_fp16_overflow 0
		.amdhsa_exception_fp_ieee_invalid_op 0
		.amdhsa_exception_fp_denorm_src 0
		.amdhsa_exception_fp_ieee_div_zero 0
		.amdhsa_exception_fp_ieee_overflow 0
		.amdhsa_exception_fp_ieee_underflow 0
		.amdhsa_exception_fp_ieee_inexact 0
		.amdhsa_exception_int_div_zero 0
	.end_amdhsa_kernel
	.section	.text._ZN9rocsparseL19gebsrmvn_2xn_kernelILj128ELj6ELj64EdEEvi20rocsparse_direction_NS_24const_host_device_scalarIT2_EEPKiS6_PKS3_S8_S4_PS3_21rocsparse_index_base_b,"axG",@progbits,_ZN9rocsparseL19gebsrmvn_2xn_kernelILj128ELj6ELj64EdEEvi20rocsparse_direction_NS_24const_host_device_scalarIT2_EEPKiS6_PKS3_S8_S4_PS3_21rocsparse_index_base_b,comdat
.Lfunc_end100:
	.size	_ZN9rocsparseL19gebsrmvn_2xn_kernelILj128ELj6ELj64EdEEvi20rocsparse_direction_NS_24const_host_device_scalarIT2_EEPKiS6_PKS3_S8_S4_PS3_21rocsparse_index_base_b, .Lfunc_end100-_ZN9rocsparseL19gebsrmvn_2xn_kernelILj128ELj6ELj64EdEEvi20rocsparse_direction_NS_24const_host_device_scalarIT2_EEPKiS6_PKS3_S8_S4_PS3_21rocsparse_index_base_b
                                        ; -- End function
	.set _ZN9rocsparseL19gebsrmvn_2xn_kernelILj128ELj6ELj64EdEEvi20rocsparse_direction_NS_24const_host_device_scalarIT2_EEPKiS6_PKS3_S8_S4_PS3_21rocsparse_index_base_b.num_vgpr, 42
	.set _ZN9rocsparseL19gebsrmvn_2xn_kernelILj128ELj6ELj64EdEEvi20rocsparse_direction_NS_24const_host_device_scalarIT2_EEPKiS6_PKS3_S8_S4_PS3_21rocsparse_index_base_b.num_agpr, 0
	.set _ZN9rocsparseL19gebsrmvn_2xn_kernelILj128ELj6ELj64EdEEvi20rocsparse_direction_NS_24const_host_device_scalarIT2_EEPKiS6_PKS3_S8_S4_PS3_21rocsparse_index_base_b.numbered_sgpr, 16
	.set _ZN9rocsparseL19gebsrmvn_2xn_kernelILj128ELj6ELj64EdEEvi20rocsparse_direction_NS_24const_host_device_scalarIT2_EEPKiS6_PKS3_S8_S4_PS3_21rocsparse_index_base_b.num_named_barrier, 0
	.set _ZN9rocsparseL19gebsrmvn_2xn_kernelILj128ELj6ELj64EdEEvi20rocsparse_direction_NS_24const_host_device_scalarIT2_EEPKiS6_PKS3_S8_S4_PS3_21rocsparse_index_base_b.private_seg_size, 0
	.set _ZN9rocsparseL19gebsrmvn_2xn_kernelILj128ELj6ELj64EdEEvi20rocsparse_direction_NS_24const_host_device_scalarIT2_EEPKiS6_PKS3_S8_S4_PS3_21rocsparse_index_base_b.uses_vcc, 1
	.set _ZN9rocsparseL19gebsrmvn_2xn_kernelILj128ELj6ELj64EdEEvi20rocsparse_direction_NS_24const_host_device_scalarIT2_EEPKiS6_PKS3_S8_S4_PS3_21rocsparse_index_base_b.uses_flat_scratch, 0
	.set _ZN9rocsparseL19gebsrmvn_2xn_kernelILj128ELj6ELj64EdEEvi20rocsparse_direction_NS_24const_host_device_scalarIT2_EEPKiS6_PKS3_S8_S4_PS3_21rocsparse_index_base_b.has_dyn_sized_stack, 0
	.set _ZN9rocsparseL19gebsrmvn_2xn_kernelILj128ELj6ELj64EdEEvi20rocsparse_direction_NS_24const_host_device_scalarIT2_EEPKiS6_PKS3_S8_S4_PS3_21rocsparse_index_base_b.has_recursion, 0
	.set _ZN9rocsparseL19gebsrmvn_2xn_kernelILj128ELj6ELj64EdEEvi20rocsparse_direction_NS_24const_host_device_scalarIT2_EEPKiS6_PKS3_S8_S4_PS3_21rocsparse_index_base_b.has_indirect_call, 0
	.section	.AMDGPU.csdata,"",@progbits
; Kernel info:
; codeLenInByte = 1868
; TotalNumSgprs: 20
; NumVgprs: 42
; ScratchSize: 0
; MemoryBound: 0
; FloatMode: 240
; IeeeMode: 1
; LDSByteSize: 0 bytes/workgroup (compile time only)
; SGPRBlocks: 2
; VGPRBlocks: 10
; NumSGPRsForWavesPerEU: 20
; NumVGPRsForWavesPerEU: 42
; Occupancy: 5
; WaveLimiterHint : 1
; COMPUTE_PGM_RSRC2:SCRATCH_EN: 0
; COMPUTE_PGM_RSRC2:USER_SGPR: 6
; COMPUTE_PGM_RSRC2:TRAP_HANDLER: 0
; COMPUTE_PGM_RSRC2:TGID_X_EN: 1
; COMPUTE_PGM_RSRC2:TGID_Y_EN: 0
; COMPUTE_PGM_RSRC2:TGID_Z_EN: 0
; COMPUTE_PGM_RSRC2:TIDIG_COMP_CNT: 0
	.section	.text._ZN9rocsparseL19gebsrmvn_2xn_kernelILj128ELj7ELj4EdEEvi20rocsparse_direction_NS_24const_host_device_scalarIT2_EEPKiS6_PKS3_S8_S4_PS3_21rocsparse_index_base_b,"axG",@progbits,_ZN9rocsparseL19gebsrmvn_2xn_kernelILj128ELj7ELj4EdEEvi20rocsparse_direction_NS_24const_host_device_scalarIT2_EEPKiS6_PKS3_S8_S4_PS3_21rocsparse_index_base_b,comdat
	.globl	_ZN9rocsparseL19gebsrmvn_2xn_kernelILj128ELj7ELj4EdEEvi20rocsparse_direction_NS_24const_host_device_scalarIT2_EEPKiS6_PKS3_S8_S4_PS3_21rocsparse_index_base_b ; -- Begin function _ZN9rocsparseL19gebsrmvn_2xn_kernelILj128ELj7ELj4EdEEvi20rocsparse_direction_NS_24const_host_device_scalarIT2_EEPKiS6_PKS3_S8_S4_PS3_21rocsparse_index_base_b
	.p2align	8
	.type	_ZN9rocsparseL19gebsrmvn_2xn_kernelILj128ELj7ELj4EdEEvi20rocsparse_direction_NS_24const_host_device_scalarIT2_EEPKiS6_PKS3_S8_S4_PS3_21rocsparse_index_base_b,@function
_ZN9rocsparseL19gebsrmvn_2xn_kernelILj128ELj7ELj4EdEEvi20rocsparse_direction_NS_24const_host_device_scalarIT2_EEPKiS6_PKS3_S8_S4_PS3_21rocsparse_index_base_b: ; @_ZN9rocsparseL19gebsrmvn_2xn_kernelILj128ELj7ELj4EdEEvi20rocsparse_direction_NS_24const_host_device_scalarIT2_EEPKiS6_PKS3_S8_S4_PS3_21rocsparse_index_base_b
; %bb.0:
	s_load_dwordx2 s[2:3], s[4:5], 0x40
	s_load_dwordx2 s[10:11], s[4:5], 0x8
	;; [unrolled: 1-line block ×3, first 2 shown]
	s_waitcnt lgkmcnt(0)
	s_bitcmp1_b32 s3, 0
	s_cselect_b64 s[12:13], -1, 0
	v_mov_b32_e32 v1, s10
	s_xor_b64 s[8:9], s[12:13], -1
	s_and_b64 vcc, exec, s[12:13]
	v_mov_b32_e32 v2, s11
	s_cbranch_vccnz .LBB101_2
; %bb.1:
	v_mov_b32_e32 v1, s10
	v_mov_b32_e32 v2, s11
	flat_load_dwordx2 v[1:2], v[1:2]
.LBB101_2:
	v_mov_b32_e32 v4, s1
	s_andn2_b64 vcc, exec, s[8:9]
	v_mov_b32_e32 v3, s0
	s_cbranch_vccnz .LBB101_4
; %bb.3:
	v_mov_b32_e32 v4, s1
	v_mov_b32_e32 v3, s0
	flat_load_dwordx2 v[3:4], v[3:4]
.LBB101_4:
	s_waitcnt vmcnt(0) lgkmcnt(0)
	v_cmp_neq_f64_e32 vcc, 0, v[1:2]
	v_cmp_neq_f64_e64 s[0:1], 1.0, v[3:4]
	s_or_b64 s[0:1], vcc, s[0:1]
	s_and_saveexec_b64 s[8:9], s[0:1]
	s_cbranch_execz .LBB101_23
; %bb.5:
	s_load_dwordx2 s[0:1], s[4:5], 0x0
	v_lshrrev_b32_e32 v5, 2, v0
	v_lshl_or_b32 v5, s6, 5, v5
	s_waitcnt lgkmcnt(0)
	v_cmp_gt_i32_e32 vcc, s0, v5
	s_and_b64 exec, exec, vcc
	s_cbranch_execz .LBB101_23
; %bb.6:
	s_load_dwordx8 s[8:15], s[4:5], 0x10
	v_ashrrev_i32_e32 v6, 31, v5
	v_lshlrev_b64 v[6:7], 2, v[5:6]
	v_and_b32_e32 v0, 3, v0
	s_cmp_lg_u32 s1, 0
	s_waitcnt lgkmcnt(0)
	v_mov_b32_e32 v8, s9
	v_add_co_u32_e32 v6, vcc, s8, v6
	v_addc_co_u32_e32 v7, vcc, v8, v7, vcc
	global_load_dwordx2 v[6:7], v[6:7], off
	s_waitcnt vmcnt(0)
	v_subrev_u32_e32 v6, s2, v6
	v_subrev_u32_e32 v18, s2, v7
	v_add_u32_e32 v6, v6, v0
	v_cmp_lt_i32_e64 s[0:1], v6, v18
	s_cbranch_scc0 .LBB101_12
; %bb.7:
	v_mov_b32_e32 v8, 0
	v_mov_b32_e32 v10, 0
	;; [unrolled: 1-line block ×4, first 2 shown]
	s_and_saveexec_b64 s[6:7], s[0:1]
	s_cbranch_execz .LBB101_11
; %bb.8:
	v_mad_u64_u32 v[12:13], s[8:9], v6, 14, 12
	v_mov_b32_e32 v8, 0
	v_mov_b32_e32 v10, 0
	;; [unrolled: 1-line block ×3, first 2 shown]
	s_mov_b64 s[8:9], 0
	v_mov_b32_e32 v7, s11
	v_mov_b32_e32 v15, 0
	v_mov_b32_e32 v19, s13
	v_mov_b32_e32 v20, s15
	v_mov_b32_e32 v11, 0
	v_mov_b32_e32 v16, v6
.LBB101_9:                              ; =>This Inner Loop Header: Depth=1
	v_ashrrev_i32_e32 v17, 31, v16
	v_lshlrev_b64 v[21:22], 2, v[16:17]
	v_add_u32_e32 v14, -12, v12
	v_lshlrev_b64 v[23:24], 3, v[14:15]
	v_add_co_u32_e32 v27, vcc, s10, v21
	v_addc_co_u32_e32 v28, vcc, v7, v22, vcc
	v_add_co_u32_e32 v31, vcc, s12, v23
	v_addc_co_u32_e32 v32, vcc, v19, v24, vcc
	global_load_dword v17, v[27:28], off
	global_load_dwordx4 v[21:24], v[31:32], off
	v_mov_b32_e32 v13, v15
	v_lshlrev_b64 v[25:26], 3, v[12:13]
	v_add_u32_e32 v14, -10, v12
	v_lshlrev_b64 v[13:14], 3, v[14:15]
	v_add_co_u32_e32 v33, vcc, s12, v25
	v_mov_b32_e32 v30, v15
	v_addc_co_u32_e32 v34, vcc, v19, v26, vcc
	v_add_co_u32_e32 v13, vcc, s12, v13
	v_addc_co_u32_e32 v14, vcc, v19, v14, vcc
	v_add_u32_e32 v16, 4, v16
	s_waitcnt vmcnt(1)
	v_subrev_u32_e32 v17, s2, v17
	v_mul_lo_u32 v29, v17, 7
	v_lshlrev_b64 v[25:26], 3, v[29:30]
	v_add_co_u32_e32 v30, vcc, s14, v25
	v_addc_co_u32_e32 v31, vcc, v20, v26, vcc
	global_load_dwordx4 v[25:28], v[33:34], off
	global_load_dwordx2 v[35:36], v[30:31], off
	s_waitcnt vmcnt(0)
	v_fma_f64 v[21:22], v[21:22], v[35:36], v[8:9]
	v_fma_f64 v[23:24], v[23:24], v[35:36], v[10:11]
	global_load_dwordx4 v[8:11], v[13:14], off
	v_add_u32_e32 v14, 1, v29
	v_lshlrev_b64 v[30:31], 3, v[14:15]
	v_add_u32_e32 v14, -8, v12
	v_add_co_u32_e32 v30, vcc, s14, v30
	v_addc_co_u32_e32 v31, vcc, v20, v31, vcc
	global_load_dwordx2 v[30:31], v[30:31], off
	v_lshlrev_b64 v[32:33], 3, v[14:15]
	v_add_u32_e32 v14, 2, v29
	s_waitcnt vmcnt(0)
	v_fma_f64 v[21:22], v[8:9], v[30:31], v[21:22]
	v_fma_f64 v[23:24], v[10:11], v[30:31], v[23:24]
	v_lshlrev_b64 v[8:9], 3, v[14:15]
	v_add_co_u32_e32 v30, vcc, s12, v32
	v_addc_co_u32_e32 v31, vcc, v19, v33, vcc
	v_add_co_u32_e32 v34, vcc, s14, v8
	v_addc_co_u32_e32 v35, vcc, v20, v9, vcc
	global_load_dwordx4 v[8:11], v[30:31], off
	global_load_dwordx2 v[36:37], v[34:35], off
	v_add_u32_e32 v14, -6, v12
	v_lshlrev_b64 v[32:33], 3, v[14:15]
	v_add_u32_e32 v14, 3, v29
	v_add_co_u32_e32 v30, vcc, s12, v32
	v_addc_co_u32_e32 v31, vcc, v19, v33, vcc
	s_waitcnt vmcnt(0)
	v_fma_f64 v[21:22], v[8:9], v[36:37], v[21:22]
	v_lshlrev_b64 v[8:9], 3, v[14:15]
	v_fma_f64 v[23:24], v[10:11], v[36:37], v[23:24]
	v_add_co_u32_e32 v34, vcc, s14, v8
	v_addc_co_u32_e32 v35, vcc, v20, v9, vcc
	global_load_dwordx4 v[8:11], v[30:31], off
	global_load_dwordx2 v[36:37], v[34:35], off
	v_add_u32_e32 v14, -4, v12
	v_lshlrev_b64 v[32:33], 3, v[14:15]
	v_add_u32_e32 v14, 4, v29
	v_add_co_u32_e32 v30, vcc, s12, v32
	v_addc_co_u32_e32 v31, vcc, v19, v33, vcc
	s_waitcnt vmcnt(0)
	v_fma_f64 v[21:22], v[8:9], v[36:37], v[21:22]
	v_lshlrev_b64 v[8:9], 3, v[14:15]
	v_fma_f64 v[23:24], v[10:11], v[36:37], v[23:24]
	v_add_co_u32_e32 v34, vcc, s14, v8
	v_addc_co_u32_e32 v35, vcc, v20, v9, vcc
	global_load_dwordx4 v[8:11], v[30:31], off
	global_load_dwordx2 v[36:37], v[34:35], off
	v_add_u32_e32 v14, -2, v12
	v_lshlrev_b64 v[32:33], 3, v[14:15]
	v_add_u32_e32 v14, 5, v29
	v_add_co_u32_e32 v13, vcc, s12, v32
	v_add_u32_e32 v12, 56, v12
	s_waitcnt vmcnt(0)
	v_fma_f64 v[21:22], v[8:9], v[36:37], v[21:22]
	v_lshlrev_b64 v[8:9], 3, v[14:15]
	v_addc_co_u32_e32 v14, vcc, v19, v33, vcc
	v_add_co_u32_e32 v30, vcc, s14, v8
	v_fma_f64 v[23:24], v[10:11], v[36:37], v[23:24]
	v_addc_co_u32_e32 v31, vcc, v20, v9, vcc
	global_load_dwordx4 v[8:11], v[13:14], off
	global_load_dwordx2 v[32:33], v[30:31], off
	v_add_u32_e32 v14, 6, v29
	v_lshlrev_b64 v[13:14], 3, v[14:15]
	v_add_co_u32_e32 v13, vcc, s14, v13
	v_addc_co_u32_e32 v14, vcc, v20, v14, vcc
	global_load_dwordx2 v[13:14], v[13:14], off
	v_cmp_ge_i32_e32 vcc, v16, v18
	s_or_b64 s[8:9], vcc, s[8:9]
	s_waitcnt vmcnt(1)
	v_fma_f64 v[8:9], v[8:9], v[32:33], v[21:22]
	v_fma_f64 v[10:11], v[10:11], v[32:33], v[23:24]
	s_waitcnt vmcnt(0)
	v_fma_f64 v[8:9], v[25:26], v[13:14], v[8:9]
	v_fma_f64 v[10:11], v[27:28], v[13:14], v[10:11]
	s_andn2_b64 exec, exec, s[8:9]
	s_cbranch_execnz .LBB101_9
; %bb.10:
	s_or_b64 exec, exec, s[8:9]
.LBB101_11:
	s_or_b64 exec, exec, s[6:7]
	s_cbranch_execz .LBB101_13
	s_branch .LBB101_18
.LBB101_12:
                                        ; implicit-def: $vgpr8_vgpr9
                                        ; implicit-def: $vgpr10_vgpr11
.LBB101_13:
	v_mov_b32_e32 v8, 0
	v_mov_b32_e32 v10, 0
	;; [unrolled: 1-line block ×4, first 2 shown]
	s_and_saveexec_b64 s[6:7], s[0:1]
	s_cbranch_execz .LBB101_17
; %bb.14:
	v_mad_u64_u32 v[12:13], s[0:1], v6, 14, 13
	v_mov_b32_e32 v8, 0
	v_mov_b32_e32 v10, 0
	;; [unrolled: 1-line block ×3, first 2 shown]
	s_mov_b64 s[0:1], 0
	v_mov_b32_e32 v16, s11
	v_mov_b32_e32 v15, 0
	v_mov_b32_e32 v17, s13
	v_mov_b32_e32 v11, 0
	v_mov_b32_e32 v19, s15
.LBB101_15:                             ; =>This Inner Loop Header: Depth=1
	v_ashrrev_i32_e32 v7, 31, v6
	v_lshlrev_b64 v[22:23], 2, v[6:7]
	v_add_u32_e32 v14, -13, v12
	v_add_co_u32_e32 v22, vcc, s10, v22
	v_addc_co_u32_e32 v23, vcc, v16, v23, vcc
	global_load_dword v7, v[22:23], off
	v_lshlrev_b64 v[24:25], 3, v[14:15]
	v_add_u32_e32 v20, -6, v12
	v_mov_b32_e32 v21, v15
	v_lshlrev_b64 v[20:21], 3, v[20:21]
	v_add_co_u32_e32 v24, vcc, s12, v24
	v_mov_b32_e32 v13, v15
	v_addc_co_u32_e32 v25, vcc, v17, v25, vcc
	v_lshlrev_b64 v[13:14], 3, v[12:13]
	v_add_co_u32_e32 v20, vcc, s12, v20
	v_addc_co_u32_e32 v21, vcc, v17, v21, vcc
	v_add_co_u32_e32 v26, vcc, s12, v13
	v_addc_co_u32_e32 v27, vcc, v17, v14, vcc
	v_mov_b32_e32 v14, v15
	v_add_u32_e32 v6, 4, v6
	s_waitcnt vmcnt(0)
	v_subrev_u32_e32 v7, s2, v7
	v_mul_lo_u32 v13, v7, 7
	v_lshlrev_b64 v[22:23], 3, v[13:14]
	v_add_u32_e32 v14, 1, v13
	v_add_co_u32_e32 v22, vcc, s14, v22
	v_addc_co_u32_e32 v23, vcc, v19, v23, vcc
	global_load_dwordx2 v[30:31], v[20:21], off
	global_load_dwordx2 v[32:33], v[22:23], off
	v_lshlrev_b64 v[28:29], 3, v[14:15]
	global_load_dwordx4 v[20:23], v[24:25], off
	v_add_co_u32_e32 v28, vcc, s14, v28
	v_addc_co_u32_e32 v29, vcc, v19, v29, vcc
	v_add_u32_e32 v14, -5, v12
	s_waitcnt vmcnt(1)
	v_fma_f64 v[10:11], v[30:31], v[32:33], v[10:11]
	s_waitcnt vmcnt(0)
	v_fma_f64 v[7:8], v[20:21], v[32:33], v[8:9]
	global_load_dwordx2 v[20:21], v[28:29], off
	s_waitcnt vmcnt(0)
	v_fma_f64 v[7:8], v[22:23], v[20:21], v[7:8]
	v_lshlrev_b64 v[22:23], 3, v[14:15]
	v_add_u32_e32 v14, -11, v12
	v_add_co_u32_e32 v22, vcc, s12, v22
	v_lshlrev_b64 v[24:25], 3, v[14:15]
	v_addc_co_u32_e32 v23, vcc, v17, v23, vcc
	v_add_co_u32_e32 v24, vcc, s12, v24
	v_addc_co_u32_e32 v25, vcc, v17, v25, vcc
	global_load_dwordx2 v[28:29], v[22:23], off
	global_load_dwordx2 v[30:31], v[24:25], off
	v_add_u32_e32 v14, 2, v13
	s_waitcnt vmcnt(1)
	v_fma_f64 v[9:10], v[28:29], v[20:21], v[10:11]
	v_lshlrev_b64 v[20:21], 3, v[14:15]
	v_add_u32_e32 v14, -4, v12
	v_add_co_u32_e32 v20, vcc, s14, v20
	v_addc_co_u32_e32 v21, vcc, v19, v21, vcc
	global_load_dwordx2 v[20:21], v[20:21], off
	v_lshlrev_b64 v[22:23], 3, v[14:15]
	v_add_u32_e32 v14, -10, v12
	v_add_co_u32_e32 v22, vcc, s12, v22
	v_lshlrev_b64 v[24:25], 3, v[14:15]
	v_addc_co_u32_e32 v23, vcc, v17, v23, vcc
	v_add_co_u32_e32 v24, vcc, s12, v24
	v_addc_co_u32_e32 v25, vcc, v17, v25, vcc
	v_add_u32_e32 v14, 3, v13
	s_waitcnt vmcnt(0)
	v_fma_f64 v[7:8], v[30:31], v[20:21], v[7:8]
	global_load_dwordx2 v[28:29], v[22:23], off
	global_load_dwordx2 v[30:31], v[24:25], off
	s_waitcnt vmcnt(1)
	v_fma_f64 v[9:10], v[28:29], v[20:21], v[9:10]
	v_lshlrev_b64 v[20:21], 3, v[14:15]
	v_add_u32_e32 v14, -3, v12
	v_add_co_u32_e32 v20, vcc, s14, v20
	v_addc_co_u32_e32 v21, vcc, v19, v21, vcc
	global_load_dwordx2 v[20:21], v[20:21], off
	v_lshlrev_b64 v[22:23], 3, v[14:15]
	v_add_u32_e32 v14, -9, v12
	v_add_co_u32_e32 v22, vcc, s12, v22
	v_lshlrev_b64 v[24:25], 3, v[14:15]
	v_addc_co_u32_e32 v23, vcc, v17, v23, vcc
	v_add_co_u32_e32 v24, vcc, s12, v24
	v_addc_co_u32_e32 v25, vcc, v17, v25, vcc
	v_add_u32_e32 v14, 4, v13
	s_waitcnt vmcnt(0)
	v_fma_f64 v[7:8], v[30:31], v[20:21], v[7:8]
	global_load_dwordx2 v[28:29], v[22:23], off
	global_load_dwordx2 v[30:31], v[24:25], off
	;; [unrolled: 19-line block ×3, first 2 shown]
	s_waitcnt vmcnt(1)
	v_fma_f64 v[9:10], v[28:29], v[20:21], v[9:10]
	v_lshlrev_b64 v[20:21], 3, v[14:15]
	v_add_u32_e32 v14, -1, v12
	v_add_co_u32_e32 v20, vcc, s14, v20
	v_addc_co_u32_e32 v21, vcc, v19, v21, vcc
	global_load_dwordx2 v[20:21], v[20:21], off
	v_lshlrev_b64 v[22:23], 3, v[14:15]
	v_add_u32_e32 v14, -7, v12
	v_lshlrev_b64 v[24:25], 3, v[14:15]
	v_add_co_u32_e32 v22, vcc, s12, v22
	v_add_u32_e32 v14, 6, v13
	v_addc_co_u32_e32 v23, vcc, v17, v23, vcc
	v_add_co_u32_e32 v24, vcc, s12, v24
	v_lshlrev_b64 v[13:14], 3, v[14:15]
	v_addc_co_u32_e32 v25, vcc, v17, v25, vcc
	v_add_co_u32_e32 v13, vcc, s14, v13
	v_addc_co_u32_e32 v14, vcc, v19, v14, vcc
	v_cmp_ge_i32_e32 vcc, v6, v18
	s_or_b64 s[0:1], vcc, s[0:1]
	v_add_u32_e32 v12, 56, v12
	s_waitcnt vmcnt(0)
	v_fma_f64 v[7:8], v[30:31], v[20:21], v[7:8]
	global_load_dwordx2 v[28:29], v[22:23], off
	global_load_dwordx2 v[30:31], v[26:27], off
	;; [unrolled: 1-line block ×4, first 2 shown]
	s_waitcnt vmcnt(3)
	v_fma_f64 v[10:11], v[28:29], v[20:21], v[9:10]
	s_waitcnt vmcnt(0)
	v_fma_f64 v[8:9], v[32:33], v[34:35], v[7:8]
	v_fma_f64 v[10:11], v[30:31], v[34:35], v[10:11]
	s_andn2_b64 exec, exec, s[0:1]
	s_cbranch_execnz .LBB101_15
; %bb.16:
	s_or_b64 exec, exec, s[0:1]
.LBB101_17:
	s_or_b64 exec, exec, s[6:7]
.LBB101_18:
	v_mov_b32_dpp v6, v8 row_shr:1 row_mask:0xf bank_mask:0xf
	v_mov_b32_dpp v7, v9 row_shr:1 row_mask:0xf bank_mask:0xf
	v_add_f64 v[6:7], v[8:9], v[6:7]
	v_mov_b32_dpp v8, v10 row_shr:1 row_mask:0xf bank_mask:0xf
	v_mov_b32_dpp v9, v11 row_shr:1 row_mask:0xf bank_mask:0xf
	v_add_f64 v[10:11], v[10:11], v[8:9]
	v_cmp_eq_u32_e32 vcc, 3, v0
	v_mov_b32_dpp v8, v6 row_shr:2 row_mask:0xf bank_mask:0xf
	v_mov_b32_dpp v9, v7 row_shr:2 row_mask:0xf bank_mask:0xf
	;; [unrolled: 1-line block ×4, first 2 shown]
	s_and_b64 exec, exec, vcc
	s_cbranch_execz .LBB101_23
; %bb.19:
	v_add_f64 v[8:9], v[6:7], v[8:9]
	v_add_f64 v[6:7], v[10:11], v[12:13]
	v_cmp_eq_f64_e32 vcc, 0, v[3:4]
	s_load_dwordx2 s[0:1], s[4:5], 0x38
	s_and_saveexec_b64 s[2:3], vcc
	s_xor_b64 s[2:3], exec, s[2:3]
	s_cbranch_execz .LBB101_21
; %bb.20:
	v_mul_f64 v[3:4], v[1:2], v[8:9]
	v_lshlrev_b32_e32 v0, 1, v5
	v_mul_f64 v[5:6], v[1:2], v[6:7]
	v_ashrrev_i32_e32 v1, 31, v0
	v_lshlrev_b64 v[0:1], 3, v[0:1]
	s_waitcnt lgkmcnt(0)
	v_mov_b32_e32 v2, s1
	v_add_co_u32_e32 v0, vcc, s0, v0
	v_addc_co_u32_e32 v1, vcc, v2, v1, vcc
	global_store_dwordx4 v[0:1], v[3:6], off
                                        ; implicit-def: $vgpr5
                                        ; implicit-def: $vgpr1_vgpr2
                                        ; implicit-def: $vgpr8_vgpr9
                                        ; implicit-def: $vgpr3_vgpr4
                                        ; implicit-def: $vgpr6_vgpr7
.LBB101_21:
	s_andn2_saveexec_b64 s[2:3], s[2:3]
	s_cbranch_execz .LBB101_23
; %bb.22:
	v_lshlrev_b32_e32 v10, 1, v5
	v_ashrrev_i32_e32 v11, 31, v10
	v_lshlrev_b64 v[10:11], 3, v[10:11]
	s_waitcnt lgkmcnt(0)
	v_mov_b32_e32 v0, s1
	v_add_co_u32_e32 v14, vcc, s0, v10
	v_addc_co_u32_e32 v15, vcc, v0, v11, vcc
	global_load_dwordx4 v[10:13], v[14:15], off
	v_mul_f64 v[8:9], v[1:2], v[8:9]
	v_mul_f64 v[5:6], v[1:2], v[6:7]
	s_waitcnt vmcnt(0)
	v_fma_f64 v[0:1], v[3:4], v[10:11], v[8:9]
	v_fma_f64 v[2:3], v[3:4], v[12:13], v[5:6]
	global_store_dwordx4 v[14:15], v[0:3], off
.LBB101_23:
	s_endpgm
	.section	.rodata,"a",@progbits
	.p2align	6, 0x0
	.amdhsa_kernel _ZN9rocsparseL19gebsrmvn_2xn_kernelILj128ELj7ELj4EdEEvi20rocsparse_direction_NS_24const_host_device_scalarIT2_EEPKiS6_PKS3_S8_S4_PS3_21rocsparse_index_base_b
		.amdhsa_group_segment_fixed_size 0
		.amdhsa_private_segment_fixed_size 0
		.amdhsa_kernarg_size 72
		.amdhsa_user_sgpr_count 6
		.amdhsa_user_sgpr_private_segment_buffer 1
		.amdhsa_user_sgpr_dispatch_ptr 0
		.amdhsa_user_sgpr_queue_ptr 0
		.amdhsa_user_sgpr_kernarg_segment_ptr 1
		.amdhsa_user_sgpr_dispatch_id 0
		.amdhsa_user_sgpr_flat_scratch_init 0
		.amdhsa_user_sgpr_private_segment_size 0
		.amdhsa_uses_dynamic_stack 0
		.amdhsa_system_sgpr_private_segment_wavefront_offset 0
		.amdhsa_system_sgpr_workgroup_id_x 1
		.amdhsa_system_sgpr_workgroup_id_y 0
		.amdhsa_system_sgpr_workgroup_id_z 0
		.amdhsa_system_sgpr_workgroup_info 0
		.amdhsa_system_vgpr_workitem_id 0
		.amdhsa_next_free_vgpr 38
		.amdhsa_next_free_sgpr 16
		.amdhsa_reserve_vcc 1
		.amdhsa_reserve_flat_scratch 0
		.amdhsa_float_round_mode_32 0
		.amdhsa_float_round_mode_16_64 0
		.amdhsa_float_denorm_mode_32 3
		.amdhsa_float_denorm_mode_16_64 3
		.amdhsa_dx10_clamp 1
		.amdhsa_ieee_mode 1
		.amdhsa_fp16_overflow 0
		.amdhsa_exception_fp_ieee_invalid_op 0
		.amdhsa_exception_fp_denorm_src 0
		.amdhsa_exception_fp_ieee_div_zero 0
		.amdhsa_exception_fp_ieee_overflow 0
		.amdhsa_exception_fp_ieee_underflow 0
		.amdhsa_exception_fp_ieee_inexact 0
		.amdhsa_exception_int_div_zero 0
	.end_amdhsa_kernel
	.section	.text._ZN9rocsparseL19gebsrmvn_2xn_kernelILj128ELj7ELj4EdEEvi20rocsparse_direction_NS_24const_host_device_scalarIT2_EEPKiS6_PKS3_S8_S4_PS3_21rocsparse_index_base_b,"axG",@progbits,_ZN9rocsparseL19gebsrmvn_2xn_kernelILj128ELj7ELj4EdEEvi20rocsparse_direction_NS_24const_host_device_scalarIT2_EEPKiS6_PKS3_S8_S4_PS3_21rocsparse_index_base_b,comdat
.Lfunc_end101:
	.size	_ZN9rocsparseL19gebsrmvn_2xn_kernelILj128ELj7ELj4EdEEvi20rocsparse_direction_NS_24const_host_device_scalarIT2_EEPKiS6_PKS3_S8_S4_PS3_21rocsparse_index_base_b, .Lfunc_end101-_ZN9rocsparseL19gebsrmvn_2xn_kernelILj128ELj7ELj4EdEEvi20rocsparse_direction_NS_24const_host_device_scalarIT2_EEPKiS6_PKS3_S8_S4_PS3_21rocsparse_index_base_b
                                        ; -- End function
	.set _ZN9rocsparseL19gebsrmvn_2xn_kernelILj128ELj7ELj4EdEEvi20rocsparse_direction_NS_24const_host_device_scalarIT2_EEPKiS6_PKS3_S8_S4_PS3_21rocsparse_index_base_b.num_vgpr, 38
	.set _ZN9rocsparseL19gebsrmvn_2xn_kernelILj128ELj7ELj4EdEEvi20rocsparse_direction_NS_24const_host_device_scalarIT2_EEPKiS6_PKS3_S8_S4_PS3_21rocsparse_index_base_b.num_agpr, 0
	.set _ZN9rocsparseL19gebsrmvn_2xn_kernelILj128ELj7ELj4EdEEvi20rocsparse_direction_NS_24const_host_device_scalarIT2_EEPKiS6_PKS3_S8_S4_PS3_21rocsparse_index_base_b.numbered_sgpr, 16
	.set _ZN9rocsparseL19gebsrmvn_2xn_kernelILj128ELj7ELj4EdEEvi20rocsparse_direction_NS_24const_host_device_scalarIT2_EEPKiS6_PKS3_S8_S4_PS3_21rocsparse_index_base_b.num_named_barrier, 0
	.set _ZN9rocsparseL19gebsrmvn_2xn_kernelILj128ELj7ELj4EdEEvi20rocsparse_direction_NS_24const_host_device_scalarIT2_EEPKiS6_PKS3_S8_S4_PS3_21rocsparse_index_base_b.private_seg_size, 0
	.set _ZN9rocsparseL19gebsrmvn_2xn_kernelILj128ELj7ELj4EdEEvi20rocsparse_direction_NS_24const_host_device_scalarIT2_EEPKiS6_PKS3_S8_S4_PS3_21rocsparse_index_base_b.uses_vcc, 1
	.set _ZN9rocsparseL19gebsrmvn_2xn_kernelILj128ELj7ELj4EdEEvi20rocsparse_direction_NS_24const_host_device_scalarIT2_EEPKiS6_PKS3_S8_S4_PS3_21rocsparse_index_base_b.uses_flat_scratch, 0
	.set _ZN9rocsparseL19gebsrmvn_2xn_kernelILj128ELj7ELj4EdEEvi20rocsparse_direction_NS_24const_host_device_scalarIT2_EEPKiS6_PKS3_S8_S4_PS3_21rocsparse_index_base_b.has_dyn_sized_stack, 0
	.set _ZN9rocsparseL19gebsrmvn_2xn_kernelILj128ELj7ELj4EdEEvi20rocsparse_direction_NS_24const_host_device_scalarIT2_EEPKiS6_PKS3_S8_S4_PS3_21rocsparse_index_base_b.has_recursion, 0
	.set _ZN9rocsparseL19gebsrmvn_2xn_kernelILj128ELj7ELj4EdEEvi20rocsparse_direction_NS_24const_host_device_scalarIT2_EEPKiS6_PKS3_S8_S4_PS3_21rocsparse_index_base_b.has_indirect_call, 0
	.section	.AMDGPU.csdata,"",@progbits
; Kernel info:
; codeLenInByte = 2092
; TotalNumSgprs: 20
; NumVgprs: 38
; ScratchSize: 0
; MemoryBound: 0
; FloatMode: 240
; IeeeMode: 1
; LDSByteSize: 0 bytes/workgroup (compile time only)
; SGPRBlocks: 2
; VGPRBlocks: 9
; NumSGPRsForWavesPerEU: 20
; NumVGPRsForWavesPerEU: 38
; Occupancy: 6
; WaveLimiterHint : 1
; COMPUTE_PGM_RSRC2:SCRATCH_EN: 0
; COMPUTE_PGM_RSRC2:USER_SGPR: 6
; COMPUTE_PGM_RSRC2:TRAP_HANDLER: 0
; COMPUTE_PGM_RSRC2:TGID_X_EN: 1
; COMPUTE_PGM_RSRC2:TGID_Y_EN: 0
; COMPUTE_PGM_RSRC2:TGID_Z_EN: 0
; COMPUTE_PGM_RSRC2:TIDIG_COMP_CNT: 0
	.section	.text._ZN9rocsparseL19gebsrmvn_2xn_kernelILj128ELj7ELj8EdEEvi20rocsparse_direction_NS_24const_host_device_scalarIT2_EEPKiS6_PKS3_S8_S4_PS3_21rocsparse_index_base_b,"axG",@progbits,_ZN9rocsparseL19gebsrmvn_2xn_kernelILj128ELj7ELj8EdEEvi20rocsparse_direction_NS_24const_host_device_scalarIT2_EEPKiS6_PKS3_S8_S4_PS3_21rocsparse_index_base_b,comdat
	.globl	_ZN9rocsparseL19gebsrmvn_2xn_kernelILj128ELj7ELj8EdEEvi20rocsparse_direction_NS_24const_host_device_scalarIT2_EEPKiS6_PKS3_S8_S4_PS3_21rocsparse_index_base_b ; -- Begin function _ZN9rocsparseL19gebsrmvn_2xn_kernelILj128ELj7ELj8EdEEvi20rocsparse_direction_NS_24const_host_device_scalarIT2_EEPKiS6_PKS3_S8_S4_PS3_21rocsparse_index_base_b
	.p2align	8
	.type	_ZN9rocsparseL19gebsrmvn_2xn_kernelILj128ELj7ELj8EdEEvi20rocsparse_direction_NS_24const_host_device_scalarIT2_EEPKiS6_PKS3_S8_S4_PS3_21rocsparse_index_base_b,@function
_ZN9rocsparseL19gebsrmvn_2xn_kernelILj128ELj7ELj8EdEEvi20rocsparse_direction_NS_24const_host_device_scalarIT2_EEPKiS6_PKS3_S8_S4_PS3_21rocsparse_index_base_b: ; @_ZN9rocsparseL19gebsrmvn_2xn_kernelILj128ELj7ELj8EdEEvi20rocsparse_direction_NS_24const_host_device_scalarIT2_EEPKiS6_PKS3_S8_S4_PS3_21rocsparse_index_base_b
; %bb.0:
	s_load_dwordx2 s[2:3], s[4:5], 0x40
	s_load_dwordx2 s[10:11], s[4:5], 0x8
	;; [unrolled: 1-line block ×3, first 2 shown]
	s_waitcnt lgkmcnt(0)
	s_bitcmp1_b32 s3, 0
	s_cselect_b64 s[12:13], -1, 0
	v_mov_b32_e32 v1, s10
	s_xor_b64 s[8:9], s[12:13], -1
	s_and_b64 vcc, exec, s[12:13]
	v_mov_b32_e32 v2, s11
	s_cbranch_vccnz .LBB102_2
; %bb.1:
	v_mov_b32_e32 v1, s10
	v_mov_b32_e32 v2, s11
	flat_load_dwordx2 v[1:2], v[1:2]
.LBB102_2:
	v_mov_b32_e32 v4, s1
	s_andn2_b64 vcc, exec, s[8:9]
	v_mov_b32_e32 v3, s0
	s_cbranch_vccnz .LBB102_4
; %bb.3:
	v_mov_b32_e32 v4, s1
	v_mov_b32_e32 v3, s0
	flat_load_dwordx2 v[3:4], v[3:4]
.LBB102_4:
	s_waitcnt vmcnt(0) lgkmcnt(0)
	v_cmp_neq_f64_e32 vcc, 0, v[1:2]
	v_cmp_neq_f64_e64 s[0:1], 1.0, v[3:4]
	s_or_b64 s[0:1], vcc, s[0:1]
	s_and_saveexec_b64 s[8:9], s[0:1]
	s_cbranch_execz .LBB102_23
; %bb.5:
	s_load_dwordx2 s[0:1], s[4:5], 0x0
	v_lshrrev_b32_e32 v5, 3, v0
	v_lshl_or_b32 v5, s6, 4, v5
	s_waitcnt lgkmcnt(0)
	v_cmp_gt_i32_e32 vcc, s0, v5
	s_and_b64 exec, exec, vcc
	s_cbranch_execz .LBB102_23
; %bb.6:
	s_load_dwordx8 s[8:15], s[4:5], 0x10
	v_ashrrev_i32_e32 v6, 31, v5
	v_lshlrev_b64 v[6:7], 2, v[5:6]
	v_and_b32_e32 v0, 7, v0
	s_cmp_lg_u32 s1, 0
	s_waitcnt lgkmcnt(0)
	v_mov_b32_e32 v8, s9
	v_add_co_u32_e32 v6, vcc, s8, v6
	v_addc_co_u32_e32 v7, vcc, v8, v7, vcc
	global_load_dwordx2 v[6:7], v[6:7], off
	s_waitcnt vmcnt(0)
	v_subrev_u32_e32 v6, s2, v6
	v_subrev_u32_e32 v18, s2, v7
	v_add_u32_e32 v6, v6, v0
	v_cmp_lt_i32_e64 s[0:1], v6, v18
	s_cbranch_scc0 .LBB102_12
; %bb.7:
	v_mov_b32_e32 v8, 0
	v_mov_b32_e32 v10, 0
	;; [unrolled: 1-line block ×4, first 2 shown]
	s_and_saveexec_b64 s[6:7], s[0:1]
	s_cbranch_execz .LBB102_11
; %bb.8:
	v_mad_u64_u32 v[12:13], s[8:9], v6, 14, 12
	v_mov_b32_e32 v8, 0
	v_mov_b32_e32 v10, 0
	;; [unrolled: 1-line block ×3, first 2 shown]
	s_mov_b64 s[8:9], 0
	v_mov_b32_e32 v7, s11
	v_mov_b32_e32 v15, 0
	;; [unrolled: 1-line block ×6, first 2 shown]
.LBB102_9:                              ; =>This Inner Loop Header: Depth=1
	v_ashrrev_i32_e32 v17, 31, v16
	v_lshlrev_b64 v[21:22], 2, v[16:17]
	v_add_u32_e32 v14, -12, v12
	v_lshlrev_b64 v[23:24], 3, v[14:15]
	v_add_co_u32_e32 v27, vcc, s10, v21
	v_addc_co_u32_e32 v28, vcc, v7, v22, vcc
	v_add_co_u32_e32 v31, vcc, s12, v23
	v_addc_co_u32_e32 v32, vcc, v19, v24, vcc
	global_load_dword v17, v[27:28], off
	global_load_dwordx4 v[21:24], v[31:32], off
	v_mov_b32_e32 v13, v15
	v_lshlrev_b64 v[25:26], 3, v[12:13]
	v_add_u32_e32 v14, -10, v12
	v_lshlrev_b64 v[13:14], 3, v[14:15]
	v_add_co_u32_e32 v33, vcc, s12, v25
	v_mov_b32_e32 v30, v15
	v_addc_co_u32_e32 v34, vcc, v19, v26, vcc
	v_add_co_u32_e32 v13, vcc, s12, v13
	v_addc_co_u32_e32 v14, vcc, v19, v14, vcc
	v_add_u32_e32 v16, 8, v16
	s_waitcnt vmcnt(1)
	v_subrev_u32_e32 v17, s2, v17
	v_mul_lo_u32 v29, v17, 7
	v_lshlrev_b64 v[25:26], 3, v[29:30]
	v_add_co_u32_e32 v30, vcc, s14, v25
	v_addc_co_u32_e32 v31, vcc, v20, v26, vcc
	global_load_dwordx4 v[25:28], v[33:34], off
	global_load_dwordx2 v[35:36], v[30:31], off
	s_waitcnt vmcnt(0)
	v_fma_f64 v[21:22], v[21:22], v[35:36], v[8:9]
	v_fma_f64 v[23:24], v[23:24], v[35:36], v[10:11]
	global_load_dwordx4 v[8:11], v[13:14], off
	v_add_u32_e32 v14, 1, v29
	v_lshlrev_b64 v[30:31], 3, v[14:15]
	v_add_u32_e32 v14, -8, v12
	v_add_co_u32_e32 v30, vcc, s14, v30
	v_addc_co_u32_e32 v31, vcc, v20, v31, vcc
	global_load_dwordx2 v[30:31], v[30:31], off
	v_lshlrev_b64 v[32:33], 3, v[14:15]
	v_add_u32_e32 v14, 2, v29
	s_waitcnt vmcnt(0)
	v_fma_f64 v[21:22], v[8:9], v[30:31], v[21:22]
	v_fma_f64 v[23:24], v[10:11], v[30:31], v[23:24]
	v_lshlrev_b64 v[8:9], 3, v[14:15]
	v_add_co_u32_e32 v30, vcc, s12, v32
	v_addc_co_u32_e32 v31, vcc, v19, v33, vcc
	v_add_co_u32_e32 v34, vcc, s14, v8
	v_addc_co_u32_e32 v35, vcc, v20, v9, vcc
	global_load_dwordx4 v[8:11], v[30:31], off
	global_load_dwordx2 v[36:37], v[34:35], off
	v_add_u32_e32 v14, -6, v12
	v_lshlrev_b64 v[32:33], 3, v[14:15]
	v_add_u32_e32 v14, 3, v29
	v_add_co_u32_e32 v30, vcc, s12, v32
	v_addc_co_u32_e32 v31, vcc, v19, v33, vcc
	s_waitcnt vmcnt(0)
	v_fma_f64 v[21:22], v[8:9], v[36:37], v[21:22]
	v_lshlrev_b64 v[8:9], 3, v[14:15]
	v_fma_f64 v[23:24], v[10:11], v[36:37], v[23:24]
	v_add_co_u32_e32 v34, vcc, s14, v8
	v_addc_co_u32_e32 v35, vcc, v20, v9, vcc
	global_load_dwordx4 v[8:11], v[30:31], off
	global_load_dwordx2 v[36:37], v[34:35], off
	v_add_u32_e32 v14, -4, v12
	v_lshlrev_b64 v[32:33], 3, v[14:15]
	v_add_u32_e32 v14, 4, v29
	v_add_co_u32_e32 v30, vcc, s12, v32
	v_addc_co_u32_e32 v31, vcc, v19, v33, vcc
	s_waitcnt vmcnt(0)
	v_fma_f64 v[21:22], v[8:9], v[36:37], v[21:22]
	v_lshlrev_b64 v[8:9], 3, v[14:15]
	v_fma_f64 v[23:24], v[10:11], v[36:37], v[23:24]
	v_add_co_u32_e32 v34, vcc, s14, v8
	v_addc_co_u32_e32 v35, vcc, v20, v9, vcc
	global_load_dwordx4 v[8:11], v[30:31], off
	global_load_dwordx2 v[36:37], v[34:35], off
	v_add_u32_e32 v14, -2, v12
	v_lshlrev_b64 v[32:33], 3, v[14:15]
	v_add_u32_e32 v14, 5, v29
	v_add_co_u32_e32 v13, vcc, s12, v32
	v_add_u32_e32 v12, 0x70, v12
	s_waitcnt vmcnt(0)
	v_fma_f64 v[21:22], v[8:9], v[36:37], v[21:22]
	v_lshlrev_b64 v[8:9], 3, v[14:15]
	v_addc_co_u32_e32 v14, vcc, v19, v33, vcc
	v_add_co_u32_e32 v30, vcc, s14, v8
	v_fma_f64 v[23:24], v[10:11], v[36:37], v[23:24]
	v_addc_co_u32_e32 v31, vcc, v20, v9, vcc
	global_load_dwordx4 v[8:11], v[13:14], off
	global_load_dwordx2 v[32:33], v[30:31], off
	v_add_u32_e32 v14, 6, v29
	v_lshlrev_b64 v[13:14], 3, v[14:15]
	v_add_co_u32_e32 v13, vcc, s14, v13
	v_addc_co_u32_e32 v14, vcc, v20, v14, vcc
	global_load_dwordx2 v[13:14], v[13:14], off
	v_cmp_ge_i32_e32 vcc, v16, v18
	s_or_b64 s[8:9], vcc, s[8:9]
	s_waitcnt vmcnt(1)
	v_fma_f64 v[8:9], v[8:9], v[32:33], v[21:22]
	v_fma_f64 v[10:11], v[10:11], v[32:33], v[23:24]
	s_waitcnt vmcnt(0)
	v_fma_f64 v[8:9], v[25:26], v[13:14], v[8:9]
	v_fma_f64 v[10:11], v[27:28], v[13:14], v[10:11]
	s_andn2_b64 exec, exec, s[8:9]
	s_cbranch_execnz .LBB102_9
; %bb.10:
	s_or_b64 exec, exec, s[8:9]
.LBB102_11:
	s_or_b64 exec, exec, s[6:7]
	s_cbranch_execz .LBB102_13
	s_branch .LBB102_18
.LBB102_12:
                                        ; implicit-def: $vgpr8_vgpr9
                                        ; implicit-def: $vgpr10_vgpr11
.LBB102_13:
	v_mov_b32_e32 v8, 0
	v_mov_b32_e32 v10, 0
	v_mov_b32_e32 v9, 0
	v_mov_b32_e32 v11, 0
	s_and_saveexec_b64 s[6:7], s[0:1]
	s_cbranch_execz .LBB102_17
; %bb.14:
	v_mad_u64_u32 v[12:13], s[0:1], v6, 14, 13
	v_mov_b32_e32 v8, 0
	v_mov_b32_e32 v10, 0
	;; [unrolled: 1-line block ×3, first 2 shown]
	s_mov_b64 s[0:1], 0
	v_mov_b32_e32 v16, s11
	v_mov_b32_e32 v15, 0
	;; [unrolled: 1-line block ×5, first 2 shown]
.LBB102_15:                             ; =>This Inner Loop Header: Depth=1
	v_ashrrev_i32_e32 v7, 31, v6
	v_lshlrev_b64 v[22:23], 2, v[6:7]
	v_add_u32_e32 v14, -13, v12
	v_add_co_u32_e32 v22, vcc, s10, v22
	v_addc_co_u32_e32 v23, vcc, v16, v23, vcc
	global_load_dword v7, v[22:23], off
	v_lshlrev_b64 v[24:25], 3, v[14:15]
	v_add_u32_e32 v20, -6, v12
	v_mov_b32_e32 v21, v15
	v_lshlrev_b64 v[20:21], 3, v[20:21]
	v_add_co_u32_e32 v24, vcc, s12, v24
	v_mov_b32_e32 v13, v15
	v_addc_co_u32_e32 v25, vcc, v17, v25, vcc
	v_lshlrev_b64 v[13:14], 3, v[12:13]
	v_add_co_u32_e32 v20, vcc, s12, v20
	v_addc_co_u32_e32 v21, vcc, v17, v21, vcc
	v_add_co_u32_e32 v26, vcc, s12, v13
	v_addc_co_u32_e32 v27, vcc, v17, v14, vcc
	v_mov_b32_e32 v14, v15
	v_add_u32_e32 v6, 8, v6
	s_waitcnt vmcnt(0)
	v_subrev_u32_e32 v7, s2, v7
	v_mul_lo_u32 v13, v7, 7
	v_lshlrev_b64 v[22:23], 3, v[13:14]
	v_add_u32_e32 v14, 1, v13
	v_add_co_u32_e32 v22, vcc, s14, v22
	v_addc_co_u32_e32 v23, vcc, v19, v23, vcc
	global_load_dwordx2 v[30:31], v[20:21], off
	global_load_dwordx2 v[32:33], v[22:23], off
	v_lshlrev_b64 v[28:29], 3, v[14:15]
	global_load_dwordx4 v[20:23], v[24:25], off
	v_add_co_u32_e32 v28, vcc, s14, v28
	v_addc_co_u32_e32 v29, vcc, v19, v29, vcc
	v_add_u32_e32 v14, -5, v12
	s_waitcnt vmcnt(1)
	v_fma_f64 v[10:11], v[30:31], v[32:33], v[10:11]
	s_waitcnt vmcnt(0)
	v_fma_f64 v[7:8], v[20:21], v[32:33], v[8:9]
	global_load_dwordx2 v[20:21], v[28:29], off
	s_waitcnt vmcnt(0)
	v_fma_f64 v[7:8], v[22:23], v[20:21], v[7:8]
	v_lshlrev_b64 v[22:23], 3, v[14:15]
	v_add_u32_e32 v14, -11, v12
	v_add_co_u32_e32 v22, vcc, s12, v22
	v_lshlrev_b64 v[24:25], 3, v[14:15]
	v_addc_co_u32_e32 v23, vcc, v17, v23, vcc
	v_add_co_u32_e32 v24, vcc, s12, v24
	v_addc_co_u32_e32 v25, vcc, v17, v25, vcc
	global_load_dwordx2 v[28:29], v[22:23], off
	global_load_dwordx2 v[30:31], v[24:25], off
	v_add_u32_e32 v14, 2, v13
	s_waitcnt vmcnt(1)
	v_fma_f64 v[9:10], v[28:29], v[20:21], v[10:11]
	v_lshlrev_b64 v[20:21], 3, v[14:15]
	v_add_u32_e32 v14, -4, v12
	v_add_co_u32_e32 v20, vcc, s14, v20
	v_addc_co_u32_e32 v21, vcc, v19, v21, vcc
	global_load_dwordx2 v[20:21], v[20:21], off
	v_lshlrev_b64 v[22:23], 3, v[14:15]
	v_add_u32_e32 v14, -10, v12
	v_add_co_u32_e32 v22, vcc, s12, v22
	v_lshlrev_b64 v[24:25], 3, v[14:15]
	v_addc_co_u32_e32 v23, vcc, v17, v23, vcc
	v_add_co_u32_e32 v24, vcc, s12, v24
	v_addc_co_u32_e32 v25, vcc, v17, v25, vcc
	v_add_u32_e32 v14, 3, v13
	s_waitcnt vmcnt(0)
	v_fma_f64 v[7:8], v[30:31], v[20:21], v[7:8]
	global_load_dwordx2 v[28:29], v[22:23], off
	global_load_dwordx2 v[30:31], v[24:25], off
	s_waitcnt vmcnt(1)
	v_fma_f64 v[9:10], v[28:29], v[20:21], v[9:10]
	v_lshlrev_b64 v[20:21], 3, v[14:15]
	v_add_u32_e32 v14, -3, v12
	v_add_co_u32_e32 v20, vcc, s14, v20
	v_addc_co_u32_e32 v21, vcc, v19, v21, vcc
	global_load_dwordx2 v[20:21], v[20:21], off
	v_lshlrev_b64 v[22:23], 3, v[14:15]
	v_add_u32_e32 v14, -9, v12
	v_add_co_u32_e32 v22, vcc, s12, v22
	v_lshlrev_b64 v[24:25], 3, v[14:15]
	v_addc_co_u32_e32 v23, vcc, v17, v23, vcc
	v_add_co_u32_e32 v24, vcc, s12, v24
	v_addc_co_u32_e32 v25, vcc, v17, v25, vcc
	v_add_u32_e32 v14, 4, v13
	s_waitcnt vmcnt(0)
	v_fma_f64 v[7:8], v[30:31], v[20:21], v[7:8]
	global_load_dwordx2 v[28:29], v[22:23], off
	global_load_dwordx2 v[30:31], v[24:25], off
	;; [unrolled: 19-line block ×3, first 2 shown]
	s_waitcnt vmcnt(1)
	v_fma_f64 v[9:10], v[28:29], v[20:21], v[9:10]
	v_lshlrev_b64 v[20:21], 3, v[14:15]
	v_add_u32_e32 v14, -1, v12
	v_add_co_u32_e32 v20, vcc, s14, v20
	v_addc_co_u32_e32 v21, vcc, v19, v21, vcc
	global_load_dwordx2 v[20:21], v[20:21], off
	v_lshlrev_b64 v[22:23], 3, v[14:15]
	v_add_u32_e32 v14, -7, v12
	v_lshlrev_b64 v[24:25], 3, v[14:15]
	v_add_co_u32_e32 v22, vcc, s12, v22
	v_add_u32_e32 v14, 6, v13
	v_addc_co_u32_e32 v23, vcc, v17, v23, vcc
	v_add_co_u32_e32 v24, vcc, s12, v24
	v_lshlrev_b64 v[13:14], 3, v[14:15]
	v_addc_co_u32_e32 v25, vcc, v17, v25, vcc
	v_add_co_u32_e32 v13, vcc, s14, v13
	v_addc_co_u32_e32 v14, vcc, v19, v14, vcc
	v_cmp_ge_i32_e32 vcc, v6, v18
	s_or_b64 s[0:1], vcc, s[0:1]
	v_add_u32_e32 v12, 0x70, v12
	s_waitcnt vmcnt(0)
	v_fma_f64 v[7:8], v[30:31], v[20:21], v[7:8]
	global_load_dwordx2 v[28:29], v[22:23], off
	global_load_dwordx2 v[30:31], v[26:27], off
	global_load_dwordx2 v[32:33], v[24:25], off
	global_load_dwordx2 v[34:35], v[13:14], off
	s_waitcnt vmcnt(3)
	v_fma_f64 v[10:11], v[28:29], v[20:21], v[9:10]
	s_waitcnt vmcnt(0)
	v_fma_f64 v[8:9], v[32:33], v[34:35], v[7:8]
	v_fma_f64 v[10:11], v[30:31], v[34:35], v[10:11]
	s_andn2_b64 exec, exec, s[0:1]
	s_cbranch_execnz .LBB102_15
; %bb.16:
	s_or_b64 exec, exec, s[0:1]
.LBB102_17:
	s_or_b64 exec, exec, s[6:7]
.LBB102_18:
	v_mov_b32_dpp v6, v8 row_shr:1 row_mask:0xf bank_mask:0xf
	v_mov_b32_dpp v7, v9 row_shr:1 row_mask:0xf bank_mask:0xf
	v_add_f64 v[6:7], v[8:9], v[6:7]
	v_mov_b32_dpp v8, v10 row_shr:1 row_mask:0xf bank_mask:0xf
	v_mov_b32_dpp v9, v11 row_shr:1 row_mask:0xf bank_mask:0xf
	v_add_f64 v[8:9], v[10:11], v[8:9]
	v_cmp_eq_u32_e32 vcc, 7, v0
	v_mov_b32_dpp v10, v6 row_shr:2 row_mask:0xf bank_mask:0xf
	v_mov_b32_dpp v11, v7 row_shr:2 row_mask:0xf bank_mask:0xf
	v_add_f64 v[6:7], v[6:7], v[10:11]
	v_mov_b32_dpp v12, v8 row_shr:2 row_mask:0xf bank_mask:0xf
	v_mov_b32_dpp v13, v9 row_shr:2 row_mask:0xf bank_mask:0xf
	v_add_f64 v[10:11], v[8:9], v[12:13]
	v_mov_b32_dpp v8, v6 row_shr:4 row_mask:0xf bank_mask:0xe
	v_mov_b32_dpp v9, v7 row_shr:4 row_mask:0xf bank_mask:0xe
	;; [unrolled: 1-line block ×4, first 2 shown]
	s_and_b64 exec, exec, vcc
	s_cbranch_execz .LBB102_23
; %bb.19:
	v_add_f64 v[8:9], v[6:7], v[8:9]
	v_add_f64 v[6:7], v[10:11], v[12:13]
	v_cmp_eq_f64_e32 vcc, 0, v[3:4]
	s_load_dwordx2 s[0:1], s[4:5], 0x38
	s_and_saveexec_b64 s[2:3], vcc
	s_xor_b64 s[2:3], exec, s[2:3]
	s_cbranch_execz .LBB102_21
; %bb.20:
	v_mul_f64 v[3:4], v[1:2], v[8:9]
	v_lshlrev_b32_e32 v0, 1, v5
	v_mul_f64 v[5:6], v[1:2], v[6:7]
	v_ashrrev_i32_e32 v1, 31, v0
	v_lshlrev_b64 v[0:1], 3, v[0:1]
	s_waitcnt lgkmcnt(0)
	v_mov_b32_e32 v2, s1
	v_add_co_u32_e32 v0, vcc, s0, v0
	v_addc_co_u32_e32 v1, vcc, v2, v1, vcc
	global_store_dwordx4 v[0:1], v[3:6], off
                                        ; implicit-def: $vgpr5
                                        ; implicit-def: $vgpr1_vgpr2
                                        ; implicit-def: $vgpr8_vgpr9
                                        ; implicit-def: $vgpr3_vgpr4
                                        ; implicit-def: $vgpr6_vgpr7
.LBB102_21:
	s_andn2_saveexec_b64 s[2:3], s[2:3]
	s_cbranch_execz .LBB102_23
; %bb.22:
	v_lshlrev_b32_e32 v10, 1, v5
	v_ashrrev_i32_e32 v11, 31, v10
	v_lshlrev_b64 v[10:11], 3, v[10:11]
	s_waitcnt lgkmcnt(0)
	v_mov_b32_e32 v0, s1
	v_add_co_u32_e32 v14, vcc, s0, v10
	v_addc_co_u32_e32 v15, vcc, v0, v11, vcc
	global_load_dwordx4 v[10:13], v[14:15], off
	v_mul_f64 v[8:9], v[1:2], v[8:9]
	v_mul_f64 v[5:6], v[1:2], v[6:7]
	s_waitcnt vmcnt(0)
	v_fma_f64 v[0:1], v[3:4], v[10:11], v[8:9]
	v_fma_f64 v[2:3], v[3:4], v[12:13], v[5:6]
	global_store_dwordx4 v[14:15], v[0:3], off
.LBB102_23:
	s_endpgm
	.section	.rodata,"a",@progbits
	.p2align	6, 0x0
	.amdhsa_kernel _ZN9rocsparseL19gebsrmvn_2xn_kernelILj128ELj7ELj8EdEEvi20rocsparse_direction_NS_24const_host_device_scalarIT2_EEPKiS6_PKS3_S8_S4_PS3_21rocsparse_index_base_b
		.amdhsa_group_segment_fixed_size 0
		.amdhsa_private_segment_fixed_size 0
		.amdhsa_kernarg_size 72
		.amdhsa_user_sgpr_count 6
		.amdhsa_user_sgpr_private_segment_buffer 1
		.amdhsa_user_sgpr_dispatch_ptr 0
		.amdhsa_user_sgpr_queue_ptr 0
		.amdhsa_user_sgpr_kernarg_segment_ptr 1
		.amdhsa_user_sgpr_dispatch_id 0
		.amdhsa_user_sgpr_flat_scratch_init 0
		.amdhsa_user_sgpr_private_segment_size 0
		.amdhsa_uses_dynamic_stack 0
		.amdhsa_system_sgpr_private_segment_wavefront_offset 0
		.amdhsa_system_sgpr_workgroup_id_x 1
		.amdhsa_system_sgpr_workgroup_id_y 0
		.amdhsa_system_sgpr_workgroup_id_z 0
		.amdhsa_system_sgpr_workgroup_info 0
		.amdhsa_system_vgpr_workitem_id 0
		.amdhsa_next_free_vgpr 38
		.amdhsa_next_free_sgpr 16
		.amdhsa_reserve_vcc 1
		.amdhsa_reserve_flat_scratch 0
		.amdhsa_float_round_mode_32 0
		.amdhsa_float_round_mode_16_64 0
		.amdhsa_float_denorm_mode_32 3
		.amdhsa_float_denorm_mode_16_64 3
		.amdhsa_dx10_clamp 1
		.amdhsa_ieee_mode 1
		.amdhsa_fp16_overflow 0
		.amdhsa_exception_fp_ieee_invalid_op 0
		.amdhsa_exception_fp_denorm_src 0
		.amdhsa_exception_fp_ieee_div_zero 0
		.amdhsa_exception_fp_ieee_overflow 0
		.amdhsa_exception_fp_ieee_underflow 0
		.amdhsa_exception_fp_ieee_inexact 0
		.amdhsa_exception_int_div_zero 0
	.end_amdhsa_kernel
	.section	.text._ZN9rocsparseL19gebsrmvn_2xn_kernelILj128ELj7ELj8EdEEvi20rocsparse_direction_NS_24const_host_device_scalarIT2_EEPKiS6_PKS3_S8_S4_PS3_21rocsparse_index_base_b,"axG",@progbits,_ZN9rocsparseL19gebsrmvn_2xn_kernelILj128ELj7ELj8EdEEvi20rocsparse_direction_NS_24const_host_device_scalarIT2_EEPKiS6_PKS3_S8_S4_PS3_21rocsparse_index_base_b,comdat
.Lfunc_end102:
	.size	_ZN9rocsparseL19gebsrmvn_2xn_kernelILj128ELj7ELj8EdEEvi20rocsparse_direction_NS_24const_host_device_scalarIT2_EEPKiS6_PKS3_S8_S4_PS3_21rocsparse_index_base_b, .Lfunc_end102-_ZN9rocsparseL19gebsrmvn_2xn_kernelILj128ELj7ELj8EdEEvi20rocsparse_direction_NS_24const_host_device_scalarIT2_EEPKiS6_PKS3_S8_S4_PS3_21rocsparse_index_base_b
                                        ; -- End function
	.set _ZN9rocsparseL19gebsrmvn_2xn_kernelILj128ELj7ELj8EdEEvi20rocsparse_direction_NS_24const_host_device_scalarIT2_EEPKiS6_PKS3_S8_S4_PS3_21rocsparse_index_base_b.num_vgpr, 38
	.set _ZN9rocsparseL19gebsrmvn_2xn_kernelILj128ELj7ELj8EdEEvi20rocsparse_direction_NS_24const_host_device_scalarIT2_EEPKiS6_PKS3_S8_S4_PS3_21rocsparse_index_base_b.num_agpr, 0
	.set _ZN9rocsparseL19gebsrmvn_2xn_kernelILj128ELj7ELj8EdEEvi20rocsparse_direction_NS_24const_host_device_scalarIT2_EEPKiS6_PKS3_S8_S4_PS3_21rocsparse_index_base_b.numbered_sgpr, 16
	.set _ZN9rocsparseL19gebsrmvn_2xn_kernelILj128ELj7ELj8EdEEvi20rocsparse_direction_NS_24const_host_device_scalarIT2_EEPKiS6_PKS3_S8_S4_PS3_21rocsparse_index_base_b.num_named_barrier, 0
	.set _ZN9rocsparseL19gebsrmvn_2xn_kernelILj128ELj7ELj8EdEEvi20rocsparse_direction_NS_24const_host_device_scalarIT2_EEPKiS6_PKS3_S8_S4_PS3_21rocsparse_index_base_b.private_seg_size, 0
	.set _ZN9rocsparseL19gebsrmvn_2xn_kernelILj128ELj7ELj8EdEEvi20rocsparse_direction_NS_24const_host_device_scalarIT2_EEPKiS6_PKS3_S8_S4_PS3_21rocsparse_index_base_b.uses_vcc, 1
	.set _ZN9rocsparseL19gebsrmvn_2xn_kernelILj128ELj7ELj8EdEEvi20rocsparse_direction_NS_24const_host_device_scalarIT2_EEPKiS6_PKS3_S8_S4_PS3_21rocsparse_index_base_b.uses_flat_scratch, 0
	.set _ZN9rocsparseL19gebsrmvn_2xn_kernelILj128ELj7ELj8EdEEvi20rocsparse_direction_NS_24const_host_device_scalarIT2_EEPKiS6_PKS3_S8_S4_PS3_21rocsparse_index_base_b.has_dyn_sized_stack, 0
	.set _ZN9rocsparseL19gebsrmvn_2xn_kernelILj128ELj7ELj8EdEEvi20rocsparse_direction_NS_24const_host_device_scalarIT2_EEPKiS6_PKS3_S8_S4_PS3_21rocsparse_index_base_b.has_recursion, 0
	.set _ZN9rocsparseL19gebsrmvn_2xn_kernelILj128ELj7ELj8EdEEvi20rocsparse_direction_NS_24const_host_device_scalarIT2_EEPKiS6_PKS3_S8_S4_PS3_21rocsparse_index_base_b.has_indirect_call, 0
	.section	.AMDGPU.csdata,"",@progbits
; Kernel info:
; codeLenInByte = 2148
; TotalNumSgprs: 20
; NumVgprs: 38
; ScratchSize: 0
; MemoryBound: 0
; FloatMode: 240
; IeeeMode: 1
; LDSByteSize: 0 bytes/workgroup (compile time only)
; SGPRBlocks: 2
; VGPRBlocks: 9
; NumSGPRsForWavesPerEU: 20
; NumVGPRsForWavesPerEU: 38
; Occupancy: 6
; WaveLimiterHint : 1
; COMPUTE_PGM_RSRC2:SCRATCH_EN: 0
; COMPUTE_PGM_RSRC2:USER_SGPR: 6
; COMPUTE_PGM_RSRC2:TRAP_HANDLER: 0
; COMPUTE_PGM_RSRC2:TGID_X_EN: 1
; COMPUTE_PGM_RSRC2:TGID_Y_EN: 0
; COMPUTE_PGM_RSRC2:TGID_Z_EN: 0
; COMPUTE_PGM_RSRC2:TIDIG_COMP_CNT: 0
	.section	.text._ZN9rocsparseL19gebsrmvn_2xn_kernelILj128ELj7ELj16EdEEvi20rocsparse_direction_NS_24const_host_device_scalarIT2_EEPKiS6_PKS3_S8_S4_PS3_21rocsparse_index_base_b,"axG",@progbits,_ZN9rocsparseL19gebsrmvn_2xn_kernelILj128ELj7ELj16EdEEvi20rocsparse_direction_NS_24const_host_device_scalarIT2_EEPKiS6_PKS3_S8_S4_PS3_21rocsparse_index_base_b,comdat
	.globl	_ZN9rocsparseL19gebsrmvn_2xn_kernelILj128ELj7ELj16EdEEvi20rocsparse_direction_NS_24const_host_device_scalarIT2_EEPKiS6_PKS3_S8_S4_PS3_21rocsparse_index_base_b ; -- Begin function _ZN9rocsparseL19gebsrmvn_2xn_kernelILj128ELj7ELj16EdEEvi20rocsparse_direction_NS_24const_host_device_scalarIT2_EEPKiS6_PKS3_S8_S4_PS3_21rocsparse_index_base_b
	.p2align	8
	.type	_ZN9rocsparseL19gebsrmvn_2xn_kernelILj128ELj7ELj16EdEEvi20rocsparse_direction_NS_24const_host_device_scalarIT2_EEPKiS6_PKS3_S8_S4_PS3_21rocsparse_index_base_b,@function
_ZN9rocsparseL19gebsrmvn_2xn_kernelILj128ELj7ELj16EdEEvi20rocsparse_direction_NS_24const_host_device_scalarIT2_EEPKiS6_PKS3_S8_S4_PS3_21rocsparse_index_base_b: ; @_ZN9rocsparseL19gebsrmvn_2xn_kernelILj128ELj7ELj16EdEEvi20rocsparse_direction_NS_24const_host_device_scalarIT2_EEPKiS6_PKS3_S8_S4_PS3_21rocsparse_index_base_b
; %bb.0:
	s_load_dwordx2 s[2:3], s[4:5], 0x40
	s_load_dwordx2 s[10:11], s[4:5], 0x8
	;; [unrolled: 1-line block ×3, first 2 shown]
	s_waitcnt lgkmcnt(0)
	s_bitcmp1_b32 s3, 0
	s_cselect_b64 s[12:13], -1, 0
	v_mov_b32_e32 v1, s10
	s_xor_b64 s[8:9], s[12:13], -1
	s_and_b64 vcc, exec, s[12:13]
	v_mov_b32_e32 v2, s11
	s_cbranch_vccnz .LBB103_2
; %bb.1:
	v_mov_b32_e32 v1, s10
	v_mov_b32_e32 v2, s11
	flat_load_dwordx2 v[1:2], v[1:2]
.LBB103_2:
	v_mov_b32_e32 v4, s1
	s_andn2_b64 vcc, exec, s[8:9]
	v_mov_b32_e32 v3, s0
	s_cbranch_vccnz .LBB103_4
; %bb.3:
	v_mov_b32_e32 v4, s1
	v_mov_b32_e32 v3, s0
	flat_load_dwordx2 v[3:4], v[3:4]
.LBB103_4:
	s_waitcnt vmcnt(0) lgkmcnt(0)
	v_cmp_neq_f64_e32 vcc, 0, v[1:2]
	v_cmp_neq_f64_e64 s[0:1], 1.0, v[3:4]
	s_or_b64 s[0:1], vcc, s[0:1]
	s_and_saveexec_b64 s[8:9], s[0:1]
	s_cbranch_execz .LBB103_23
; %bb.5:
	s_load_dwordx2 s[0:1], s[4:5], 0x0
	v_lshrrev_b32_e32 v5, 4, v0
	v_lshl_or_b32 v5, s6, 3, v5
	s_waitcnt lgkmcnt(0)
	v_cmp_gt_i32_e32 vcc, s0, v5
	s_and_b64 exec, exec, vcc
	s_cbranch_execz .LBB103_23
; %bb.6:
	s_load_dwordx8 s[8:15], s[4:5], 0x10
	v_ashrrev_i32_e32 v6, 31, v5
	v_lshlrev_b64 v[6:7], 2, v[5:6]
	v_and_b32_e32 v0, 15, v0
	s_cmp_lg_u32 s1, 0
	s_waitcnt lgkmcnt(0)
	v_mov_b32_e32 v8, s9
	v_add_co_u32_e32 v6, vcc, s8, v6
	v_addc_co_u32_e32 v7, vcc, v8, v7, vcc
	global_load_dwordx2 v[6:7], v[6:7], off
	s_waitcnt vmcnt(0)
	v_subrev_u32_e32 v6, s2, v6
	v_subrev_u32_e32 v18, s2, v7
	v_add_u32_e32 v6, v6, v0
	v_cmp_lt_i32_e64 s[0:1], v6, v18
	s_cbranch_scc0 .LBB103_12
; %bb.7:
	v_mov_b32_e32 v8, 0
	v_mov_b32_e32 v10, 0
	;; [unrolled: 1-line block ×4, first 2 shown]
	s_and_saveexec_b64 s[6:7], s[0:1]
	s_cbranch_execz .LBB103_11
; %bb.8:
	v_mad_u64_u32 v[12:13], s[8:9], v6, 14, 12
	v_mov_b32_e32 v8, 0
	v_mov_b32_e32 v10, 0
	;; [unrolled: 1-line block ×3, first 2 shown]
	s_mov_b64 s[8:9], 0
	v_mov_b32_e32 v7, s11
	v_mov_b32_e32 v15, 0
	;; [unrolled: 1-line block ×6, first 2 shown]
.LBB103_9:                              ; =>This Inner Loop Header: Depth=1
	v_ashrrev_i32_e32 v17, 31, v16
	v_lshlrev_b64 v[21:22], 2, v[16:17]
	v_add_u32_e32 v14, -12, v12
	v_lshlrev_b64 v[23:24], 3, v[14:15]
	v_add_co_u32_e32 v27, vcc, s10, v21
	v_addc_co_u32_e32 v28, vcc, v7, v22, vcc
	v_add_co_u32_e32 v31, vcc, s12, v23
	v_addc_co_u32_e32 v32, vcc, v19, v24, vcc
	global_load_dword v17, v[27:28], off
	global_load_dwordx4 v[21:24], v[31:32], off
	v_mov_b32_e32 v13, v15
	v_lshlrev_b64 v[25:26], 3, v[12:13]
	v_add_u32_e32 v14, -10, v12
	v_lshlrev_b64 v[13:14], 3, v[14:15]
	v_add_co_u32_e32 v33, vcc, s12, v25
	v_mov_b32_e32 v30, v15
	v_addc_co_u32_e32 v34, vcc, v19, v26, vcc
	v_add_co_u32_e32 v13, vcc, s12, v13
	v_addc_co_u32_e32 v14, vcc, v19, v14, vcc
	v_add_u32_e32 v16, 16, v16
	s_waitcnt vmcnt(1)
	v_subrev_u32_e32 v17, s2, v17
	v_mul_lo_u32 v29, v17, 7
	v_lshlrev_b64 v[25:26], 3, v[29:30]
	v_add_co_u32_e32 v30, vcc, s14, v25
	v_addc_co_u32_e32 v31, vcc, v20, v26, vcc
	global_load_dwordx4 v[25:28], v[33:34], off
	global_load_dwordx2 v[35:36], v[30:31], off
	s_waitcnt vmcnt(0)
	v_fma_f64 v[21:22], v[21:22], v[35:36], v[8:9]
	v_fma_f64 v[23:24], v[23:24], v[35:36], v[10:11]
	global_load_dwordx4 v[8:11], v[13:14], off
	v_add_u32_e32 v14, 1, v29
	v_lshlrev_b64 v[30:31], 3, v[14:15]
	v_add_u32_e32 v14, -8, v12
	v_add_co_u32_e32 v30, vcc, s14, v30
	v_addc_co_u32_e32 v31, vcc, v20, v31, vcc
	global_load_dwordx2 v[30:31], v[30:31], off
	v_lshlrev_b64 v[32:33], 3, v[14:15]
	v_add_u32_e32 v14, 2, v29
	s_waitcnt vmcnt(0)
	v_fma_f64 v[21:22], v[8:9], v[30:31], v[21:22]
	v_fma_f64 v[23:24], v[10:11], v[30:31], v[23:24]
	v_lshlrev_b64 v[8:9], 3, v[14:15]
	v_add_co_u32_e32 v30, vcc, s12, v32
	v_addc_co_u32_e32 v31, vcc, v19, v33, vcc
	v_add_co_u32_e32 v34, vcc, s14, v8
	v_addc_co_u32_e32 v35, vcc, v20, v9, vcc
	global_load_dwordx4 v[8:11], v[30:31], off
	global_load_dwordx2 v[36:37], v[34:35], off
	v_add_u32_e32 v14, -6, v12
	v_lshlrev_b64 v[32:33], 3, v[14:15]
	v_add_u32_e32 v14, 3, v29
	v_add_co_u32_e32 v30, vcc, s12, v32
	v_addc_co_u32_e32 v31, vcc, v19, v33, vcc
	s_waitcnt vmcnt(0)
	v_fma_f64 v[21:22], v[8:9], v[36:37], v[21:22]
	v_lshlrev_b64 v[8:9], 3, v[14:15]
	v_fma_f64 v[23:24], v[10:11], v[36:37], v[23:24]
	v_add_co_u32_e32 v34, vcc, s14, v8
	v_addc_co_u32_e32 v35, vcc, v20, v9, vcc
	global_load_dwordx4 v[8:11], v[30:31], off
	global_load_dwordx2 v[36:37], v[34:35], off
	v_add_u32_e32 v14, -4, v12
	v_lshlrev_b64 v[32:33], 3, v[14:15]
	v_add_u32_e32 v14, 4, v29
	v_add_co_u32_e32 v30, vcc, s12, v32
	v_addc_co_u32_e32 v31, vcc, v19, v33, vcc
	s_waitcnt vmcnt(0)
	v_fma_f64 v[21:22], v[8:9], v[36:37], v[21:22]
	v_lshlrev_b64 v[8:9], 3, v[14:15]
	v_fma_f64 v[23:24], v[10:11], v[36:37], v[23:24]
	v_add_co_u32_e32 v34, vcc, s14, v8
	v_addc_co_u32_e32 v35, vcc, v20, v9, vcc
	global_load_dwordx4 v[8:11], v[30:31], off
	global_load_dwordx2 v[36:37], v[34:35], off
	v_add_u32_e32 v14, -2, v12
	v_lshlrev_b64 v[32:33], 3, v[14:15]
	v_add_u32_e32 v14, 5, v29
	v_add_co_u32_e32 v13, vcc, s12, v32
	v_add_u32_e32 v12, 0xe0, v12
	s_waitcnt vmcnt(0)
	v_fma_f64 v[21:22], v[8:9], v[36:37], v[21:22]
	v_lshlrev_b64 v[8:9], 3, v[14:15]
	v_addc_co_u32_e32 v14, vcc, v19, v33, vcc
	v_add_co_u32_e32 v30, vcc, s14, v8
	v_fma_f64 v[23:24], v[10:11], v[36:37], v[23:24]
	v_addc_co_u32_e32 v31, vcc, v20, v9, vcc
	global_load_dwordx4 v[8:11], v[13:14], off
	global_load_dwordx2 v[32:33], v[30:31], off
	v_add_u32_e32 v14, 6, v29
	v_lshlrev_b64 v[13:14], 3, v[14:15]
	v_add_co_u32_e32 v13, vcc, s14, v13
	v_addc_co_u32_e32 v14, vcc, v20, v14, vcc
	global_load_dwordx2 v[13:14], v[13:14], off
	v_cmp_ge_i32_e32 vcc, v16, v18
	s_or_b64 s[8:9], vcc, s[8:9]
	s_waitcnt vmcnt(1)
	v_fma_f64 v[8:9], v[8:9], v[32:33], v[21:22]
	v_fma_f64 v[10:11], v[10:11], v[32:33], v[23:24]
	s_waitcnt vmcnt(0)
	v_fma_f64 v[8:9], v[25:26], v[13:14], v[8:9]
	v_fma_f64 v[10:11], v[27:28], v[13:14], v[10:11]
	s_andn2_b64 exec, exec, s[8:9]
	s_cbranch_execnz .LBB103_9
; %bb.10:
	s_or_b64 exec, exec, s[8:9]
.LBB103_11:
	s_or_b64 exec, exec, s[6:7]
	s_cbranch_execz .LBB103_13
	s_branch .LBB103_18
.LBB103_12:
                                        ; implicit-def: $vgpr8_vgpr9
                                        ; implicit-def: $vgpr10_vgpr11
.LBB103_13:
	v_mov_b32_e32 v8, 0
	v_mov_b32_e32 v10, 0
	v_mov_b32_e32 v9, 0
	v_mov_b32_e32 v11, 0
	s_and_saveexec_b64 s[6:7], s[0:1]
	s_cbranch_execz .LBB103_17
; %bb.14:
	v_mad_u64_u32 v[12:13], s[0:1], v6, 14, 13
	v_mov_b32_e32 v8, 0
	v_mov_b32_e32 v10, 0
	;; [unrolled: 1-line block ×3, first 2 shown]
	s_mov_b64 s[0:1], 0
	v_mov_b32_e32 v16, s11
	v_mov_b32_e32 v15, 0
	;; [unrolled: 1-line block ×5, first 2 shown]
.LBB103_15:                             ; =>This Inner Loop Header: Depth=1
	v_ashrrev_i32_e32 v7, 31, v6
	v_lshlrev_b64 v[22:23], 2, v[6:7]
	v_add_u32_e32 v14, -13, v12
	v_add_co_u32_e32 v22, vcc, s10, v22
	v_addc_co_u32_e32 v23, vcc, v16, v23, vcc
	global_load_dword v7, v[22:23], off
	v_lshlrev_b64 v[24:25], 3, v[14:15]
	v_add_u32_e32 v20, -6, v12
	v_mov_b32_e32 v21, v15
	v_lshlrev_b64 v[20:21], 3, v[20:21]
	v_add_co_u32_e32 v24, vcc, s12, v24
	v_mov_b32_e32 v13, v15
	v_addc_co_u32_e32 v25, vcc, v17, v25, vcc
	v_lshlrev_b64 v[13:14], 3, v[12:13]
	v_add_co_u32_e32 v20, vcc, s12, v20
	v_addc_co_u32_e32 v21, vcc, v17, v21, vcc
	v_add_co_u32_e32 v26, vcc, s12, v13
	v_addc_co_u32_e32 v27, vcc, v17, v14, vcc
	v_mov_b32_e32 v14, v15
	v_add_u32_e32 v6, 16, v6
	s_waitcnt vmcnt(0)
	v_subrev_u32_e32 v7, s2, v7
	v_mul_lo_u32 v13, v7, 7
	v_lshlrev_b64 v[22:23], 3, v[13:14]
	v_add_u32_e32 v14, 1, v13
	v_add_co_u32_e32 v22, vcc, s14, v22
	v_addc_co_u32_e32 v23, vcc, v19, v23, vcc
	global_load_dwordx2 v[30:31], v[20:21], off
	global_load_dwordx2 v[32:33], v[22:23], off
	v_lshlrev_b64 v[28:29], 3, v[14:15]
	global_load_dwordx4 v[20:23], v[24:25], off
	v_add_co_u32_e32 v28, vcc, s14, v28
	v_addc_co_u32_e32 v29, vcc, v19, v29, vcc
	v_add_u32_e32 v14, -5, v12
	s_waitcnt vmcnt(1)
	v_fma_f64 v[10:11], v[30:31], v[32:33], v[10:11]
	s_waitcnt vmcnt(0)
	v_fma_f64 v[7:8], v[20:21], v[32:33], v[8:9]
	global_load_dwordx2 v[20:21], v[28:29], off
	s_waitcnt vmcnt(0)
	v_fma_f64 v[7:8], v[22:23], v[20:21], v[7:8]
	v_lshlrev_b64 v[22:23], 3, v[14:15]
	v_add_u32_e32 v14, -11, v12
	v_add_co_u32_e32 v22, vcc, s12, v22
	v_lshlrev_b64 v[24:25], 3, v[14:15]
	v_addc_co_u32_e32 v23, vcc, v17, v23, vcc
	v_add_co_u32_e32 v24, vcc, s12, v24
	v_addc_co_u32_e32 v25, vcc, v17, v25, vcc
	global_load_dwordx2 v[28:29], v[22:23], off
	global_load_dwordx2 v[30:31], v[24:25], off
	v_add_u32_e32 v14, 2, v13
	s_waitcnt vmcnt(1)
	v_fma_f64 v[9:10], v[28:29], v[20:21], v[10:11]
	v_lshlrev_b64 v[20:21], 3, v[14:15]
	v_add_u32_e32 v14, -4, v12
	v_add_co_u32_e32 v20, vcc, s14, v20
	v_addc_co_u32_e32 v21, vcc, v19, v21, vcc
	global_load_dwordx2 v[20:21], v[20:21], off
	v_lshlrev_b64 v[22:23], 3, v[14:15]
	v_add_u32_e32 v14, -10, v12
	v_add_co_u32_e32 v22, vcc, s12, v22
	v_lshlrev_b64 v[24:25], 3, v[14:15]
	v_addc_co_u32_e32 v23, vcc, v17, v23, vcc
	v_add_co_u32_e32 v24, vcc, s12, v24
	v_addc_co_u32_e32 v25, vcc, v17, v25, vcc
	v_add_u32_e32 v14, 3, v13
	s_waitcnt vmcnt(0)
	v_fma_f64 v[7:8], v[30:31], v[20:21], v[7:8]
	global_load_dwordx2 v[28:29], v[22:23], off
	global_load_dwordx2 v[30:31], v[24:25], off
	s_waitcnt vmcnt(1)
	v_fma_f64 v[9:10], v[28:29], v[20:21], v[9:10]
	v_lshlrev_b64 v[20:21], 3, v[14:15]
	v_add_u32_e32 v14, -3, v12
	v_add_co_u32_e32 v20, vcc, s14, v20
	v_addc_co_u32_e32 v21, vcc, v19, v21, vcc
	global_load_dwordx2 v[20:21], v[20:21], off
	v_lshlrev_b64 v[22:23], 3, v[14:15]
	v_add_u32_e32 v14, -9, v12
	v_add_co_u32_e32 v22, vcc, s12, v22
	v_lshlrev_b64 v[24:25], 3, v[14:15]
	v_addc_co_u32_e32 v23, vcc, v17, v23, vcc
	v_add_co_u32_e32 v24, vcc, s12, v24
	v_addc_co_u32_e32 v25, vcc, v17, v25, vcc
	v_add_u32_e32 v14, 4, v13
	s_waitcnt vmcnt(0)
	v_fma_f64 v[7:8], v[30:31], v[20:21], v[7:8]
	global_load_dwordx2 v[28:29], v[22:23], off
	global_load_dwordx2 v[30:31], v[24:25], off
	;; [unrolled: 19-line block ×3, first 2 shown]
	s_waitcnt vmcnt(1)
	v_fma_f64 v[9:10], v[28:29], v[20:21], v[9:10]
	v_lshlrev_b64 v[20:21], 3, v[14:15]
	v_add_u32_e32 v14, -1, v12
	v_add_co_u32_e32 v20, vcc, s14, v20
	v_addc_co_u32_e32 v21, vcc, v19, v21, vcc
	global_load_dwordx2 v[20:21], v[20:21], off
	v_lshlrev_b64 v[22:23], 3, v[14:15]
	v_add_u32_e32 v14, -7, v12
	v_lshlrev_b64 v[24:25], 3, v[14:15]
	v_add_co_u32_e32 v22, vcc, s12, v22
	v_add_u32_e32 v14, 6, v13
	v_addc_co_u32_e32 v23, vcc, v17, v23, vcc
	v_add_co_u32_e32 v24, vcc, s12, v24
	v_lshlrev_b64 v[13:14], 3, v[14:15]
	v_addc_co_u32_e32 v25, vcc, v17, v25, vcc
	v_add_co_u32_e32 v13, vcc, s14, v13
	v_addc_co_u32_e32 v14, vcc, v19, v14, vcc
	v_cmp_ge_i32_e32 vcc, v6, v18
	s_or_b64 s[0:1], vcc, s[0:1]
	v_add_u32_e32 v12, 0xe0, v12
	s_waitcnt vmcnt(0)
	v_fma_f64 v[7:8], v[30:31], v[20:21], v[7:8]
	global_load_dwordx2 v[28:29], v[22:23], off
	global_load_dwordx2 v[30:31], v[26:27], off
	;; [unrolled: 1-line block ×4, first 2 shown]
	s_waitcnt vmcnt(3)
	v_fma_f64 v[10:11], v[28:29], v[20:21], v[9:10]
	s_waitcnt vmcnt(0)
	v_fma_f64 v[8:9], v[32:33], v[34:35], v[7:8]
	v_fma_f64 v[10:11], v[30:31], v[34:35], v[10:11]
	s_andn2_b64 exec, exec, s[0:1]
	s_cbranch_execnz .LBB103_15
; %bb.16:
	s_or_b64 exec, exec, s[0:1]
.LBB103_17:
	s_or_b64 exec, exec, s[6:7]
.LBB103_18:
	v_mov_b32_dpp v6, v8 row_shr:1 row_mask:0xf bank_mask:0xf
	v_mov_b32_dpp v7, v9 row_shr:1 row_mask:0xf bank_mask:0xf
	v_add_f64 v[6:7], v[8:9], v[6:7]
	v_mov_b32_dpp v8, v10 row_shr:1 row_mask:0xf bank_mask:0xf
	v_mov_b32_dpp v9, v11 row_shr:1 row_mask:0xf bank_mask:0xf
	v_add_f64 v[8:9], v[10:11], v[8:9]
	v_cmp_eq_u32_e32 vcc, 15, v0
	v_mov_b32_dpp v10, v6 row_shr:2 row_mask:0xf bank_mask:0xf
	v_mov_b32_dpp v11, v7 row_shr:2 row_mask:0xf bank_mask:0xf
	v_add_f64 v[6:7], v[6:7], v[10:11]
	v_mov_b32_dpp v12, v8 row_shr:2 row_mask:0xf bank_mask:0xf
	v_mov_b32_dpp v13, v9 row_shr:2 row_mask:0xf bank_mask:0xf
	v_add_f64 v[8:9], v[8:9], v[12:13]
	;; [unrolled: 3-line block ×4, first 2 shown]
	v_mov_b32_dpp v8, v6 row_shr:8 row_mask:0xf bank_mask:0xc
	v_mov_b32_dpp v9, v7 row_shr:8 row_mask:0xf bank_mask:0xc
	;; [unrolled: 1-line block ×4, first 2 shown]
	s_and_b64 exec, exec, vcc
	s_cbranch_execz .LBB103_23
; %bb.19:
	v_add_f64 v[8:9], v[6:7], v[8:9]
	v_add_f64 v[6:7], v[10:11], v[12:13]
	v_cmp_eq_f64_e32 vcc, 0, v[3:4]
	s_load_dwordx2 s[0:1], s[4:5], 0x38
	s_and_saveexec_b64 s[2:3], vcc
	s_xor_b64 s[2:3], exec, s[2:3]
	s_cbranch_execz .LBB103_21
; %bb.20:
	v_mul_f64 v[3:4], v[1:2], v[8:9]
	v_lshlrev_b32_e32 v0, 1, v5
	v_mul_f64 v[5:6], v[1:2], v[6:7]
	v_ashrrev_i32_e32 v1, 31, v0
	v_lshlrev_b64 v[0:1], 3, v[0:1]
	s_waitcnt lgkmcnt(0)
	v_mov_b32_e32 v2, s1
	v_add_co_u32_e32 v0, vcc, s0, v0
	v_addc_co_u32_e32 v1, vcc, v2, v1, vcc
	global_store_dwordx4 v[0:1], v[3:6], off
                                        ; implicit-def: $vgpr5
                                        ; implicit-def: $vgpr1_vgpr2
                                        ; implicit-def: $vgpr8_vgpr9
                                        ; implicit-def: $vgpr3_vgpr4
                                        ; implicit-def: $vgpr6_vgpr7
.LBB103_21:
	s_andn2_saveexec_b64 s[2:3], s[2:3]
	s_cbranch_execz .LBB103_23
; %bb.22:
	v_lshlrev_b32_e32 v10, 1, v5
	v_ashrrev_i32_e32 v11, 31, v10
	v_lshlrev_b64 v[10:11], 3, v[10:11]
	s_waitcnt lgkmcnt(0)
	v_mov_b32_e32 v0, s1
	v_add_co_u32_e32 v14, vcc, s0, v10
	v_addc_co_u32_e32 v15, vcc, v0, v11, vcc
	global_load_dwordx4 v[10:13], v[14:15], off
	v_mul_f64 v[8:9], v[1:2], v[8:9]
	v_mul_f64 v[5:6], v[1:2], v[6:7]
	s_waitcnt vmcnt(0)
	v_fma_f64 v[0:1], v[3:4], v[10:11], v[8:9]
	v_fma_f64 v[2:3], v[3:4], v[12:13], v[5:6]
	global_store_dwordx4 v[14:15], v[0:3], off
.LBB103_23:
	s_endpgm
	.section	.rodata,"a",@progbits
	.p2align	6, 0x0
	.amdhsa_kernel _ZN9rocsparseL19gebsrmvn_2xn_kernelILj128ELj7ELj16EdEEvi20rocsparse_direction_NS_24const_host_device_scalarIT2_EEPKiS6_PKS3_S8_S4_PS3_21rocsparse_index_base_b
		.amdhsa_group_segment_fixed_size 0
		.amdhsa_private_segment_fixed_size 0
		.amdhsa_kernarg_size 72
		.amdhsa_user_sgpr_count 6
		.amdhsa_user_sgpr_private_segment_buffer 1
		.amdhsa_user_sgpr_dispatch_ptr 0
		.amdhsa_user_sgpr_queue_ptr 0
		.amdhsa_user_sgpr_kernarg_segment_ptr 1
		.amdhsa_user_sgpr_dispatch_id 0
		.amdhsa_user_sgpr_flat_scratch_init 0
		.amdhsa_user_sgpr_private_segment_size 0
		.amdhsa_uses_dynamic_stack 0
		.amdhsa_system_sgpr_private_segment_wavefront_offset 0
		.amdhsa_system_sgpr_workgroup_id_x 1
		.amdhsa_system_sgpr_workgroup_id_y 0
		.amdhsa_system_sgpr_workgroup_id_z 0
		.amdhsa_system_sgpr_workgroup_info 0
		.amdhsa_system_vgpr_workitem_id 0
		.amdhsa_next_free_vgpr 38
		.amdhsa_next_free_sgpr 16
		.amdhsa_reserve_vcc 1
		.amdhsa_reserve_flat_scratch 0
		.amdhsa_float_round_mode_32 0
		.amdhsa_float_round_mode_16_64 0
		.amdhsa_float_denorm_mode_32 3
		.amdhsa_float_denorm_mode_16_64 3
		.amdhsa_dx10_clamp 1
		.amdhsa_ieee_mode 1
		.amdhsa_fp16_overflow 0
		.amdhsa_exception_fp_ieee_invalid_op 0
		.amdhsa_exception_fp_denorm_src 0
		.amdhsa_exception_fp_ieee_div_zero 0
		.amdhsa_exception_fp_ieee_overflow 0
		.amdhsa_exception_fp_ieee_underflow 0
		.amdhsa_exception_fp_ieee_inexact 0
		.amdhsa_exception_int_div_zero 0
	.end_amdhsa_kernel
	.section	.text._ZN9rocsparseL19gebsrmvn_2xn_kernelILj128ELj7ELj16EdEEvi20rocsparse_direction_NS_24const_host_device_scalarIT2_EEPKiS6_PKS3_S8_S4_PS3_21rocsparse_index_base_b,"axG",@progbits,_ZN9rocsparseL19gebsrmvn_2xn_kernelILj128ELj7ELj16EdEEvi20rocsparse_direction_NS_24const_host_device_scalarIT2_EEPKiS6_PKS3_S8_S4_PS3_21rocsparse_index_base_b,comdat
.Lfunc_end103:
	.size	_ZN9rocsparseL19gebsrmvn_2xn_kernelILj128ELj7ELj16EdEEvi20rocsparse_direction_NS_24const_host_device_scalarIT2_EEPKiS6_PKS3_S8_S4_PS3_21rocsparse_index_base_b, .Lfunc_end103-_ZN9rocsparseL19gebsrmvn_2xn_kernelILj128ELj7ELj16EdEEvi20rocsparse_direction_NS_24const_host_device_scalarIT2_EEPKiS6_PKS3_S8_S4_PS3_21rocsparse_index_base_b
                                        ; -- End function
	.set _ZN9rocsparseL19gebsrmvn_2xn_kernelILj128ELj7ELj16EdEEvi20rocsparse_direction_NS_24const_host_device_scalarIT2_EEPKiS6_PKS3_S8_S4_PS3_21rocsparse_index_base_b.num_vgpr, 38
	.set _ZN9rocsparseL19gebsrmvn_2xn_kernelILj128ELj7ELj16EdEEvi20rocsparse_direction_NS_24const_host_device_scalarIT2_EEPKiS6_PKS3_S8_S4_PS3_21rocsparse_index_base_b.num_agpr, 0
	.set _ZN9rocsparseL19gebsrmvn_2xn_kernelILj128ELj7ELj16EdEEvi20rocsparse_direction_NS_24const_host_device_scalarIT2_EEPKiS6_PKS3_S8_S4_PS3_21rocsparse_index_base_b.numbered_sgpr, 16
	.set _ZN9rocsparseL19gebsrmvn_2xn_kernelILj128ELj7ELj16EdEEvi20rocsparse_direction_NS_24const_host_device_scalarIT2_EEPKiS6_PKS3_S8_S4_PS3_21rocsparse_index_base_b.num_named_barrier, 0
	.set _ZN9rocsparseL19gebsrmvn_2xn_kernelILj128ELj7ELj16EdEEvi20rocsparse_direction_NS_24const_host_device_scalarIT2_EEPKiS6_PKS3_S8_S4_PS3_21rocsparse_index_base_b.private_seg_size, 0
	.set _ZN9rocsparseL19gebsrmvn_2xn_kernelILj128ELj7ELj16EdEEvi20rocsparse_direction_NS_24const_host_device_scalarIT2_EEPKiS6_PKS3_S8_S4_PS3_21rocsparse_index_base_b.uses_vcc, 1
	.set _ZN9rocsparseL19gebsrmvn_2xn_kernelILj128ELj7ELj16EdEEvi20rocsparse_direction_NS_24const_host_device_scalarIT2_EEPKiS6_PKS3_S8_S4_PS3_21rocsparse_index_base_b.uses_flat_scratch, 0
	.set _ZN9rocsparseL19gebsrmvn_2xn_kernelILj128ELj7ELj16EdEEvi20rocsparse_direction_NS_24const_host_device_scalarIT2_EEPKiS6_PKS3_S8_S4_PS3_21rocsparse_index_base_b.has_dyn_sized_stack, 0
	.set _ZN9rocsparseL19gebsrmvn_2xn_kernelILj128ELj7ELj16EdEEvi20rocsparse_direction_NS_24const_host_device_scalarIT2_EEPKiS6_PKS3_S8_S4_PS3_21rocsparse_index_base_b.has_recursion, 0
	.set _ZN9rocsparseL19gebsrmvn_2xn_kernelILj128ELj7ELj16EdEEvi20rocsparse_direction_NS_24const_host_device_scalarIT2_EEPKiS6_PKS3_S8_S4_PS3_21rocsparse_index_base_b.has_indirect_call, 0
	.section	.AMDGPU.csdata,"",@progbits
; Kernel info:
; codeLenInByte = 2196
; TotalNumSgprs: 20
; NumVgprs: 38
; ScratchSize: 0
; MemoryBound: 0
; FloatMode: 240
; IeeeMode: 1
; LDSByteSize: 0 bytes/workgroup (compile time only)
; SGPRBlocks: 2
; VGPRBlocks: 9
; NumSGPRsForWavesPerEU: 20
; NumVGPRsForWavesPerEU: 38
; Occupancy: 6
; WaveLimiterHint : 1
; COMPUTE_PGM_RSRC2:SCRATCH_EN: 0
; COMPUTE_PGM_RSRC2:USER_SGPR: 6
; COMPUTE_PGM_RSRC2:TRAP_HANDLER: 0
; COMPUTE_PGM_RSRC2:TGID_X_EN: 1
; COMPUTE_PGM_RSRC2:TGID_Y_EN: 0
; COMPUTE_PGM_RSRC2:TGID_Z_EN: 0
; COMPUTE_PGM_RSRC2:TIDIG_COMP_CNT: 0
	.section	.text._ZN9rocsparseL19gebsrmvn_2xn_kernelILj128ELj7ELj32EdEEvi20rocsparse_direction_NS_24const_host_device_scalarIT2_EEPKiS6_PKS3_S8_S4_PS3_21rocsparse_index_base_b,"axG",@progbits,_ZN9rocsparseL19gebsrmvn_2xn_kernelILj128ELj7ELj32EdEEvi20rocsparse_direction_NS_24const_host_device_scalarIT2_EEPKiS6_PKS3_S8_S4_PS3_21rocsparse_index_base_b,comdat
	.globl	_ZN9rocsparseL19gebsrmvn_2xn_kernelILj128ELj7ELj32EdEEvi20rocsparse_direction_NS_24const_host_device_scalarIT2_EEPKiS6_PKS3_S8_S4_PS3_21rocsparse_index_base_b ; -- Begin function _ZN9rocsparseL19gebsrmvn_2xn_kernelILj128ELj7ELj32EdEEvi20rocsparse_direction_NS_24const_host_device_scalarIT2_EEPKiS6_PKS3_S8_S4_PS3_21rocsparse_index_base_b
	.p2align	8
	.type	_ZN9rocsparseL19gebsrmvn_2xn_kernelILj128ELj7ELj32EdEEvi20rocsparse_direction_NS_24const_host_device_scalarIT2_EEPKiS6_PKS3_S8_S4_PS3_21rocsparse_index_base_b,@function
_ZN9rocsparseL19gebsrmvn_2xn_kernelILj128ELj7ELj32EdEEvi20rocsparse_direction_NS_24const_host_device_scalarIT2_EEPKiS6_PKS3_S8_S4_PS3_21rocsparse_index_base_b: ; @_ZN9rocsparseL19gebsrmvn_2xn_kernelILj128ELj7ELj32EdEEvi20rocsparse_direction_NS_24const_host_device_scalarIT2_EEPKiS6_PKS3_S8_S4_PS3_21rocsparse_index_base_b
; %bb.0:
	s_load_dwordx2 s[2:3], s[4:5], 0x40
	s_load_dwordx2 s[10:11], s[4:5], 0x8
	;; [unrolled: 1-line block ×3, first 2 shown]
	s_waitcnt lgkmcnt(0)
	s_bitcmp1_b32 s3, 0
	s_cselect_b64 s[12:13], -1, 0
	v_mov_b32_e32 v1, s10
	s_xor_b64 s[8:9], s[12:13], -1
	s_and_b64 vcc, exec, s[12:13]
	v_mov_b32_e32 v2, s11
	s_cbranch_vccnz .LBB104_2
; %bb.1:
	v_mov_b32_e32 v1, s10
	v_mov_b32_e32 v2, s11
	flat_load_dwordx2 v[1:2], v[1:2]
.LBB104_2:
	v_mov_b32_e32 v4, s1
	s_andn2_b64 vcc, exec, s[8:9]
	v_mov_b32_e32 v3, s0
	s_cbranch_vccnz .LBB104_4
; %bb.3:
	v_mov_b32_e32 v4, s1
	v_mov_b32_e32 v3, s0
	flat_load_dwordx2 v[3:4], v[3:4]
.LBB104_4:
	s_waitcnt vmcnt(0) lgkmcnt(0)
	v_cmp_neq_f64_e32 vcc, 0, v[1:2]
	v_cmp_neq_f64_e64 s[0:1], 1.0, v[3:4]
	s_or_b64 s[0:1], vcc, s[0:1]
	s_and_saveexec_b64 s[8:9], s[0:1]
	s_cbranch_execz .LBB104_23
; %bb.5:
	s_load_dwordx2 s[0:1], s[4:5], 0x0
	v_lshrrev_b32_e32 v5, 5, v0
	v_lshl_or_b32 v5, s6, 2, v5
	s_waitcnt lgkmcnt(0)
	v_cmp_gt_i32_e32 vcc, s0, v5
	s_and_b64 exec, exec, vcc
	s_cbranch_execz .LBB104_23
; %bb.6:
	s_load_dwordx8 s[8:15], s[4:5], 0x10
	v_ashrrev_i32_e32 v6, 31, v5
	v_lshlrev_b64 v[6:7], 2, v[5:6]
	v_and_b32_e32 v0, 31, v0
	s_cmp_lg_u32 s1, 0
	s_waitcnt lgkmcnt(0)
	v_mov_b32_e32 v8, s9
	v_add_co_u32_e32 v6, vcc, s8, v6
	v_addc_co_u32_e32 v7, vcc, v8, v7, vcc
	global_load_dwordx2 v[6:7], v[6:7], off
	s_waitcnt vmcnt(0)
	v_subrev_u32_e32 v6, s2, v6
	v_subrev_u32_e32 v18, s2, v7
	v_add_u32_e32 v6, v6, v0
	v_cmp_lt_i32_e64 s[0:1], v6, v18
	s_cbranch_scc0 .LBB104_12
; %bb.7:
	v_mov_b32_e32 v8, 0
	v_mov_b32_e32 v10, 0
	v_mov_b32_e32 v9, 0
	v_mov_b32_e32 v11, 0
	s_and_saveexec_b64 s[6:7], s[0:1]
	s_cbranch_execz .LBB104_11
; %bb.8:
	v_mad_u64_u32 v[12:13], s[8:9], v6, 14, 12
	v_mov_b32_e32 v8, 0
	v_mov_b32_e32 v10, 0
	;; [unrolled: 1-line block ×3, first 2 shown]
	s_mov_b64 s[8:9], 0
	v_mov_b32_e32 v7, s11
	v_mov_b32_e32 v15, 0
	;; [unrolled: 1-line block ×6, first 2 shown]
.LBB104_9:                              ; =>This Inner Loop Header: Depth=1
	v_ashrrev_i32_e32 v17, 31, v16
	v_lshlrev_b64 v[21:22], 2, v[16:17]
	v_add_u32_e32 v14, -12, v12
	v_lshlrev_b64 v[23:24], 3, v[14:15]
	v_add_co_u32_e32 v27, vcc, s10, v21
	v_addc_co_u32_e32 v28, vcc, v7, v22, vcc
	v_add_co_u32_e32 v31, vcc, s12, v23
	v_addc_co_u32_e32 v32, vcc, v19, v24, vcc
	global_load_dword v17, v[27:28], off
	global_load_dwordx4 v[21:24], v[31:32], off
	v_mov_b32_e32 v13, v15
	v_lshlrev_b64 v[25:26], 3, v[12:13]
	v_add_u32_e32 v14, -10, v12
	v_lshlrev_b64 v[13:14], 3, v[14:15]
	v_add_co_u32_e32 v33, vcc, s12, v25
	v_mov_b32_e32 v30, v15
	v_addc_co_u32_e32 v34, vcc, v19, v26, vcc
	v_add_co_u32_e32 v13, vcc, s12, v13
	v_addc_co_u32_e32 v14, vcc, v19, v14, vcc
	v_add_u32_e32 v16, 32, v16
	s_waitcnt vmcnt(1)
	v_subrev_u32_e32 v17, s2, v17
	v_mul_lo_u32 v29, v17, 7
	v_lshlrev_b64 v[25:26], 3, v[29:30]
	v_add_co_u32_e32 v30, vcc, s14, v25
	v_addc_co_u32_e32 v31, vcc, v20, v26, vcc
	global_load_dwordx4 v[25:28], v[33:34], off
	global_load_dwordx2 v[35:36], v[30:31], off
	s_waitcnt vmcnt(0)
	v_fma_f64 v[21:22], v[21:22], v[35:36], v[8:9]
	v_fma_f64 v[23:24], v[23:24], v[35:36], v[10:11]
	global_load_dwordx4 v[8:11], v[13:14], off
	v_add_u32_e32 v14, 1, v29
	v_lshlrev_b64 v[30:31], 3, v[14:15]
	v_add_u32_e32 v14, -8, v12
	v_add_co_u32_e32 v30, vcc, s14, v30
	v_addc_co_u32_e32 v31, vcc, v20, v31, vcc
	global_load_dwordx2 v[30:31], v[30:31], off
	v_lshlrev_b64 v[32:33], 3, v[14:15]
	v_add_u32_e32 v14, 2, v29
	s_waitcnt vmcnt(0)
	v_fma_f64 v[21:22], v[8:9], v[30:31], v[21:22]
	v_fma_f64 v[23:24], v[10:11], v[30:31], v[23:24]
	v_lshlrev_b64 v[8:9], 3, v[14:15]
	v_add_co_u32_e32 v30, vcc, s12, v32
	v_addc_co_u32_e32 v31, vcc, v19, v33, vcc
	v_add_co_u32_e32 v34, vcc, s14, v8
	v_addc_co_u32_e32 v35, vcc, v20, v9, vcc
	global_load_dwordx4 v[8:11], v[30:31], off
	global_load_dwordx2 v[36:37], v[34:35], off
	v_add_u32_e32 v14, -6, v12
	v_lshlrev_b64 v[32:33], 3, v[14:15]
	v_add_u32_e32 v14, 3, v29
	v_add_co_u32_e32 v30, vcc, s12, v32
	v_addc_co_u32_e32 v31, vcc, v19, v33, vcc
	s_waitcnt vmcnt(0)
	v_fma_f64 v[21:22], v[8:9], v[36:37], v[21:22]
	v_lshlrev_b64 v[8:9], 3, v[14:15]
	v_fma_f64 v[23:24], v[10:11], v[36:37], v[23:24]
	v_add_co_u32_e32 v34, vcc, s14, v8
	v_addc_co_u32_e32 v35, vcc, v20, v9, vcc
	global_load_dwordx4 v[8:11], v[30:31], off
	global_load_dwordx2 v[36:37], v[34:35], off
	v_add_u32_e32 v14, -4, v12
	v_lshlrev_b64 v[32:33], 3, v[14:15]
	v_add_u32_e32 v14, 4, v29
	v_add_co_u32_e32 v30, vcc, s12, v32
	v_addc_co_u32_e32 v31, vcc, v19, v33, vcc
	s_waitcnt vmcnt(0)
	v_fma_f64 v[21:22], v[8:9], v[36:37], v[21:22]
	v_lshlrev_b64 v[8:9], 3, v[14:15]
	v_fma_f64 v[23:24], v[10:11], v[36:37], v[23:24]
	v_add_co_u32_e32 v34, vcc, s14, v8
	v_addc_co_u32_e32 v35, vcc, v20, v9, vcc
	global_load_dwordx4 v[8:11], v[30:31], off
	global_load_dwordx2 v[36:37], v[34:35], off
	v_add_u32_e32 v14, -2, v12
	v_lshlrev_b64 v[32:33], 3, v[14:15]
	v_add_u32_e32 v14, 5, v29
	v_add_co_u32_e32 v13, vcc, s12, v32
	v_add_u32_e32 v12, 0x1c0, v12
	s_waitcnt vmcnt(0)
	v_fma_f64 v[21:22], v[8:9], v[36:37], v[21:22]
	v_lshlrev_b64 v[8:9], 3, v[14:15]
	v_addc_co_u32_e32 v14, vcc, v19, v33, vcc
	v_add_co_u32_e32 v30, vcc, s14, v8
	v_fma_f64 v[23:24], v[10:11], v[36:37], v[23:24]
	v_addc_co_u32_e32 v31, vcc, v20, v9, vcc
	global_load_dwordx4 v[8:11], v[13:14], off
	global_load_dwordx2 v[32:33], v[30:31], off
	v_add_u32_e32 v14, 6, v29
	v_lshlrev_b64 v[13:14], 3, v[14:15]
	v_add_co_u32_e32 v13, vcc, s14, v13
	v_addc_co_u32_e32 v14, vcc, v20, v14, vcc
	global_load_dwordx2 v[13:14], v[13:14], off
	v_cmp_ge_i32_e32 vcc, v16, v18
	s_or_b64 s[8:9], vcc, s[8:9]
	s_waitcnt vmcnt(1)
	v_fma_f64 v[8:9], v[8:9], v[32:33], v[21:22]
	v_fma_f64 v[10:11], v[10:11], v[32:33], v[23:24]
	s_waitcnt vmcnt(0)
	v_fma_f64 v[8:9], v[25:26], v[13:14], v[8:9]
	v_fma_f64 v[10:11], v[27:28], v[13:14], v[10:11]
	s_andn2_b64 exec, exec, s[8:9]
	s_cbranch_execnz .LBB104_9
; %bb.10:
	s_or_b64 exec, exec, s[8:9]
.LBB104_11:
	s_or_b64 exec, exec, s[6:7]
	s_cbranch_execz .LBB104_13
	s_branch .LBB104_18
.LBB104_12:
                                        ; implicit-def: $vgpr8_vgpr9
                                        ; implicit-def: $vgpr10_vgpr11
.LBB104_13:
	v_mov_b32_e32 v8, 0
	v_mov_b32_e32 v10, 0
	;; [unrolled: 1-line block ×4, first 2 shown]
	s_and_saveexec_b64 s[6:7], s[0:1]
	s_cbranch_execz .LBB104_17
; %bb.14:
	v_mad_u64_u32 v[12:13], s[0:1], v6, 14, 13
	v_mov_b32_e32 v8, 0
	v_mov_b32_e32 v10, 0
	;; [unrolled: 1-line block ×3, first 2 shown]
	s_mov_b64 s[0:1], 0
	v_mov_b32_e32 v16, s11
	v_mov_b32_e32 v15, 0
	;; [unrolled: 1-line block ×5, first 2 shown]
.LBB104_15:                             ; =>This Inner Loop Header: Depth=1
	v_ashrrev_i32_e32 v7, 31, v6
	v_lshlrev_b64 v[22:23], 2, v[6:7]
	v_add_u32_e32 v14, -13, v12
	v_add_co_u32_e32 v22, vcc, s10, v22
	v_addc_co_u32_e32 v23, vcc, v16, v23, vcc
	global_load_dword v7, v[22:23], off
	v_lshlrev_b64 v[24:25], 3, v[14:15]
	v_add_u32_e32 v20, -6, v12
	v_mov_b32_e32 v21, v15
	v_lshlrev_b64 v[20:21], 3, v[20:21]
	v_add_co_u32_e32 v24, vcc, s12, v24
	v_mov_b32_e32 v13, v15
	v_addc_co_u32_e32 v25, vcc, v17, v25, vcc
	v_lshlrev_b64 v[13:14], 3, v[12:13]
	v_add_co_u32_e32 v20, vcc, s12, v20
	v_addc_co_u32_e32 v21, vcc, v17, v21, vcc
	v_add_co_u32_e32 v26, vcc, s12, v13
	v_addc_co_u32_e32 v27, vcc, v17, v14, vcc
	v_mov_b32_e32 v14, v15
	v_add_u32_e32 v6, 32, v6
	s_waitcnt vmcnt(0)
	v_subrev_u32_e32 v7, s2, v7
	v_mul_lo_u32 v13, v7, 7
	v_lshlrev_b64 v[22:23], 3, v[13:14]
	v_add_u32_e32 v14, 1, v13
	v_add_co_u32_e32 v22, vcc, s14, v22
	v_addc_co_u32_e32 v23, vcc, v19, v23, vcc
	global_load_dwordx2 v[30:31], v[20:21], off
	global_load_dwordx2 v[32:33], v[22:23], off
	v_lshlrev_b64 v[28:29], 3, v[14:15]
	global_load_dwordx4 v[20:23], v[24:25], off
	v_add_co_u32_e32 v28, vcc, s14, v28
	v_addc_co_u32_e32 v29, vcc, v19, v29, vcc
	v_add_u32_e32 v14, -5, v12
	s_waitcnt vmcnt(1)
	v_fma_f64 v[10:11], v[30:31], v[32:33], v[10:11]
	s_waitcnt vmcnt(0)
	v_fma_f64 v[7:8], v[20:21], v[32:33], v[8:9]
	global_load_dwordx2 v[20:21], v[28:29], off
	s_waitcnt vmcnt(0)
	v_fma_f64 v[7:8], v[22:23], v[20:21], v[7:8]
	v_lshlrev_b64 v[22:23], 3, v[14:15]
	v_add_u32_e32 v14, -11, v12
	v_add_co_u32_e32 v22, vcc, s12, v22
	v_lshlrev_b64 v[24:25], 3, v[14:15]
	v_addc_co_u32_e32 v23, vcc, v17, v23, vcc
	v_add_co_u32_e32 v24, vcc, s12, v24
	v_addc_co_u32_e32 v25, vcc, v17, v25, vcc
	global_load_dwordx2 v[28:29], v[22:23], off
	global_load_dwordx2 v[30:31], v[24:25], off
	v_add_u32_e32 v14, 2, v13
	s_waitcnt vmcnt(1)
	v_fma_f64 v[9:10], v[28:29], v[20:21], v[10:11]
	v_lshlrev_b64 v[20:21], 3, v[14:15]
	v_add_u32_e32 v14, -4, v12
	v_add_co_u32_e32 v20, vcc, s14, v20
	v_addc_co_u32_e32 v21, vcc, v19, v21, vcc
	global_load_dwordx2 v[20:21], v[20:21], off
	v_lshlrev_b64 v[22:23], 3, v[14:15]
	v_add_u32_e32 v14, -10, v12
	v_add_co_u32_e32 v22, vcc, s12, v22
	v_lshlrev_b64 v[24:25], 3, v[14:15]
	v_addc_co_u32_e32 v23, vcc, v17, v23, vcc
	v_add_co_u32_e32 v24, vcc, s12, v24
	v_addc_co_u32_e32 v25, vcc, v17, v25, vcc
	v_add_u32_e32 v14, 3, v13
	s_waitcnt vmcnt(0)
	v_fma_f64 v[7:8], v[30:31], v[20:21], v[7:8]
	global_load_dwordx2 v[28:29], v[22:23], off
	global_load_dwordx2 v[30:31], v[24:25], off
	s_waitcnt vmcnt(1)
	v_fma_f64 v[9:10], v[28:29], v[20:21], v[9:10]
	v_lshlrev_b64 v[20:21], 3, v[14:15]
	v_add_u32_e32 v14, -3, v12
	v_add_co_u32_e32 v20, vcc, s14, v20
	v_addc_co_u32_e32 v21, vcc, v19, v21, vcc
	global_load_dwordx2 v[20:21], v[20:21], off
	v_lshlrev_b64 v[22:23], 3, v[14:15]
	v_add_u32_e32 v14, -9, v12
	v_add_co_u32_e32 v22, vcc, s12, v22
	v_lshlrev_b64 v[24:25], 3, v[14:15]
	v_addc_co_u32_e32 v23, vcc, v17, v23, vcc
	v_add_co_u32_e32 v24, vcc, s12, v24
	v_addc_co_u32_e32 v25, vcc, v17, v25, vcc
	v_add_u32_e32 v14, 4, v13
	s_waitcnt vmcnt(0)
	v_fma_f64 v[7:8], v[30:31], v[20:21], v[7:8]
	global_load_dwordx2 v[28:29], v[22:23], off
	global_load_dwordx2 v[30:31], v[24:25], off
	;; [unrolled: 19-line block ×3, first 2 shown]
	s_waitcnt vmcnt(1)
	v_fma_f64 v[9:10], v[28:29], v[20:21], v[9:10]
	v_lshlrev_b64 v[20:21], 3, v[14:15]
	v_add_u32_e32 v14, -1, v12
	v_add_co_u32_e32 v20, vcc, s14, v20
	v_addc_co_u32_e32 v21, vcc, v19, v21, vcc
	global_load_dwordx2 v[20:21], v[20:21], off
	v_lshlrev_b64 v[22:23], 3, v[14:15]
	v_add_u32_e32 v14, -7, v12
	v_lshlrev_b64 v[24:25], 3, v[14:15]
	v_add_co_u32_e32 v22, vcc, s12, v22
	v_add_u32_e32 v14, 6, v13
	v_addc_co_u32_e32 v23, vcc, v17, v23, vcc
	v_add_co_u32_e32 v24, vcc, s12, v24
	v_lshlrev_b64 v[13:14], 3, v[14:15]
	v_addc_co_u32_e32 v25, vcc, v17, v25, vcc
	v_add_co_u32_e32 v13, vcc, s14, v13
	v_addc_co_u32_e32 v14, vcc, v19, v14, vcc
	v_cmp_ge_i32_e32 vcc, v6, v18
	s_or_b64 s[0:1], vcc, s[0:1]
	v_add_u32_e32 v12, 0x1c0, v12
	s_waitcnt vmcnt(0)
	v_fma_f64 v[7:8], v[30:31], v[20:21], v[7:8]
	global_load_dwordx2 v[28:29], v[22:23], off
	global_load_dwordx2 v[30:31], v[26:27], off
	;; [unrolled: 1-line block ×4, first 2 shown]
	s_waitcnt vmcnt(3)
	v_fma_f64 v[10:11], v[28:29], v[20:21], v[9:10]
	s_waitcnt vmcnt(0)
	v_fma_f64 v[8:9], v[32:33], v[34:35], v[7:8]
	v_fma_f64 v[10:11], v[30:31], v[34:35], v[10:11]
	s_andn2_b64 exec, exec, s[0:1]
	s_cbranch_execnz .LBB104_15
; %bb.16:
	s_or_b64 exec, exec, s[0:1]
.LBB104_17:
	s_or_b64 exec, exec, s[6:7]
.LBB104_18:
	v_mov_b32_dpp v6, v8 row_shr:1 row_mask:0xf bank_mask:0xf
	v_mov_b32_dpp v7, v9 row_shr:1 row_mask:0xf bank_mask:0xf
	v_add_f64 v[6:7], v[8:9], v[6:7]
	v_mov_b32_dpp v8, v10 row_shr:1 row_mask:0xf bank_mask:0xf
	v_mov_b32_dpp v9, v11 row_shr:1 row_mask:0xf bank_mask:0xf
	v_add_f64 v[8:9], v[10:11], v[8:9]
	v_cmp_eq_u32_e32 vcc, 31, v0
	v_mov_b32_dpp v10, v6 row_shr:2 row_mask:0xf bank_mask:0xf
	v_mov_b32_dpp v11, v7 row_shr:2 row_mask:0xf bank_mask:0xf
	v_add_f64 v[6:7], v[6:7], v[10:11]
	v_mov_b32_dpp v12, v8 row_shr:2 row_mask:0xf bank_mask:0xf
	v_mov_b32_dpp v13, v9 row_shr:2 row_mask:0xf bank_mask:0xf
	v_add_f64 v[8:9], v[8:9], v[12:13]
	v_mov_b32_dpp v10, v6 row_shr:4 row_mask:0xf bank_mask:0xe
	v_mov_b32_dpp v11, v7 row_shr:4 row_mask:0xf bank_mask:0xe
	v_add_f64 v[6:7], v[6:7], v[10:11]
	v_mov_b32_dpp v12, v8 row_shr:4 row_mask:0xf bank_mask:0xe
	v_mov_b32_dpp v13, v9 row_shr:4 row_mask:0xf bank_mask:0xe
	v_add_f64 v[8:9], v[8:9], v[12:13]
	v_mov_b32_dpp v10, v6 row_shr:8 row_mask:0xf bank_mask:0xc
	v_mov_b32_dpp v11, v7 row_shr:8 row_mask:0xf bank_mask:0xc
	v_add_f64 v[6:7], v[6:7], v[10:11]
	v_mov_b32_dpp v12, v8 row_shr:8 row_mask:0xf bank_mask:0xc
	v_mov_b32_dpp v13, v9 row_shr:8 row_mask:0xf bank_mask:0xc
	v_add_f64 v[10:11], v[8:9], v[12:13]
	v_mov_b32_dpp v8, v6 row_bcast:15 row_mask:0xa bank_mask:0xf
	v_mov_b32_dpp v9, v7 row_bcast:15 row_mask:0xa bank_mask:0xf
	;; [unrolled: 1-line block ×4, first 2 shown]
	s_and_b64 exec, exec, vcc
	s_cbranch_execz .LBB104_23
; %bb.19:
	v_add_f64 v[8:9], v[6:7], v[8:9]
	v_add_f64 v[6:7], v[10:11], v[12:13]
	v_cmp_eq_f64_e32 vcc, 0, v[3:4]
	s_load_dwordx2 s[0:1], s[4:5], 0x38
	s_and_saveexec_b64 s[2:3], vcc
	s_xor_b64 s[2:3], exec, s[2:3]
	s_cbranch_execz .LBB104_21
; %bb.20:
	v_mul_f64 v[3:4], v[1:2], v[8:9]
	v_lshlrev_b32_e32 v0, 1, v5
	v_mul_f64 v[5:6], v[1:2], v[6:7]
	v_ashrrev_i32_e32 v1, 31, v0
	v_lshlrev_b64 v[0:1], 3, v[0:1]
	s_waitcnt lgkmcnt(0)
	v_mov_b32_e32 v2, s1
	v_add_co_u32_e32 v0, vcc, s0, v0
	v_addc_co_u32_e32 v1, vcc, v2, v1, vcc
	global_store_dwordx4 v[0:1], v[3:6], off
                                        ; implicit-def: $vgpr5
                                        ; implicit-def: $vgpr1_vgpr2
                                        ; implicit-def: $vgpr8_vgpr9
                                        ; implicit-def: $vgpr3_vgpr4
                                        ; implicit-def: $vgpr6_vgpr7
.LBB104_21:
	s_andn2_saveexec_b64 s[2:3], s[2:3]
	s_cbranch_execz .LBB104_23
; %bb.22:
	v_lshlrev_b32_e32 v10, 1, v5
	v_ashrrev_i32_e32 v11, 31, v10
	v_lshlrev_b64 v[10:11], 3, v[10:11]
	s_waitcnt lgkmcnt(0)
	v_mov_b32_e32 v0, s1
	v_add_co_u32_e32 v14, vcc, s0, v10
	v_addc_co_u32_e32 v15, vcc, v0, v11, vcc
	global_load_dwordx4 v[10:13], v[14:15], off
	v_mul_f64 v[8:9], v[1:2], v[8:9]
	v_mul_f64 v[5:6], v[1:2], v[6:7]
	s_waitcnt vmcnt(0)
	v_fma_f64 v[0:1], v[3:4], v[10:11], v[8:9]
	v_fma_f64 v[2:3], v[3:4], v[12:13], v[5:6]
	global_store_dwordx4 v[14:15], v[0:3], off
.LBB104_23:
	s_endpgm
	.section	.rodata,"a",@progbits
	.p2align	6, 0x0
	.amdhsa_kernel _ZN9rocsparseL19gebsrmvn_2xn_kernelILj128ELj7ELj32EdEEvi20rocsparse_direction_NS_24const_host_device_scalarIT2_EEPKiS6_PKS3_S8_S4_PS3_21rocsparse_index_base_b
		.amdhsa_group_segment_fixed_size 0
		.amdhsa_private_segment_fixed_size 0
		.amdhsa_kernarg_size 72
		.amdhsa_user_sgpr_count 6
		.amdhsa_user_sgpr_private_segment_buffer 1
		.amdhsa_user_sgpr_dispatch_ptr 0
		.amdhsa_user_sgpr_queue_ptr 0
		.amdhsa_user_sgpr_kernarg_segment_ptr 1
		.amdhsa_user_sgpr_dispatch_id 0
		.amdhsa_user_sgpr_flat_scratch_init 0
		.amdhsa_user_sgpr_private_segment_size 0
		.amdhsa_uses_dynamic_stack 0
		.amdhsa_system_sgpr_private_segment_wavefront_offset 0
		.amdhsa_system_sgpr_workgroup_id_x 1
		.amdhsa_system_sgpr_workgroup_id_y 0
		.amdhsa_system_sgpr_workgroup_id_z 0
		.amdhsa_system_sgpr_workgroup_info 0
		.amdhsa_system_vgpr_workitem_id 0
		.amdhsa_next_free_vgpr 38
		.amdhsa_next_free_sgpr 16
		.amdhsa_reserve_vcc 1
		.amdhsa_reserve_flat_scratch 0
		.amdhsa_float_round_mode_32 0
		.amdhsa_float_round_mode_16_64 0
		.amdhsa_float_denorm_mode_32 3
		.amdhsa_float_denorm_mode_16_64 3
		.amdhsa_dx10_clamp 1
		.amdhsa_ieee_mode 1
		.amdhsa_fp16_overflow 0
		.amdhsa_exception_fp_ieee_invalid_op 0
		.amdhsa_exception_fp_denorm_src 0
		.amdhsa_exception_fp_ieee_div_zero 0
		.amdhsa_exception_fp_ieee_overflow 0
		.amdhsa_exception_fp_ieee_underflow 0
		.amdhsa_exception_fp_ieee_inexact 0
		.amdhsa_exception_int_div_zero 0
	.end_amdhsa_kernel
	.section	.text._ZN9rocsparseL19gebsrmvn_2xn_kernelILj128ELj7ELj32EdEEvi20rocsparse_direction_NS_24const_host_device_scalarIT2_EEPKiS6_PKS3_S8_S4_PS3_21rocsparse_index_base_b,"axG",@progbits,_ZN9rocsparseL19gebsrmvn_2xn_kernelILj128ELj7ELj32EdEEvi20rocsparse_direction_NS_24const_host_device_scalarIT2_EEPKiS6_PKS3_S8_S4_PS3_21rocsparse_index_base_b,comdat
.Lfunc_end104:
	.size	_ZN9rocsparseL19gebsrmvn_2xn_kernelILj128ELj7ELj32EdEEvi20rocsparse_direction_NS_24const_host_device_scalarIT2_EEPKiS6_PKS3_S8_S4_PS3_21rocsparse_index_base_b, .Lfunc_end104-_ZN9rocsparseL19gebsrmvn_2xn_kernelILj128ELj7ELj32EdEEvi20rocsparse_direction_NS_24const_host_device_scalarIT2_EEPKiS6_PKS3_S8_S4_PS3_21rocsparse_index_base_b
                                        ; -- End function
	.set _ZN9rocsparseL19gebsrmvn_2xn_kernelILj128ELj7ELj32EdEEvi20rocsparse_direction_NS_24const_host_device_scalarIT2_EEPKiS6_PKS3_S8_S4_PS3_21rocsparse_index_base_b.num_vgpr, 38
	.set _ZN9rocsparseL19gebsrmvn_2xn_kernelILj128ELj7ELj32EdEEvi20rocsparse_direction_NS_24const_host_device_scalarIT2_EEPKiS6_PKS3_S8_S4_PS3_21rocsparse_index_base_b.num_agpr, 0
	.set _ZN9rocsparseL19gebsrmvn_2xn_kernelILj128ELj7ELj32EdEEvi20rocsparse_direction_NS_24const_host_device_scalarIT2_EEPKiS6_PKS3_S8_S4_PS3_21rocsparse_index_base_b.numbered_sgpr, 16
	.set _ZN9rocsparseL19gebsrmvn_2xn_kernelILj128ELj7ELj32EdEEvi20rocsparse_direction_NS_24const_host_device_scalarIT2_EEPKiS6_PKS3_S8_S4_PS3_21rocsparse_index_base_b.num_named_barrier, 0
	.set _ZN9rocsparseL19gebsrmvn_2xn_kernelILj128ELj7ELj32EdEEvi20rocsparse_direction_NS_24const_host_device_scalarIT2_EEPKiS6_PKS3_S8_S4_PS3_21rocsparse_index_base_b.private_seg_size, 0
	.set _ZN9rocsparseL19gebsrmvn_2xn_kernelILj128ELj7ELj32EdEEvi20rocsparse_direction_NS_24const_host_device_scalarIT2_EEPKiS6_PKS3_S8_S4_PS3_21rocsparse_index_base_b.uses_vcc, 1
	.set _ZN9rocsparseL19gebsrmvn_2xn_kernelILj128ELj7ELj32EdEEvi20rocsparse_direction_NS_24const_host_device_scalarIT2_EEPKiS6_PKS3_S8_S4_PS3_21rocsparse_index_base_b.uses_flat_scratch, 0
	.set _ZN9rocsparseL19gebsrmvn_2xn_kernelILj128ELj7ELj32EdEEvi20rocsparse_direction_NS_24const_host_device_scalarIT2_EEPKiS6_PKS3_S8_S4_PS3_21rocsparse_index_base_b.has_dyn_sized_stack, 0
	.set _ZN9rocsparseL19gebsrmvn_2xn_kernelILj128ELj7ELj32EdEEvi20rocsparse_direction_NS_24const_host_device_scalarIT2_EEPKiS6_PKS3_S8_S4_PS3_21rocsparse_index_base_b.has_recursion, 0
	.set _ZN9rocsparseL19gebsrmvn_2xn_kernelILj128ELj7ELj32EdEEvi20rocsparse_direction_NS_24const_host_device_scalarIT2_EEPKiS6_PKS3_S8_S4_PS3_21rocsparse_index_base_b.has_indirect_call, 0
	.section	.AMDGPU.csdata,"",@progbits
; Kernel info:
; codeLenInByte = 2244
; TotalNumSgprs: 20
; NumVgprs: 38
; ScratchSize: 0
; MemoryBound: 0
; FloatMode: 240
; IeeeMode: 1
; LDSByteSize: 0 bytes/workgroup (compile time only)
; SGPRBlocks: 2
; VGPRBlocks: 9
; NumSGPRsForWavesPerEU: 20
; NumVGPRsForWavesPerEU: 38
; Occupancy: 6
; WaveLimiterHint : 1
; COMPUTE_PGM_RSRC2:SCRATCH_EN: 0
; COMPUTE_PGM_RSRC2:USER_SGPR: 6
; COMPUTE_PGM_RSRC2:TRAP_HANDLER: 0
; COMPUTE_PGM_RSRC2:TGID_X_EN: 1
; COMPUTE_PGM_RSRC2:TGID_Y_EN: 0
; COMPUTE_PGM_RSRC2:TGID_Z_EN: 0
; COMPUTE_PGM_RSRC2:TIDIG_COMP_CNT: 0
	.section	.text._ZN9rocsparseL19gebsrmvn_2xn_kernelILj128ELj7ELj64EdEEvi20rocsparse_direction_NS_24const_host_device_scalarIT2_EEPKiS6_PKS3_S8_S4_PS3_21rocsparse_index_base_b,"axG",@progbits,_ZN9rocsparseL19gebsrmvn_2xn_kernelILj128ELj7ELj64EdEEvi20rocsparse_direction_NS_24const_host_device_scalarIT2_EEPKiS6_PKS3_S8_S4_PS3_21rocsparse_index_base_b,comdat
	.globl	_ZN9rocsparseL19gebsrmvn_2xn_kernelILj128ELj7ELj64EdEEvi20rocsparse_direction_NS_24const_host_device_scalarIT2_EEPKiS6_PKS3_S8_S4_PS3_21rocsparse_index_base_b ; -- Begin function _ZN9rocsparseL19gebsrmvn_2xn_kernelILj128ELj7ELj64EdEEvi20rocsparse_direction_NS_24const_host_device_scalarIT2_EEPKiS6_PKS3_S8_S4_PS3_21rocsparse_index_base_b
	.p2align	8
	.type	_ZN9rocsparseL19gebsrmvn_2xn_kernelILj128ELj7ELj64EdEEvi20rocsparse_direction_NS_24const_host_device_scalarIT2_EEPKiS6_PKS3_S8_S4_PS3_21rocsparse_index_base_b,@function
_ZN9rocsparseL19gebsrmvn_2xn_kernelILj128ELj7ELj64EdEEvi20rocsparse_direction_NS_24const_host_device_scalarIT2_EEPKiS6_PKS3_S8_S4_PS3_21rocsparse_index_base_b: ; @_ZN9rocsparseL19gebsrmvn_2xn_kernelILj128ELj7ELj64EdEEvi20rocsparse_direction_NS_24const_host_device_scalarIT2_EEPKiS6_PKS3_S8_S4_PS3_21rocsparse_index_base_b
; %bb.0:
	s_load_dwordx2 s[2:3], s[4:5], 0x40
	s_load_dwordx2 s[10:11], s[4:5], 0x8
	;; [unrolled: 1-line block ×3, first 2 shown]
	s_waitcnt lgkmcnt(0)
	s_bitcmp1_b32 s3, 0
	s_cselect_b64 s[12:13], -1, 0
	v_mov_b32_e32 v1, s10
	s_xor_b64 s[8:9], s[12:13], -1
	s_and_b64 vcc, exec, s[12:13]
	v_mov_b32_e32 v2, s11
	s_cbranch_vccnz .LBB105_2
; %bb.1:
	v_mov_b32_e32 v1, s10
	v_mov_b32_e32 v2, s11
	flat_load_dwordx2 v[1:2], v[1:2]
.LBB105_2:
	v_mov_b32_e32 v4, s1
	s_andn2_b64 vcc, exec, s[8:9]
	v_mov_b32_e32 v3, s0
	s_cbranch_vccnz .LBB105_4
; %bb.3:
	v_mov_b32_e32 v4, s1
	v_mov_b32_e32 v3, s0
	flat_load_dwordx2 v[3:4], v[3:4]
.LBB105_4:
	s_waitcnt vmcnt(0) lgkmcnt(0)
	v_cmp_neq_f64_e32 vcc, 0, v[1:2]
	v_cmp_neq_f64_e64 s[0:1], 1.0, v[3:4]
	s_or_b64 s[0:1], vcc, s[0:1]
	s_and_saveexec_b64 s[8:9], s[0:1]
	s_cbranch_execz .LBB105_23
; %bb.5:
	s_load_dwordx2 s[0:1], s[4:5], 0x0
	v_lshrrev_b32_e32 v5, 6, v0
	v_lshl_or_b32 v5, s6, 1, v5
	s_waitcnt lgkmcnt(0)
	v_cmp_gt_i32_e32 vcc, s0, v5
	s_and_b64 exec, exec, vcc
	s_cbranch_execz .LBB105_23
; %bb.6:
	s_load_dwordx8 s[8:15], s[4:5], 0x10
	v_ashrrev_i32_e32 v6, 31, v5
	v_lshlrev_b64 v[6:7], 2, v[5:6]
	v_and_b32_e32 v0, 63, v0
	s_cmp_lg_u32 s1, 0
	s_waitcnt lgkmcnt(0)
	v_mov_b32_e32 v8, s9
	v_add_co_u32_e32 v6, vcc, s8, v6
	v_addc_co_u32_e32 v7, vcc, v8, v7, vcc
	global_load_dwordx2 v[6:7], v[6:7], off
	s_waitcnt vmcnt(0)
	v_subrev_u32_e32 v6, s2, v6
	v_subrev_u32_e32 v18, s2, v7
	v_add_u32_e32 v6, v6, v0
	v_cmp_lt_i32_e64 s[0:1], v6, v18
	s_cbranch_scc0 .LBB105_12
; %bb.7:
	v_mov_b32_e32 v8, 0
	v_mov_b32_e32 v10, 0
	;; [unrolled: 1-line block ×4, first 2 shown]
	s_and_saveexec_b64 s[6:7], s[0:1]
	s_cbranch_execz .LBB105_11
; %bb.8:
	v_mad_u64_u32 v[12:13], s[8:9], v6, 14, 12
	v_mov_b32_e32 v8, 0
	v_mov_b32_e32 v10, 0
	;; [unrolled: 1-line block ×3, first 2 shown]
	s_mov_b64 s[8:9], 0
	v_mov_b32_e32 v7, s11
	v_mov_b32_e32 v15, 0
	;; [unrolled: 1-line block ×6, first 2 shown]
.LBB105_9:                              ; =>This Inner Loop Header: Depth=1
	v_ashrrev_i32_e32 v17, 31, v16
	v_lshlrev_b64 v[21:22], 2, v[16:17]
	v_add_u32_e32 v14, -12, v12
	v_lshlrev_b64 v[23:24], 3, v[14:15]
	v_add_co_u32_e32 v27, vcc, s10, v21
	v_addc_co_u32_e32 v28, vcc, v7, v22, vcc
	v_add_co_u32_e32 v31, vcc, s12, v23
	v_addc_co_u32_e32 v32, vcc, v19, v24, vcc
	global_load_dword v17, v[27:28], off
	global_load_dwordx4 v[21:24], v[31:32], off
	v_mov_b32_e32 v13, v15
	v_lshlrev_b64 v[25:26], 3, v[12:13]
	v_add_u32_e32 v14, -10, v12
	v_lshlrev_b64 v[13:14], 3, v[14:15]
	v_add_co_u32_e32 v33, vcc, s12, v25
	v_mov_b32_e32 v30, v15
	v_addc_co_u32_e32 v34, vcc, v19, v26, vcc
	v_add_co_u32_e32 v13, vcc, s12, v13
	v_addc_co_u32_e32 v14, vcc, v19, v14, vcc
	v_add_u32_e32 v16, 64, v16
	s_waitcnt vmcnt(1)
	v_subrev_u32_e32 v17, s2, v17
	v_mul_lo_u32 v29, v17, 7
	v_lshlrev_b64 v[25:26], 3, v[29:30]
	v_add_co_u32_e32 v30, vcc, s14, v25
	v_addc_co_u32_e32 v31, vcc, v20, v26, vcc
	global_load_dwordx4 v[25:28], v[33:34], off
	global_load_dwordx2 v[35:36], v[30:31], off
	s_waitcnt vmcnt(0)
	v_fma_f64 v[21:22], v[21:22], v[35:36], v[8:9]
	v_fma_f64 v[23:24], v[23:24], v[35:36], v[10:11]
	global_load_dwordx4 v[8:11], v[13:14], off
	v_add_u32_e32 v14, 1, v29
	v_lshlrev_b64 v[30:31], 3, v[14:15]
	v_add_u32_e32 v14, -8, v12
	v_add_co_u32_e32 v30, vcc, s14, v30
	v_addc_co_u32_e32 v31, vcc, v20, v31, vcc
	global_load_dwordx2 v[30:31], v[30:31], off
	v_lshlrev_b64 v[32:33], 3, v[14:15]
	v_add_u32_e32 v14, 2, v29
	s_waitcnt vmcnt(0)
	v_fma_f64 v[21:22], v[8:9], v[30:31], v[21:22]
	v_fma_f64 v[23:24], v[10:11], v[30:31], v[23:24]
	v_lshlrev_b64 v[8:9], 3, v[14:15]
	v_add_co_u32_e32 v30, vcc, s12, v32
	v_addc_co_u32_e32 v31, vcc, v19, v33, vcc
	v_add_co_u32_e32 v34, vcc, s14, v8
	v_addc_co_u32_e32 v35, vcc, v20, v9, vcc
	global_load_dwordx4 v[8:11], v[30:31], off
	global_load_dwordx2 v[36:37], v[34:35], off
	v_add_u32_e32 v14, -6, v12
	v_lshlrev_b64 v[32:33], 3, v[14:15]
	v_add_u32_e32 v14, 3, v29
	v_add_co_u32_e32 v30, vcc, s12, v32
	v_addc_co_u32_e32 v31, vcc, v19, v33, vcc
	s_waitcnt vmcnt(0)
	v_fma_f64 v[21:22], v[8:9], v[36:37], v[21:22]
	v_lshlrev_b64 v[8:9], 3, v[14:15]
	v_fma_f64 v[23:24], v[10:11], v[36:37], v[23:24]
	v_add_co_u32_e32 v34, vcc, s14, v8
	v_addc_co_u32_e32 v35, vcc, v20, v9, vcc
	global_load_dwordx4 v[8:11], v[30:31], off
	global_load_dwordx2 v[36:37], v[34:35], off
	v_add_u32_e32 v14, -4, v12
	v_lshlrev_b64 v[32:33], 3, v[14:15]
	v_add_u32_e32 v14, 4, v29
	v_add_co_u32_e32 v30, vcc, s12, v32
	v_addc_co_u32_e32 v31, vcc, v19, v33, vcc
	s_waitcnt vmcnt(0)
	v_fma_f64 v[21:22], v[8:9], v[36:37], v[21:22]
	v_lshlrev_b64 v[8:9], 3, v[14:15]
	v_fma_f64 v[23:24], v[10:11], v[36:37], v[23:24]
	v_add_co_u32_e32 v34, vcc, s14, v8
	v_addc_co_u32_e32 v35, vcc, v20, v9, vcc
	global_load_dwordx4 v[8:11], v[30:31], off
	global_load_dwordx2 v[36:37], v[34:35], off
	v_add_u32_e32 v14, -2, v12
	v_lshlrev_b64 v[32:33], 3, v[14:15]
	v_add_u32_e32 v14, 5, v29
	v_add_co_u32_e32 v13, vcc, s12, v32
	v_add_u32_e32 v12, 0x380, v12
	s_waitcnt vmcnt(0)
	v_fma_f64 v[21:22], v[8:9], v[36:37], v[21:22]
	v_lshlrev_b64 v[8:9], 3, v[14:15]
	v_addc_co_u32_e32 v14, vcc, v19, v33, vcc
	v_add_co_u32_e32 v30, vcc, s14, v8
	v_fma_f64 v[23:24], v[10:11], v[36:37], v[23:24]
	v_addc_co_u32_e32 v31, vcc, v20, v9, vcc
	global_load_dwordx4 v[8:11], v[13:14], off
	global_load_dwordx2 v[32:33], v[30:31], off
	v_add_u32_e32 v14, 6, v29
	v_lshlrev_b64 v[13:14], 3, v[14:15]
	v_add_co_u32_e32 v13, vcc, s14, v13
	v_addc_co_u32_e32 v14, vcc, v20, v14, vcc
	global_load_dwordx2 v[13:14], v[13:14], off
	v_cmp_ge_i32_e32 vcc, v16, v18
	s_or_b64 s[8:9], vcc, s[8:9]
	s_waitcnt vmcnt(1)
	v_fma_f64 v[8:9], v[8:9], v[32:33], v[21:22]
	v_fma_f64 v[10:11], v[10:11], v[32:33], v[23:24]
	s_waitcnt vmcnt(0)
	v_fma_f64 v[8:9], v[25:26], v[13:14], v[8:9]
	v_fma_f64 v[10:11], v[27:28], v[13:14], v[10:11]
	s_andn2_b64 exec, exec, s[8:9]
	s_cbranch_execnz .LBB105_9
; %bb.10:
	s_or_b64 exec, exec, s[8:9]
.LBB105_11:
	s_or_b64 exec, exec, s[6:7]
	s_cbranch_execz .LBB105_13
	s_branch .LBB105_18
.LBB105_12:
                                        ; implicit-def: $vgpr8_vgpr9
                                        ; implicit-def: $vgpr10_vgpr11
.LBB105_13:
	v_mov_b32_e32 v8, 0
	v_mov_b32_e32 v10, 0
	;; [unrolled: 1-line block ×4, first 2 shown]
	s_and_saveexec_b64 s[6:7], s[0:1]
	s_cbranch_execz .LBB105_17
; %bb.14:
	v_mad_u64_u32 v[12:13], s[0:1], v6, 14, 13
	v_mov_b32_e32 v8, 0
	v_mov_b32_e32 v10, 0
	;; [unrolled: 1-line block ×3, first 2 shown]
	s_mov_b64 s[0:1], 0
	v_mov_b32_e32 v16, s11
	v_mov_b32_e32 v15, 0
	;; [unrolled: 1-line block ×5, first 2 shown]
.LBB105_15:                             ; =>This Inner Loop Header: Depth=1
	v_ashrrev_i32_e32 v7, 31, v6
	v_lshlrev_b64 v[22:23], 2, v[6:7]
	v_add_u32_e32 v14, -13, v12
	v_add_co_u32_e32 v22, vcc, s10, v22
	v_addc_co_u32_e32 v23, vcc, v16, v23, vcc
	global_load_dword v7, v[22:23], off
	v_lshlrev_b64 v[24:25], 3, v[14:15]
	v_add_u32_e32 v20, -6, v12
	v_mov_b32_e32 v21, v15
	v_lshlrev_b64 v[20:21], 3, v[20:21]
	v_add_co_u32_e32 v24, vcc, s12, v24
	v_mov_b32_e32 v13, v15
	v_addc_co_u32_e32 v25, vcc, v17, v25, vcc
	v_lshlrev_b64 v[13:14], 3, v[12:13]
	v_add_co_u32_e32 v20, vcc, s12, v20
	v_addc_co_u32_e32 v21, vcc, v17, v21, vcc
	v_add_co_u32_e32 v26, vcc, s12, v13
	v_addc_co_u32_e32 v27, vcc, v17, v14, vcc
	v_mov_b32_e32 v14, v15
	v_add_u32_e32 v6, 64, v6
	s_waitcnt vmcnt(0)
	v_subrev_u32_e32 v7, s2, v7
	v_mul_lo_u32 v13, v7, 7
	v_lshlrev_b64 v[22:23], 3, v[13:14]
	v_add_u32_e32 v14, 1, v13
	v_add_co_u32_e32 v22, vcc, s14, v22
	v_addc_co_u32_e32 v23, vcc, v19, v23, vcc
	global_load_dwordx2 v[30:31], v[20:21], off
	global_load_dwordx2 v[32:33], v[22:23], off
	v_lshlrev_b64 v[28:29], 3, v[14:15]
	global_load_dwordx4 v[20:23], v[24:25], off
	v_add_co_u32_e32 v28, vcc, s14, v28
	v_addc_co_u32_e32 v29, vcc, v19, v29, vcc
	v_add_u32_e32 v14, -5, v12
	s_waitcnt vmcnt(1)
	v_fma_f64 v[10:11], v[30:31], v[32:33], v[10:11]
	s_waitcnt vmcnt(0)
	v_fma_f64 v[7:8], v[20:21], v[32:33], v[8:9]
	global_load_dwordx2 v[20:21], v[28:29], off
	s_waitcnt vmcnt(0)
	v_fma_f64 v[7:8], v[22:23], v[20:21], v[7:8]
	v_lshlrev_b64 v[22:23], 3, v[14:15]
	v_add_u32_e32 v14, -11, v12
	v_add_co_u32_e32 v22, vcc, s12, v22
	v_lshlrev_b64 v[24:25], 3, v[14:15]
	v_addc_co_u32_e32 v23, vcc, v17, v23, vcc
	v_add_co_u32_e32 v24, vcc, s12, v24
	v_addc_co_u32_e32 v25, vcc, v17, v25, vcc
	global_load_dwordx2 v[28:29], v[22:23], off
	global_load_dwordx2 v[30:31], v[24:25], off
	v_add_u32_e32 v14, 2, v13
	s_waitcnt vmcnt(1)
	v_fma_f64 v[9:10], v[28:29], v[20:21], v[10:11]
	v_lshlrev_b64 v[20:21], 3, v[14:15]
	v_add_u32_e32 v14, -4, v12
	v_add_co_u32_e32 v20, vcc, s14, v20
	v_addc_co_u32_e32 v21, vcc, v19, v21, vcc
	global_load_dwordx2 v[20:21], v[20:21], off
	v_lshlrev_b64 v[22:23], 3, v[14:15]
	v_add_u32_e32 v14, -10, v12
	v_add_co_u32_e32 v22, vcc, s12, v22
	v_lshlrev_b64 v[24:25], 3, v[14:15]
	v_addc_co_u32_e32 v23, vcc, v17, v23, vcc
	v_add_co_u32_e32 v24, vcc, s12, v24
	v_addc_co_u32_e32 v25, vcc, v17, v25, vcc
	v_add_u32_e32 v14, 3, v13
	s_waitcnt vmcnt(0)
	v_fma_f64 v[7:8], v[30:31], v[20:21], v[7:8]
	global_load_dwordx2 v[28:29], v[22:23], off
	global_load_dwordx2 v[30:31], v[24:25], off
	s_waitcnt vmcnt(1)
	v_fma_f64 v[9:10], v[28:29], v[20:21], v[9:10]
	v_lshlrev_b64 v[20:21], 3, v[14:15]
	v_add_u32_e32 v14, -3, v12
	v_add_co_u32_e32 v20, vcc, s14, v20
	v_addc_co_u32_e32 v21, vcc, v19, v21, vcc
	global_load_dwordx2 v[20:21], v[20:21], off
	v_lshlrev_b64 v[22:23], 3, v[14:15]
	v_add_u32_e32 v14, -9, v12
	v_add_co_u32_e32 v22, vcc, s12, v22
	v_lshlrev_b64 v[24:25], 3, v[14:15]
	v_addc_co_u32_e32 v23, vcc, v17, v23, vcc
	v_add_co_u32_e32 v24, vcc, s12, v24
	v_addc_co_u32_e32 v25, vcc, v17, v25, vcc
	v_add_u32_e32 v14, 4, v13
	s_waitcnt vmcnt(0)
	v_fma_f64 v[7:8], v[30:31], v[20:21], v[7:8]
	global_load_dwordx2 v[28:29], v[22:23], off
	global_load_dwordx2 v[30:31], v[24:25], off
	s_waitcnt vmcnt(1)
	v_fma_f64 v[9:10], v[28:29], v[20:21], v[9:10]
	v_lshlrev_b64 v[20:21], 3, v[14:15]
	v_add_u32_e32 v14, -2, v12
	v_add_co_u32_e32 v20, vcc, s14, v20
	v_addc_co_u32_e32 v21, vcc, v19, v21, vcc
	global_load_dwordx2 v[20:21], v[20:21], off
	v_lshlrev_b64 v[22:23], 3, v[14:15]
	v_add_u32_e32 v14, -8, v12
	v_add_co_u32_e32 v22, vcc, s12, v22
	v_lshlrev_b64 v[24:25], 3, v[14:15]
	v_addc_co_u32_e32 v23, vcc, v17, v23, vcc
	v_add_co_u32_e32 v24, vcc, s12, v24
	v_addc_co_u32_e32 v25, vcc, v17, v25, vcc
	v_add_u32_e32 v14, 5, v13
	s_waitcnt vmcnt(0)
	v_fma_f64 v[7:8], v[30:31], v[20:21], v[7:8]
	global_load_dwordx2 v[28:29], v[22:23], off
	global_load_dwordx2 v[30:31], v[24:25], off
	s_waitcnt vmcnt(1)
	v_fma_f64 v[9:10], v[28:29], v[20:21], v[9:10]
	v_lshlrev_b64 v[20:21], 3, v[14:15]
	v_add_u32_e32 v14, -1, v12
	v_add_co_u32_e32 v20, vcc, s14, v20
	v_addc_co_u32_e32 v21, vcc, v19, v21, vcc
	global_load_dwordx2 v[20:21], v[20:21], off
	v_lshlrev_b64 v[22:23], 3, v[14:15]
	v_add_u32_e32 v14, -7, v12
	v_lshlrev_b64 v[24:25], 3, v[14:15]
	v_add_co_u32_e32 v22, vcc, s12, v22
	v_add_u32_e32 v14, 6, v13
	v_addc_co_u32_e32 v23, vcc, v17, v23, vcc
	v_add_co_u32_e32 v24, vcc, s12, v24
	v_lshlrev_b64 v[13:14], 3, v[14:15]
	v_addc_co_u32_e32 v25, vcc, v17, v25, vcc
	v_add_co_u32_e32 v13, vcc, s14, v13
	v_addc_co_u32_e32 v14, vcc, v19, v14, vcc
	v_cmp_ge_i32_e32 vcc, v6, v18
	s_or_b64 s[0:1], vcc, s[0:1]
	v_add_u32_e32 v12, 0x380, v12
	s_waitcnt vmcnt(0)
	v_fma_f64 v[7:8], v[30:31], v[20:21], v[7:8]
	global_load_dwordx2 v[28:29], v[22:23], off
	global_load_dwordx2 v[30:31], v[26:27], off
	;; [unrolled: 1-line block ×4, first 2 shown]
	s_waitcnt vmcnt(3)
	v_fma_f64 v[10:11], v[28:29], v[20:21], v[9:10]
	s_waitcnt vmcnt(0)
	v_fma_f64 v[8:9], v[32:33], v[34:35], v[7:8]
	v_fma_f64 v[10:11], v[30:31], v[34:35], v[10:11]
	s_andn2_b64 exec, exec, s[0:1]
	s_cbranch_execnz .LBB105_15
; %bb.16:
	s_or_b64 exec, exec, s[0:1]
.LBB105_17:
	s_or_b64 exec, exec, s[6:7]
.LBB105_18:
	v_mov_b32_dpp v6, v8 row_shr:1 row_mask:0xf bank_mask:0xf
	v_mov_b32_dpp v7, v9 row_shr:1 row_mask:0xf bank_mask:0xf
	v_add_f64 v[6:7], v[8:9], v[6:7]
	v_mov_b32_dpp v8, v10 row_shr:1 row_mask:0xf bank_mask:0xf
	v_mov_b32_dpp v9, v11 row_shr:1 row_mask:0xf bank_mask:0xf
	v_add_f64 v[8:9], v[10:11], v[8:9]
	v_cmp_eq_u32_e32 vcc, 63, v0
	v_mov_b32_dpp v10, v6 row_shr:2 row_mask:0xf bank_mask:0xf
	v_mov_b32_dpp v11, v7 row_shr:2 row_mask:0xf bank_mask:0xf
	v_add_f64 v[6:7], v[6:7], v[10:11]
	v_mov_b32_dpp v12, v8 row_shr:2 row_mask:0xf bank_mask:0xf
	v_mov_b32_dpp v13, v9 row_shr:2 row_mask:0xf bank_mask:0xf
	v_add_f64 v[8:9], v[8:9], v[12:13]
	;; [unrolled: 3-line block ×6, first 2 shown]
	v_mov_b32_dpp v10, v6 row_bcast:15 row_mask:0xa bank_mask:0xf
	v_mov_b32_dpp v11, v7 row_bcast:15 row_mask:0xa bank_mask:0xf
	v_add_f64 v[6:7], v[6:7], v[10:11]
	v_mov_b32_dpp v12, v8 row_bcast:15 row_mask:0xa bank_mask:0xf
	v_mov_b32_dpp v13, v9 row_bcast:15 row_mask:0xa bank_mask:0xf
	v_add_f64 v[10:11], v[8:9], v[12:13]
	v_mov_b32_dpp v8, v6 row_bcast:31 row_mask:0xc bank_mask:0xf
	v_mov_b32_dpp v9, v7 row_bcast:31 row_mask:0xc bank_mask:0xf
	;; [unrolled: 1-line block ×4, first 2 shown]
	s_and_b64 exec, exec, vcc
	s_cbranch_execz .LBB105_23
; %bb.19:
	v_add_f64 v[8:9], v[6:7], v[8:9]
	v_add_f64 v[6:7], v[10:11], v[12:13]
	v_cmp_eq_f64_e32 vcc, 0, v[3:4]
	s_load_dwordx2 s[0:1], s[4:5], 0x38
	s_and_saveexec_b64 s[2:3], vcc
	s_xor_b64 s[2:3], exec, s[2:3]
	s_cbranch_execz .LBB105_21
; %bb.20:
	v_mul_f64 v[3:4], v[1:2], v[8:9]
	v_lshlrev_b32_e32 v0, 1, v5
	v_mul_f64 v[5:6], v[1:2], v[6:7]
	v_ashrrev_i32_e32 v1, 31, v0
	v_lshlrev_b64 v[0:1], 3, v[0:1]
	s_waitcnt lgkmcnt(0)
	v_mov_b32_e32 v2, s1
	v_add_co_u32_e32 v0, vcc, s0, v0
	v_addc_co_u32_e32 v1, vcc, v2, v1, vcc
	global_store_dwordx4 v[0:1], v[3:6], off
                                        ; implicit-def: $vgpr5
                                        ; implicit-def: $vgpr1_vgpr2
                                        ; implicit-def: $vgpr8_vgpr9
                                        ; implicit-def: $vgpr3_vgpr4
                                        ; implicit-def: $vgpr6_vgpr7
.LBB105_21:
	s_andn2_saveexec_b64 s[2:3], s[2:3]
	s_cbranch_execz .LBB105_23
; %bb.22:
	v_lshlrev_b32_e32 v10, 1, v5
	v_ashrrev_i32_e32 v11, 31, v10
	v_lshlrev_b64 v[10:11], 3, v[10:11]
	s_waitcnt lgkmcnt(0)
	v_mov_b32_e32 v0, s1
	v_add_co_u32_e32 v14, vcc, s0, v10
	v_addc_co_u32_e32 v15, vcc, v0, v11, vcc
	global_load_dwordx4 v[10:13], v[14:15], off
	v_mul_f64 v[8:9], v[1:2], v[8:9]
	v_mul_f64 v[5:6], v[1:2], v[6:7]
	s_waitcnt vmcnt(0)
	v_fma_f64 v[0:1], v[3:4], v[10:11], v[8:9]
	v_fma_f64 v[2:3], v[3:4], v[12:13], v[5:6]
	global_store_dwordx4 v[14:15], v[0:3], off
.LBB105_23:
	s_endpgm
	.section	.rodata,"a",@progbits
	.p2align	6, 0x0
	.amdhsa_kernel _ZN9rocsparseL19gebsrmvn_2xn_kernelILj128ELj7ELj64EdEEvi20rocsparse_direction_NS_24const_host_device_scalarIT2_EEPKiS6_PKS3_S8_S4_PS3_21rocsparse_index_base_b
		.amdhsa_group_segment_fixed_size 0
		.amdhsa_private_segment_fixed_size 0
		.amdhsa_kernarg_size 72
		.amdhsa_user_sgpr_count 6
		.amdhsa_user_sgpr_private_segment_buffer 1
		.amdhsa_user_sgpr_dispatch_ptr 0
		.amdhsa_user_sgpr_queue_ptr 0
		.amdhsa_user_sgpr_kernarg_segment_ptr 1
		.amdhsa_user_sgpr_dispatch_id 0
		.amdhsa_user_sgpr_flat_scratch_init 0
		.amdhsa_user_sgpr_private_segment_size 0
		.amdhsa_uses_dynamic_stack 0
		.amdhsa_system_sgpr_private_segment_wavefront_offset 0
		.amdhsa_system_sgpr_workgroup_id_x 1
		.amdhsa_system_sgpr_workgroup_id_y 0
		.amdhsa_system_sgpr_workgroup_id_z 0
		.amdhsa_system_sgpr_workgroup_info 0
		.amdhsa_system_vgpr_workitem_id 0
		.amdhsa_next_free_vgpr 38
		.amdhsa_next_free_sgpr 16
		.amdhsa_reserve_vcc 1
		.amdhsa_reserve_flat_scratch 0
		.amdhsa_float_round_mode_32 0
		.amdhsa_float_round_mode_16_64 0
		.amdhsa_float_denorm_mode_32 3
		.amdhsa_float_denorm_mode_16_64 3
		.amdhsa_dx10_clamp 1
		.amdhsa_ieee_mode 1
		.amdhsa_fp16_overflow 0
		.amdhsa_exception_fp_ieee_invalid_op 0
		.amdhsa_exception_fp_denorm_src 0
		.amdhsa_exception_fp_ieee_div_zero 0
		.amdhsa_exception_fp_ieee_overflow 0
		.amdhsa_exception_fp_ieee_underflow 0
		.amdhsa_exception_fp_ieee_inexact 0
		.amdhsa_exception_int_div_zero 0
	.end_amdhsa_kernel
	.section	.text._ZN9rocsparseL19gebsrmvn_2xn_kernelILj128ELj7ELj64EdEEvi20rocsparse_direction_NS_24const_host_device_scalarIT2_EEPKiS6_PKS3_S8_S4_PS3_21rocsparse_index_base_b,"axG",@progbits,_ZN9rocsparseL19gebsrmvn_2xn_kernelILj128ELj7ELj64EdEEvi20rocsparse_direction_NS_24const_host_device_scalarIT2_EEPKiS6_PKS3_S8_S4_PS3_21rocsparse_index_base_b,comdat
.Lfunc_end105:
	.size	_ZN9rocsparseL19gebsrmvn_2xn_kernelILj128ELj7ELj64EdEEvi20rocsparse_direction_NS_24const_host_device_scalarIT2_EEPKiS6_PKS3_S8_S4_PS3_21rocsparse_index_base_b, .Lfunc_end105-_ZN9rocsparseL19gebsrmvn_2xn_kernelILj128ELj7ELj64EdEEvi20rocsparse_direction_NS_24const_host_device_scalarIT2_EEPKiS6_PKS3_S8_S4_PS3_21rocsparse_index_base_b
                                        ; -- End function
	.set _ZN9rocsparseL19gebsrmvn_2xn_kernelILj128ELj7ELj64EdEEvi20rocsparse_direction_NS_24const_host_device_scalarIT2_EEPKiS6_PKS3_S8_S4_PS3_21rocsparse_index_base_b.num_vgpr, 38
	.set _ZN9rocsparseL19gebsrmvn_2xn_kernelILj128ELj7ELj64EdEEvi20rocsparse_direction_NS_24const_host_device_scalarIT2_EEPKiS6_PKS3_S8_S4_PS3_21rocsparse_index_base_b.num_agpr, 0
	.set _ZN9rocsparseL19gebsrmvn_2xn_kernelILj128ELj7ELj64EdEEvi20rocsparse_direction_NS_24const_host_device_scalarIT2_EEPKiS6_PKS3_S8_S4_PS3_21rocsparse_index_base_b.numbered_sgpr, 16
	.set _ZN9rocsparseL19gebsrmvn_2xn_kernelILj128ELj7ELj64EdEEvi20rocsparse_direction_NS_24const_host_device_scalarIT2_EEPKiS6_PKS3_S8_S4_PS3_21rocsparse_index_base_b.num_named_barrier, 0
	.set _ZN9rocsparseL19gebsrmvn_2xn_kernelILj128ELj7ELj64EdEEvi20rocsparse_direction_NS_24const_host_device_scalarIT2_EEPKiS6_PKS3_S8_S4_PS3_21rocsparse_index_base_b.private_seg_size, 0
	.set _ZN9rocsparseL19gebsrmvn_2xn_kernelILj128ELj7ELj64EdEEvi20rocsparse_direction_NS_24const_host_device_scalarIT2_EEPKiS6_PKS3_S8_S4_PS3_21rocsparse_index_base_b.uses_vcc, 1
	.set _ZN9rocsparseL19gebsrmvn_2xn_kernelILj128ELj7ELj64EdEEvi20rocsparse_direction_NS_24const_host_device_scalarIT2_EEPKiS6_PKS3_S8_S4_PS3_21rocsparse_index_base_b.uses_flat_scratch, 0
	.set _ZN9rocsparseL19gebsrmvn_2xn_kernelILj128ELj7ELj64EdEEvi20rocsparse_direction_NS_24const_host_device_scalarIT2_EEPKiS6_PKS3_S8_S4_PS3_21rocsparse_index_base_b.has_dyn_sized_stack, 0
	.set _ZN9rocsparseL19gebsrmvn_2xn_kernelILj128ELj7ELj64EdEEvi20rocsparse_direction_NS_24const_host_device_scalarIT2_EEPKiS6_PKS3_S8_S4_PS3_21rocsparse_index_base_b.has_recursion, 0
	.set _ZN9rocsparseL19gebsrmvn_2xn_kernelILj128ELj7ELj64EdEEvi20rocsparse_direction_NS_24const_host_device_scalarIT2_EEPKiS6_PKS3_S8_S4_PS3_21rocsparse_index_base_b.has_indirect_call, 0
	.section	.AMDGPU.csdata,"",@progbits
; Kernel info:
; codeLenInByte = 2292
; TotalNumSgprs: 20
; NumVgprs: 38
; ScratchSize: 0
; MemoryBound: 0
; FloatMode: 240
; IeeeMode: 1
; LDSByteSize: 0 bytes/workgroup (compile time only)
; SGPRBlocks: 2
; VGPRBlocks: 9
; NumSGPRsForWavesPerEU: 20
; NumVGPRsForWavesPerEU: 38
; Occupancy: 6
; WaveLimiterHint : 1
; COMPUTE_PGM_RSRC2:SCRATCH_EN: 0
; COMPUTE_PGM_RSRC2:USER_SGPR: 6
; COMPUTE_PGM_RSRC2:TRAP_HANDLER: 0
; COMPUTE_PGM_RSRC2:TGID_X_EN: 1
; COMPUTE_PGM_RSRC2:TGID_Y_EN: 0
; COMPUTE_PGM_RSRC2:TGID_Z_EN: 0
; COMPUTE_PGM_RSRC2:TIDIG_COMP_CNT: 0
	.section	.text._ZN9rocsparseL19gebsrmvn_2xn_kernelILj128ELj8ELj4EdEEvi20rocsparse_direction_NS_24const_host_device_scalarIT2_EEPKiS6_PKS3_S8_S4_PS3_21rocsparse_index_base_b,"axG",@progbits,_ZN9rocsparseL19gebsrmvn_2xn_kernelILj128ELj8ELj4EdEEvi20rocsparse_direction_NS_24const_host_device_scalarIT2_EEPKiS6_PKS3_S8_S4_PS3_21rocsparse_index_base_b,comdat
	.globl	_ZN9rocsparseL19gebsrmvn_2xn_kernelILj128ELj8ELj4EdEEvi20rocsparse_direction_NS_24const_host_device_scalarIT2_EEPKiS6_PKS3_S8_S4_PS3_21rocsparse_index_base_b ; -- Begin function _ZN9rocsparseL19gebsrmvn_2xn_kernelILj128ELj8ELj4EdEEvi20rocsparse_direction_NS_24const_host_device_scalarIT2_EEPKiS6_PKS3_S8_S4_PS3_21rocsparse_index_base_b
	.p2align	8
	.type	_ZN9rocsparseL19gebsrmvn_2xn_kernelILj128ELj8ELj4EdEEvi20rocsparse_direction_NS_24const_host_device_scalarIT2_EEPKiS6_PKS3_S8_S4_PS3_21rocsparse_index_base_b,@function
_ZN9rocsparseL19gebsrmvn_2xn_kernelILj128ELj8ELj4EdEEvi20rocsparse_direction_NS_24const_host_device_scalarIT2_EEPKiS6_PKS3_S8_S4_PS3_21rocsparse_index_base_b: ; @_ZN9rocsparseL19gebsrmvn_2xn_kernelILj128ELj8ELj4EdEEvi20rocsparse_direction_NS_24const_host_device_scalarIT2_EEPKiS6_PKS3_S8_S4_PS3_21rocsparse_index_base_b
; %bb.0:
	s_load_dwordx2 s[2:3], s[4:5], 0x40
	s_load_dwordx2 s[10:11], s[4:5], 0x8
	s_load_dwordx2 s[0:1], s[4:5], 0x30
	s_waitcnt lgkmcnt(0)
	s_bitcmp1_b32 s3, 0
	s_cselect_b64 s[12:13], -1, 0
	v_mov_b32_e32 v1, s10
	s_xor_b64 s[8:9], s[12:13], -1
	s_and_b64 vcc, exec, s[12:13]
	v_mov_b32_e32 v2, s11
	s_cbranch_vccnz .LBB106_2
; %bb.1:
	v_mov_b32_e32 v1, s10
	v_mov_b32_e32 v2, s11
	flat_load_dwordx2 v[1:2], v[1:2]
.LBB106_2:
	v_mov_b32_e32 v4, s1
	s_andn2_b64 vcc, exec, s[8:9]
	v_mov_b32_e32 v3, s0
	s_cbranch_vccnz .LBB106_4
; %bb.3:
	v_mov_b32_e32 v4, s1
	v_mov_b32_e32 v3, s0
	flat_load_dwordx2 v[3:4], v[3:4]
.LBB106_4:
	s_waitcnt vmcnt(0) lgkmcnt(0)
	v_cmp_neq_f64_e32 vcc, 0, v[1:2]
	v_cmp_neq_f64_e64 s[0:1], 1.0, v[3:4]
	s_or_b64 s[0:1], vcc, s[0:1]
	s_and_saveexec_b64 s[8:9], s[0:1]
	s_cbranch_execz .LBB106_23
; %bb.5:
	s_load_dwordx2 s[0:1], s[4:5], 0x0
	v_lshrrev_b32_e32 v5, 2, v0
	v_lshl_or_b32 v5, s6, 5, v5
	s_waitcnt lgkmcnt(0)
	v_cmp_gt_i32_e32 vcc, s0, v5
	s_and_b64 exec, exec, vcc
	s_cbranch_execz .LBB106_23
; %bb.6:
	s_load_dwordx8 s[8:15], s[4:5], 0x10
	v_ashrrev_i32_e32 v6, 31, v5
	v_lshlrev_b64 v[6:7], 2, v[5:6]
	v_and_b32_e32 v0, 3, v0
	s_cmp_lg_u32 s1, 0
	s_waitcnt lgkmcnt(0)
	v_mov_b32_e32 v8, s9
	v_add_co_u32_e32 v6, vcc, s8, v6
	v_addc_co_u32_e32 v7, vcc, v8, v7, vcc
	global_load_dwordx2 v[6:7], v[6:7], off
	s_waitcnt vmcnt(0)
	v_subrev_u32_e32 v6, s2, v6
	v_subrev_u32_e32 v16, s2, v7
	v_add_u32_e32 v6, v6, v0
	v_cmp_lt_i32_e64 s[0:1], v6, v16
	s_cbranch_scc0 .LBB106_12
; %bb.7:
	v_mov_b32_e32 v8, 0
	v_mov_b32_e32 v10, 0
	;; [unrolled: 1-line block ×4, first 2 shown]
	s_and_saveexec_b64 s[6:7], s[0:1]
	s_cbranch_execz .LBB106_11
; %bb.8:
	v_mov_b32_e32 v8, 0
	v_mov_b32_e32 v10, 0
	v_lshlrev_b32_e32 v12, 4, v6
	v_mov_b32_e32 v9, 0
	s_mov_b64 s[8:9], 0
	v_mov_b32_e32 v7, s11
	v_mov_b32_e32 v13, 0
	;; [unrolled: 1-line block ×6, first 2 shown]
.LBB106_9:                              ; =>This Inner Loop Header: Depth=1
	v_ashrrev_i32_e32 v15, 31, v14
	v_lshlrev_b64 v[19:20], 2, v[14:15]
	v_mov_b32_e32 v32, v13
	v_add_co_u32_e32 v19, vcc, s10, v19
	v_addc_co_u32_e32 v20, vcc, v7, v20, vcc
	global_load_dword v15, v[19:20], off
	v_lshlrev_b64 v[19:20], 3, v[12:13]
	v_add_u32_e32 v14, 4, v14
	v_add_co_u32_e32 v47, vcc, s12, v19
	v_addc_co_u32_e32 v48, vcc, v17, v20, vcc
	global_load_dwordx4 v[19:22], v[47:48], off
	global_load_dwordx4 v[23:26], v[47:48], off offset:16
	global_load_dwordx4 v[27:30], v[47:48], off offset:32
	v_add_u32_e32 v12, 64, v12
	s_waitcnt vmcnt(3)
	v_subrev_u32_e32 v15, s2, v15
	v_lshlrev_b32_e32 v31, 3, v15
	v_lshlrev_b64 v[31:32], 3, v[31:32]
	v_add_co_u32_e32 v49, vcc, s14, v31
	v_addc_co_u32_e32 v50, vcc, v18, v32, vcc
	global_load_dwordx4 v[31:34], v[49:50], off
	global_load_dwordx4 v[35:38], v[49:50], off offset:16
	global_load_dwordx4 v[39:42], v[47:48], off offset:48
	;; [unrolled: 1-line block ×3, first 2 shown]
	v_cmp_ge_i32_e32 vcc, v14, v16
	s_or_b64 s[8:9], vcc, s[8:9]
	s_waitcnt vmcnt(3)
	v_fma_f64 v[19:20], v[19:20], v[31:32], v[8:9]
	v_fma_f64 v[21:22], v[21:22], v[31:32], v[10:11]
	global_load_dwordx4 v[8:11], v[49:50], off offset:32
	v_fma_f64 v[31:32], v[23:24], v[33:34], v[19:20]
	v_fma_f64 v[33:34], v[25:26], v[33:34], v[21:22]
	global_load_dwordx4 v[19:22], v[47:48], off offset:80
	global_load_dwordx4 v[23:26], v[47:48], off offset:96
	s_waitcnt vmcnt(5)
	v_fma_f64 v[51:52], v[27:28], v[35:36], v[31:32]
	v_fma_f64 v[35:36], v[29:30], v[35:36], v[33:34]
	global_load_dwordx4 v[27:30], v[49:50], off offset:48
	global_load_dwordx4 v[31:34], v[47:48], off offset:112
	s_waitcnt vmcnt(6)
	v_fma_f64 v[39:40], v[39:40], v[37:38], v[51:52]
	v_fma_f64 v[35:36], v[41:42], v[37:38], v[35:36]
	s_waitcnt vmcnt(4)
	v_fma_f64 v[37:38], v[43:44], v[8:9], v[39:40]
	v_fma_f64 v[8:9], v[45:46], v[8:9], v[35:36]
	;; [unrolled: 3-line block ×5, first 2 shown]
	s_andn2_b64 exec, exec, s[8:9]
	s_cbranch_execnz .LBB106_9
; %bb.10:
	s_or_b64 exec, exec, s[8:9]
.LBB106_11:
	s_or_b64 exec, exec, s[6:7]
	s_cbranch_execz .LBB106_13
	s_branch .LBB106_18
.LBB106_12:
                                        ; implicit-def: $vgpr8_vgpr9
                                        ; implicit-def: $vgpr10_vgpr11
.LBB106_13:
	v_mov_b32_e32 v8, 0
	v_mov_b32_e32 v10, 0
	;; [unrolled: 1-line block ×4, first 2 shown]
	s_and_saveexec_b64 s[6:7], s[0:1]
	s_cbranch_execz .LBB106_17
; %bb.14:
	v_mov_b32_e32 v8, 0
	v_mov_b32_e32 v10, 0
	v_lshlrev_b32_e32 v12, 4, v6
	v_mov_b32_e32 v9, 0
	s_mov_b64 s[0:1], 0
	v_mov_b32_e32 v14, s11
	v_mov_b32_e32 v13, 0
	;; [unrolled: 1-line block ×5, first 2 shown]
.LBB106_15:                             ; =>This Inner Loop Header: Depth=1
	v_lshlrev_b64 v[18:19], 3, v[12:13]
	v_ashrrev_i32_e32 v7, 31, v6
	v_lshlrev_b64 v[20:21], 2, v[6:7]
	v_add_co_u32_e32 v38, vcc, s12, v18
	v_addc_co_u32_e32 v39, vcc, v15, v19, vcc
	v_add_co_u32_e32 v28, vcc, s10, v20
	v_addc_co_u32_e32 v29, vcc, v14, v21, vcc
	global_load_dwordx4 v[18:21], v[38:39], off
	global_load_dwordx4 v[22:25], v[38:39], off offset:16
	global_load_dword v7, v[28:29], off
	v_mov_b32_e32 v27, v13
	v_add_u32_e32 v6, 4, v6
	v_add_u32_e32 v12, 64, v12
	s_waitcnt vmcnt(0)
	v_subrev_u32_e32 v7, s2, v7
	v_lshlrev_b32_e32 v26, 3, v7
	v_lshlrev_b64 v[26:27], 3, v[26:27]
	v_add_co_u32_e32 v40, vcc, s14, v26
	v_addc_co_u32_e32 v41, vcc, v17, v27, vcc
	global_load_dwordx4 v[26:29], v[40:41], off
	global_load_dwordx4 v[30:33], v[40:41], off offset:16
	v_cmp_ge_i32_e32 vcc, v6, v16
	s_or_b64 s[0:1], vcc, s[0:1]
	s_waitcnt vmcnt(1)
	v_fma_f64 v[7:8], v[18:19], v[26:27], v[8:9]
	v_fma_f64 v[7:8], v[20:21], v[28:29], v[7:8]
	global_load_dwordx4 v[18:21], v[38:39], off offset:64
	global_load_dwordx4 v[34:37], v[38:39], off offset:80
	s_waitcnt vmcnt(2)
	v_fma_f64 v[7:8], v[22:23], v[30:31], v[7:8]
	v_fma_f64 v[42:43], v[24:25], v[32:33], v[7:8]
	s_waitcnt vmcnt(1)
	v_fma_f64 v[9:10], v[18:19], v[26:27], v[10:11]
	v_fma_f64 v[18:19], v[20:21], v[28:29], v[9:10]
	global_load_dwordx4 v[7:10], v[38:39], off offset:32
	s_waitcnt vmcnt(1)
	v_fma_f64 v[18:19], v[34:35], v[30:31], v[18:19]
	v_fma_f64 v[34:35], v[36:37], v[32:33], v[18:19]
	global_load_dwordx4 v[18:21], v[38:39], off offset:48
	global_load_dwordx4 v[22:25], v[40:41], off offset:32
	;; [unrolled: 1-line block ×3, first 2 shown]
	s_waitcnt vmcnt(1)
	v_fma_f64 v[7:8], v[7:8], v[22:23], v[42:43]
	v_fma_f64 v[36:37], v[9:10], v[24:25], v[7:8]
	global_load_dwordx4 v[7:10], v[38:39], off offset:96
	global_load_dwordx4 v[30:33], v[38:39], off offset:112
	s_waitcnt vmcnt(1)
	v_fma_f64 v[7:8], v[7:8], v[22:23], v[34:35]
	v_fma_f64 v[7:8], v[9:10], v[24:25], v[7:8]
	;; [unrolled: 1-line block ×3, first 2 shown]
	s_waitcnt vmcnt(0)
	v_fma_f64 v[18:19], v[30:31], v[26:27], v[7:8]
	v_fma_f64 v[8:9], v[20:21], v[28:29], v[9:10]
	;; [unrolled: 1-line block ×3, first 2 shown]
	s_andn2_b64 exec, exec, s[0:1]
	s_cbranch_execnz .LBB106_15
; %bb.16:
	s_or_b64 exec, exec, s[0:1]
.LBB106_17:
	s_or_b64 exec, exec, s[6:7]
.LBB106_18:
	v_mov_b32_dpp v6, v8 row_shr:1 row_mask:0xf bank_mask:0xf
	v_mov_b32_dpp v7, v9 row_shr:1 row_mask:0xf bank_mask:0xf
	v_add_f64 v[6:7], v[8:9], v[6:7]
	v_mov_b32_dpp v8, v10 row_shr:1 row_mask:0xf bank_mask:0xf
	v_mov_b32_dpp v9, v11 row_shr:1 row_mask:0xf bank_mask:0xf
	v_add_f64 v[10:11], v[10:11], v[8:9]
	v_cmp_eq_u32_e32 vcc, 3, v0
	v_mov_b32_dpp v8, v6 row_shr:2 row_mask:0xf bank_mask:0xf
	v_mov_b32_dpp v9, v7 row_shr:2 row_mask:0xf bank_mask:0xf
	;; [unrolled: 1-line block ×4, first 2 shown]
	s_and_b64 exec, exec, vcc
	s_cbranch_execz .LBB106_23
; %bb.19:
	v_add_f64 v[8:9], v[6:7], v[8:9]
	v_add_f64 v[6:7], v[10:11], v[12:13]
	v_cmp_eq_f64_e32 vcc, 0, v[3:4]
	s_load_dwordx2 s[0:1], s[4:5], 0x38
	s_and_saveexec_b64 s[2:3], vcc
	s_xor_b64 s[2:3], exec, s[2:3]
	s_cbranch_execz .LBB106_21
; %bb.20:
	v_mul_f64 v[3:4], v[1:2], v[8:9]
	v_lshlrev_b32_e32 v0, 1, v5
	v_mul_f64 v[5:6], v[1:2], v[6:7]
	v_ashrrev_i32_e32 v1, 31, v0
	v_lshlrev_b64 v[0:1], 3, v[0:1]
	s_waitcnt lgkmcnt(0)
	v_mov_b32_e32 v2, s1
	v_add_co_u32_e32 v0, vcc, s0, v0
	v_addc_co_u32_e32 v1, vcc, v2, v1, vcc
	global_store_dwordx4 v[0:1], v[3:6], off
                                        ; implicit-def: $vgpr5
                                        ; implicit-def: $vgpr1_vgpr2
                                        ; implicit-def: $vgpr8_vgpr9
                                        ; implicit-def: $vgpr3_vgpr4
                                        ; implicit-def: $vgpr6_vgpr7
.LBB106_21:
	s_andn2_saveexec_b64 s[2:3], s[2:3]
	s_cbranch_execz .LBB106_23
; %bb.22:
	v_lshlrev_b32_e32 v10, 1, v5
	v_ashrrev_i32_e32 v11, 31, v10
	v_lshlrev_b64 v[10:11], 3, v[10:11]
	s_waitcnt lgkmcnt(0)
	v_mov_b32_e32 v0, s1
	v_add_co_u32_e32 v14, vcc, s0, v10
	v_addc_co_u32_e32 v15, vcc, v0, v11, vcc
	global_load_dwordx4 v[10:13], v[14:15], off
	v_mul_f64 v[8:9], v[1:2], v[8:9]
	v_mul_f64 v[5:6], v[1:2], v[6:7]
	s_waitcnt vmcnt(0)
	v_fma_f64 v[0:1], v[3:4], v[10:11], v[8:9]
	v_fma_f64 v[2:3], v[3:4], v[12:13], v[5:6]
	global_store_dwordx4 v[14:15], v[0:3], off
.LBB106_23:
	s_endpgm
	.section	.rodata,"a",@progbits
	.p2align	6, 0x0
	.amdhsa_kernel _ZN9rocsparseL19gebsrmvn_2xn_kernelILj128ELj8ELj4EdEEvi20rocsparse_direction_NS_24const_host_device_scalarIT2_EEPKiS6_PKS3_S8_S4_PS3_21rocsparse_index_base_b
		.amdhsa_group_segment_fixed_size 0
		.amdhsa_private_segment_fixed_size 0
		.amdhsa_kernarg_size 72
		.amdhsa_user_sgpr_count 6
		.amdhsa_user_sgpr_private_segment_buffer 1
		.amdhsa_user_sgpr_dispatch_ptr 0
		.amdhsa_user_sgpr_queue_ptr 0
		.amdhsa_user_sgpr_kernarg_segment_ptr 1
		.amdhsa_user_sgpr_dispatch_id 0
		.amdhsa_user_sgpr_flat_scratch_init 0
		.amdhsa_user_sgpr_private_segment_size 0
		.amdhsa_uses_dynamic_stack 0
		.amdhsa_system_sgpr_private_segment_wavefront_offset 0
		.amdhsa_system_sgpr_workgroup_id_x 1
		.amdhsa_system_sgpr_workgroup_id_y 0
		.amdhsa_system_sgpr_workgroup_id_z 0
		.amdhsa_system_sgpr_workgroup_info 0
		.amdhsa_system_vgpr_workitem_id 0
		.amdhsa_next_free_vgpr 53
		.amdhsa_next_free_sgpr 16
		.amdhsa_reserve_vcc 1
		.amdhsa_reserve_flat_scratch 0
		.amdhsa_float_round_mode_32 0
		.amdhsa_float_round_mode_16_64 0
		.amdhsa_float_denorm_mode_32 3
		.amdhsa_float_denorm_mode_16_64 3
		.amdhsa_dx10_clamp 1
		.amdhsa_ieee_mode 1
		.amdhsa_fp16_overflow 0
		.amdhsa_exception_fp_ieee_invalid_op 0
		.amdhsa_exception_fp_denorm_src 0
		.amdhsa_exception_fp_ieee_div_zero 0
		.amdhsa_exception_fp_ieee_overflow 0
		.amdhsa_exception_fp_ieee_underflow 0
		.amdhsa_exception_fp_ieee_inexact 0
		.amdhsa_exception_int_div_zero 0
	.end_amdhsa_kernel
	.section	.text._ZN9rocsparseL19gebsrmvn_2xn_kernelILj128ELj8ELj4EdEEvi20rocsparse_direction_NS_24const_host_device_scalarIT2_EEPKiS6_PKS3_S8_S4_PS3_21rocsparse_index_base_b,"axG",@progbits,_ZN9rocsparseL19gebsrmvn_2xn_kernelILj128ELj8ELj4EdEEvi20rocsparse_direction_NS_24const_host_device_scalarIT2_EEPKiS6_PKS3_S8_S4_PS3_21rocsparse_index_base_b,comdat
.Lfunc_end106:
	.size	_ZN9rocsparseL19gebsrmvn_2xn_kernelILj128ELj8ELj4EdEEvi20rocsparse_direction_NS_24const_host_device_scalarIT2_EEPKiS6_PKS3_S8_S4_PS3_21rocsparse_index_base_b, .Lfunc_end106-_ZN9rocsparseL19gebsrmvn_2xn_kernelILj128ELj8ELj4EdEEvi20rocsparse_direction_NS_24const_host_device_scalarIT2_EEPKiS6_PKS3_S8_S4_PS3_21rocsparse_index_base_b
                                        ; -- End function
	.set _ZN9rocsparseL19gebsrmvn_2xn_kernelILj128ELj8ELj4EdEEvi20rocsparse_direction_NS_24const_host_device_scalarIT2_EEPKiS6_PKS3_S8_S4_PS3_21rocsparse_index_base_b.num_vgpr, 53
	.set _ZN9rocsparseL19gebsrmvn_2xn_kernelILj128ELj8ELj4EdEEvi20rocsparse_direction_NS_24const_host_device_scalarIT2_EEPKiS6_PKS3_S8_S4_PS3_21rocsparse_index_base_b.num_agpr, 0
	.set _ZN9rocsparseL19gebsrmvn_2xn_kernelILj128ELj8ELj4EdEEvi20rocsparse_direction_NS_24const_host_device_scalarIT2_EEPKiS6_PKS3_S8_S4_PS3_21rocsparse_index_base_b.numbered_sgpr, 16
	.set _ZN9rocsparseL19gebsrmvn_2xn_kernelILj128ELj8ELj4EdEEvi20rocsparse_direction_NS_24const_host_device_scalarIT2_EEPKiS6_PKS3_S8_S4_PS3_21rocsparse_index_base_b.num_named_barrier, 0
	.set _ZN9rocsparseL19gebsrmvn_2xn_kernelILj128ELj8ELj4EdEEvi20rocsparse_direction_NS_24const_host_device_scalarIT2_EEPKiS6_PKS3_S8_S4_PS3_21rocsparse_index_base_b.private_seg_size, 0
	.set _ZN9rocsparseL19gebsrmvn_2xn_kernelILj128ELj8ELj4EdEEvi20rocsparse_direction_NS_24const_host_device_scalarIT2_EEPKiS6_PKS3_S8_S4_PS3_21rocsparse_index_base_b.uses_vcc, 1
	.set _ZN9rocsparseL19gebsrmvn_2xn_kernelILj128ELj8ELj4EdEEvi20rocsparse_direction_NS_24const_host_device_scalarIT2_EEPKiS6_PKS3_S8_S4_PS3_21rocsparse_index_base_b.uses_flat_scratch, 0
	.set _ZN9rocsparseL19gebsrmvn_2xn_kernelILj128ELj8ELj4EdEEvi20rocsparse_direction_NS_24const_host_device_scalarIT2_EEPKiS6_PKS3_S8_S4_PS3_21rocsparse_index_base_b.has_dyn_sized_stack, 0
	.set _ZN9rocsparseL19gebsrmvn_2xn_kernelILj128ELj8ELj4EdEEvi20rocsparse_direction_NS_24const_host_device_scalarIT2_EEPKiS6_PKS3_S8_S4_PS3_21rocsparse_index_base_b.has_recursion, 0
	.set _ZN9rocsparseL19gebsrmvn_2xn_kernelILj128ELj8ELj4EdEEvi20rocsparse_direction_NS_24const_host_device_scalarIT2_EEPKiS6_PKS3_S8_S4_PS3_21rocsparse_index_base_b.has_indirect_call, 0
	.section	.AMDGPU.csdata,"",@progbits
; Kernel info:
; codeLenInByte = 1392
; TotalNumSgprs: 20
; NumVgprs: 53
; ScratchSize: 0
; MemoryBound: 1
; FloatMode: 240
; IeeeMode: 1
; LDSByteSize: 0 bytes/workgroup (compile time only)
; SGPRBlocks: 2
; VGPRBlocks: 13
; NumSGPRsForWavesPerEU: 20
; NumVGPRsForWavesPerEU: 53
; Occupancy: 4
; WaveLimiterHint : 1
; COMPUTE_PGM_RSRC2:SCRATCH_EN: 0
; COMPUTE_PGM_RSRC2:USER_SGPR: 6
; COMPUTE_PGM_RSRC2:TRAP_HANDLER: 0
; COMPUTE_PGM_RSRC2:TGID_X_EN: 1
; COMPUTE_PGM_RSRC2:TGID_Y_EN: 0
; COMPUTE_PGM_RSRC2:TGID_Z_EN: 0
; COMPUTE_PGM_RSRC2:TIDIG_COMP_CNT: 0
	.section	.text._ZN9rocsparseL19gebsrmvn_2xn_kernelILj128ELj8ELj8EdEEvi20rocsparse_direction_NS_24const_host_device_scalarIT2_EEPKiS6_PKS3_S8_S4_PS3_21rocsparse_index_base_b,"axG",@progbits,_ZN9rocsparseL19gebsrmvn_2xn_kernelILj128ELj8ELj8EdEEvi20rocsparse_direction_NS_24const_host_device_scalarIT2_EEPKiS6_PKS3_S8_S4_PS3_21rocsparse_index_base_b,comdat
	.globl	_ZN9rocsparseL19gebsrmvn_2xn_kernelILj128ELj8ELj8EdEEvi20rocsparse_direction_NS_24const_host_device_scalarIT2_EEPKiS6_PKS3_S8_S4_PS3_21rocsparse_index_base_b ; -- Begin function _ZN9rocsparseL19gebsrmvn_2xn_kernelILj128ELj8ELj8EdEEvi20rocsparse_direction_NS_24const_host_device_scalarIT2_EEPKiS6_PKS3_S8_S4_PS3_21rocsparse_index_base_b
	.p2align	8
	.type	_ZN9rocsparseL19gebsrmvn_2xn_kernelILj128ELj8ELj8EdEEvi20rocsparse_direction_NS_24const_host_device_scalarIT2_EEPKiS6_PKS3_S8_S4_PS3_21rocsparse_index_base_b,@function
_ZN9rocsparseL19gebsrmvn_2xn_kernelILj128ELj8ELj8EdEEvi20rocsparse_direction_NS_24const_host_device_scalarIT2_EEPKiS6_PKS3_S8_S4_PS3_21rocsparse_index_base_b: ; @_ZN9rocsparseL19gebsrmvn_2xn_kernelILj128ELj8ELj8EdEEvi20rocsparse_direction_NS_24const_host_device_scalarIT2_EEPKiS6_PKS3_S8_S4_PS3_21rocsparse_index_base_b
; %bb.0:
	s_load_dwordx2 s[2:3], s[4:5], 0x40
	s_load_dwordx2 s[10:11], s[4:5], 0x8
	;; [unrolled: 1-line block ×3, first 2 shown]
	s_waitcnt lgkmcnt(0)
	s_bitcmp1_b32 s3, 0
	s_cselect_b64 s[12:13], -1, 0
	v_mov_b32_e32 v1, s10
	s_xor_b64 s[8:9], s[12:13], -1
	s_and_b64 vcc, exec, s[12:13]
	v_mov_b32_e32 v2, s11
	s_cbranch_vccnz .LBB107_2
; %bb.1:
	v_mov_b32_e32 v1, s10
	v_mov_b32_e32 v2, s11
	flat_load_dwordx2 v[1:2], v[1:2]
.LBB107_2:
	v_mov_b32_e32 v4, s1
	s_andn2_b64 vcc, exec, s[8:9]
	v_mov_b32_e32 v3, s0
	s_cbranch_vccnz .LBB107_4
; %bb.3:
	v_mov_b32_e32 v4, s1
	v_mov_b32_e32 v3, s0
	flat_load_dwordx2 v[3:4], v[3:4]
.LBB107_4:
	s_waitcnt vmcnt(0) lgkmcnt(0)
	v_cmp_neq_f64_e32 vcc, 0, v[1:2]
	v_cmp_neq_f64_e64 s[0:1], 1.0, v[3:4]
	s_or_b64 s[0:1], vcc, s[0:1]
	s_and_saveexec_b64 s[8:9], s[0:1]
	s_cbranch_execz .LBB107_23
; %bb.5:
	s_load_dwordx2 s[0:1], s[4:5], 0x0
	v_lshrrev_b32_e32 v5, 3, v0
	v_lshl_or_b32 v5, s6, 4, v5
	s_waitcnt lgkmcnt(0)
	v_cmp_gt_i32_e32 vcc, s0, v5
	s_and_b64 exec, exec, vcc
	s_cbranch_execz .LBB107_23
; %bb.6:
	s_load_dwordx8 s[8:15], s[4:5], 0x10
	v_ashrrev_i32_e32 v6, 31, v5
	v_lshlrev_b64 v[6:7], 2, v[5:6]
	v_and_b32_e32 v0, 7, v0
	s_cmp_lg_u32 s1, 0
	s_waitcnt lgkmcnt(0)
	v_mov_b32_e32 v8, s9
	v_add_co_u32_e32 v6, vcc, s8, v6
	v_addc_co_u32_e32 v7, vcc, v8, v7, vcc
	global_load_dwordx2 v[6:7], v[6:7], off
	s_waitcnt vmcnt(0)
	v_subrev_u32_e32 v6, s2, v6
	v_subrev_u32_e32 v16, s2, v7
	v_add_u32_e32 v6, v6, v0
	v_cmp_lt_i32_e64 s[0:1], v6, v16
	s_cbranch_scc0 .LBB107_12
; %bb.7:
	v_mov_b32_e32 v8, 0
	v_mov_b32_e32 v10, 0
	;; [unrolled: 1-line block ×4, first 2 shown]
	s_and_saveexec_b64 s[6:7], s[0:1]
	s_cbranch_execz .LBB107_11
; %bb.8:
	v_mov_b32_e32 v8, 0
	v_mov_b32_e32 v10, 0
	v_lshlrev_b32_e32 v12, 4, v6
	v_mov_b32_e32 v9, 0
	s_mov_b64 s[8:9], 0
	v_mov_b32_e32 v7, s11
	v_mov_b32_e32 v13, 0
	;; [unrolled: 1-line block ×6, first 2 shown]
.LBB107_9:                              ; =>This Inner Loop Header: Depth=1
	v_ashrrev_i32_e32 v15, 31, v14
	v_lshlrev_b64 v[19:20], 2, v[14:15]
	v_mov_b32_e32 v32, v13
	v_add_co_u32_e32 v19, vcc, s10, v19
	v_addc_co_u32_e32 v20, vcc, v7, v20, vcc
	global_load_dword v15, v[19:20], off
	v_lshlrev_b64 v[19:20], 3, v[12:13]
	v_add_u32_e32 v14, 8, v14
	v_add_co_u32_e32 v47, vcc, s12, v19
	v_addc_co_u32_e32 v48, vcc, v17, v20, vcc
	global_load_dwordx4 v[19:22], v[47:48], off
	global_load_dwordx4 v[23:26], v[47:48], off offset:16
	global_load_dwordx4 v[27:30], v[47:48], off offset:32
	v_add_u32_e32 v12, 0x80, v12
	s_waitcnt vmcnt(3)
	v_subrev_u32_e32 v15, s2, v15
	v_lshlrev_b32_e32 v31, 3, v15
	v_lshlrev_b64 v[31:32], 3, v[31:32]
	v_add_co_u32_e32 v49, vcc, s14, v31
	v_addc_co_u32_e32 v50, vcc, v18, v32, vcc
	global_load_dwordx4 v[31:34], v[49:50], off
	global_load_dwordx4 v[35:38], v[49:50], off offset:16
	global_load_dwordx4 v[39:42], v[47:48], off offset:48
	;; [unrolled: 1-line block ×3, first 2 shown]
	v_cmp_ge_i32_e32 vcc, v14, v16
	s_or_b64 s[8:9], vcc, s[8:9]
	s_waitcnt vmcnt(3)
	v_fma_f64 v[19:20], v[19:20], v[31:32], v[8:9]
	v_fma_f64 v[21:22], v[21:22], v[31:32], v[10:11]
	global_load_dwordx4 v[8:11], v[49:50], off offset:32
	v_fma_f64 v[31:32], v[23:24], v[33:34], v[19:20]
	v_fma_f64 v[33:34], v[25:26], v[33:34], v[21:22]
	global_load_dwordx4 v[19:22], v[47:48], off offset:80
	global_load_dwordx4 v[23:26], v[47:48], off offset:96
	s_waitcnt vmcnt(5)
	v_fma_f64 v[51:52], v[27:28], v[35:36], v[31:32]
	v_fma_f64 v[35:36], v[29:30], v[35:36], v[33:34]
	global_load_dwordx4 v[27:30], v[49:50], off offset:48
	global_load_dwordx4 v[31:34], v[47:48], off offset:112
	s_waitcnt vmcnt(6)
	v_fma_f64 v[39:40], v[39:40], v[37:38], v[51:52]
	v_fma_f64 v[35:36], v[41:42], v[37:38], v[35:36]
	s_waitcnt vmcnt(4)
	v_fma_f64 v[37:38], v[43:44], v[8:9], v[39:40]
	v_fma_f64 v[8:9], v[45:46], v[8:9], v[35:36]
	s_waitcnt vmcnt(3)
	v_fma_f64 v[19:20], v[19:20], v[10:11], v[37:38]
	v_fma_f64 v[8:9], v[21:22], v[10:11], v[8:9]
	s_waitcnt vmcnt(1)
	v_fma_f64 v[10:11], v[23:24], v[27:28], v[19:20]
	v_fma_f64 v[19:20], v[25:26], v[27:28], v[8:9]
	s_waitcnt vmcnt(0)
	v_fma_f64 v[8:9], v[31:32], v[29:30], v[10:11]
	v_fma_f64 v[10:11], v[33:34], v[29:30], v[19:20]
	s_andn2_b64 exec, exec, s[8:9]
	s_cbranch_execnz .LBB107_9
; %bb.10:
	s_or_b64 exec, exec, s[8:9]
.LBB107_11:
	s_or_b64 exec, exec, s[6:7]
	s_cbranch_execz .LBB107_13
	s_branch .LBB107_18
.LBB107_12:
                                        ; implicit-def: $vgpr8_vgpr9
                                        ; implicit-def: $vgpr10_vgpr11
.LBB107_13:
	v_mov_b32_e32 v8, 0
	v_mov_b32_e32 v10, 0
	;; [unrolled: 1-line block ×4, first 2 shown]
	s_and_saveexec_b64 s[6:7], s[0:1]
	s_cbranch_execz .LBB107_17
; %bb.14:
	v_mov_b32_e32 v8, 0
	v_mov_b32_e32 v10, 0
	v_lshlrev_b32_e32 v12, 4, v6
	v_mov_b32_e32 v9, 0
	s_mov_b64 s[0:1], 0
	v_mov_b32_e32 v14, s11
	v_mov_b32_e32 v13, 0
	;; [unrolled: 1-line block ×5, first 2 shown]
.LBB107_15:                             ; =>This Inner Loop Header: Depth=1
	v_lshlrev_b64 v[18:19], 3, v[12:13]
	v_ashrrev_i32_e32 v7, 31, v6
	v_lshlrev_b64 v[20:21], 2, v[6:7]
	v_add_co_u32_e32 v38, vcc, s12, v18
	v_addc_co_u32_e32 v39, vcc, v15, v19, vcc
	v_add_co_u32_e32 v28, vcc, s10, v20
	v_addc_co_u32_e32 v29, vcc, v14, v21, vcc
	global_load_dwordx4 v[18:21], v[38:39], off
	global_load_dwordx4 v[22:25], v[38:39], off offset:16
	global_load_dword v7, v[28:29], off
	v_mov_b32_e32 v27, v13
	v_add_u32_e32 v6, 8, v6
	v_add_u32_e32 v12, 0x80, v12
	s_waitcnt vmcnt(0)
	v_subrev_u32_e32 v7, s2, v7
	v_lshlrev_b32_e32 v26, 3, v7
	v_lshlrev_b64 v[26:27], 3, v[26:27]
	v_add_co_u32_e32 v40, vcc, s14, v26
	v_addc_co_u32_e32 v41, vcc, v17, v27, vcc
	global_load_dwordx4 v[26:29], v[40:41], off
	global_load_dwordx4 v[30:33], v[40:41], off offset:16
	v_cmp_ge_i32_e32 vcc, v6, v16
	s_or_b64 s[0:1], vcc, s[0:1]
	s_waitcnt vmcnt(1)
	v_fma_f64 v[7:8], v[18:19], v[26:27], v[8:9]
	v_fma_f64 v[7:8], v[20:21], v[28:29], v[7:8]
	global_load_dwordx4 v[18:21], v[38:39], off offset:64
	global_load_dwordx4 v[34:37], v[38:39], off offset:80
	s_waitcnt vmcnt(2)
	v_fma_f64 v[7:8], v[22:23], v[30:31], v[7:8]
	v_fma_f64 v[42:43], v[24:25], v[32:33], v[7:8]
	s_waitcnt vmcnt(1)
	v_fma_f64 v[9:10], v[18:19], v[26:27], v[10:11]
	v_fma_f64 v[18:19], v[20:21], v[28:29], v[9:10]
	global_load_dwordx4 v[7:10], v[38:39], off offset:32
	s_waitcnt vmcnt(1)
	v_fma_f64 v[18:19], v[34:35], v[30:31], v[18:19]
	v_fma_f64 v[34:35], v[36:37], v[32:33], v[18:19]
	global_load_dwordx4 v[18:21], v[38:39], off offset:48
	global_load_dwordx4 v[22:25], v[40:41], off offset:32
	;; [unrolled: 1-line block ×3, first 2 shown]
	s_waitcnt vmcnt(1)
	v_fma_f64 v[7:8], v[7:8], v[22:23], v[42:43]
	v_fma_f64 v[36:37], v[9:10], v[24:25], v[7:8]
	global_load_dwordx4 v[7:10], v[38:39], off offset:96
	global_load_dwordx4 v[30:33], v[38:39], off offset:112
	s_waitcnt vmcnt(1)
	v_fma_f64 v[7:8], v[7:8], v[22:23], v[34:35]
	v_fma_f64 v[7:8], v[9:10], v[24:25], v[7:8]
	;; [unrolled: 1-line block ×3, first 2 shown]
	s_waitcnt vmcnt(0)
	v_fma_f64 v[18:19], v[30:31], v[26:27], v[7:8]
	v_fma_f64 v[8:9], v[20:21], v[28:29], v[9:10]
	;; [unrolled: 1-line block ×3, first 2 shown]
	s_andn2_b64 exec, exec, s[0:1]
	s_cbranch_execnz .LBB107_15
; %bb.16:
	s_or_b64 exec, exec, s[0:1]
.LBB107_17:
	s_or_b64 exec, exec, s[6:7]
.LBB107_18:
	v_mov_b32_dpp v6, v8 row_shr:1 row_mask:0xf bank_mask:0xf
	v_mov_b32_dpp v7, v9 row_shr:1 row_mask:0xf bank_mask:0xf
	v_add_f64 v[6:7], v[8:9], v[6:7]
	v_mov_b32_dpp v8, v10 row_shr:1 row_mask:0xf bank_mask:0xf
	v_mov_b32_dpp v9, v11 row_shr:1 row_mask:0xf bank_mask:0xf
	v_add_f64 v[8:9], v[10:11], v[8:9]
	v_cmp_eq_u32_e32 vcc, 7, v0
	v_mov_b32_dpp v10, v6 row_shr:2 row_mask:0xf bank_mask:0xf
	v_mov_b32_dpp v11, v7 row_shr:2 row_mask:0xf bank_mask:0xf
	v_add_f64 v[6:7], v[6:7], v[10:11]
	v_mov_b32_dpp v12, v8 row_shr:2 row_mask:0xf bank_mask:0xf
	v_mov_b32_dpp v13, v9 row_shr:2 row_mask:0xf bank_mask:0xf
	v_add_f64 v[10:11], v[8:9], v[12:13]
	v_mov_b32_dpp v8, v6 row_shr:4 row_mask:0xf bank_mask:0xe
	v_mov_b32_dpp v9, v7 row_shr:4 row_mask:0xf bank_mask:0xe
	;; [unrolled: 1-line block ×4, first 2 shown]
	s_and_b64 exec, exec, vcc
	s_cbranch_execz .LBB107_23
; %bb.19:
	v_add_f64 v[8:9], v[6:7], v[8:9]
	v_add_f64 v[6:7], v[10:11], v[12:13]
	v_cmp_eq_f64_e32 vcc, 0, v[3:4]
	s_load_dwordx2 s[0:1], s[4:5], 0x38
	s_and_saveexec_b64 s[2:3], vcc
	s_xor_b64 s[2:3], exec, s[2:3]
	s_cbranch_execz .LBB107_21
; %bb.20:
	v_mul_f64 v[3:4], v[1:2], v[8:9]
	v_lshlrev_b32_e32 v0, 1, v5
	v_mul_f64 v[5:6], v[1:2], v[6:7]
	v_ashrrev_i32_e32 v1, 31, v0
	v_lshlrev_b64 v[0:1], 3, v[0:1]
	s_waitcnt lgkmcnt(0)
	v_mov_b32_e32 v2, s1
	v_add_co_u32_e32 v0, vcc, s0, v0
	v_addc_co_u32_e32 v1, vcc, v2, v1, vcc
	global_store_dwordx4 v[0:1], v[3:6], off
                                        ; implicit-def: $vgpr5
                                        ; implicit-def: $vgpr1_vgpr2
                                        ; implicit-def: $vgpr8_vgpr9
                                        ; implicit-def: $vgpr3_vgpr4
                                        ; implicit-def: $vgpr6_vgpr7
.LBB107_21:
	s_andn2_saveexec_b64 s[2:3], s[2:3]
	s_cbranch_execz .LBB107_23
; %bb.22:
	v_lshlrev_b32_e32 v10, 1, v5
	v_ashrrev_i32_e32 v11, 31, v10
	v_lshlrev_b64 v[10:11], 3, v[10:11]
	s_waitcnt lgkmcnt(0)
	v_mov_b32_e32 v0, s1
	v_add_co_u32_e32 v14, vcc, s0, v10
	v_addc_co_u32_e32 v15, vcc, v0, v11, vcc
	global_load_dwordx4 v[10:13], v[14:15], off
	v_mul_f64 v[8:9], v[1:2], v[8:9]
	v_mul_f64 v[5:6], v[1:2], v[6:7]
	s_waitcnt vmcnt(0)
	v_fma_f64 v[0:1], v[3:4], v[10:11], v[8:9]
	v_fma_f64 v[2:3], v[3:4], v[12:13], v[5:6]
	global_store_dwordx4 v[14:15], v[0:3], off
.LBB107_23:
	s_endpgm
	.section	.rodata,"a",@progbits
	.p2align	6, 0x0
	.amdhsa_kernel _ZN9rocsparseL19gebsrmvn_2xn_kernelILj128ELj8ELj8EdEEvi20rocsparse_direction_NS_24const_host_device_scalarIT2_EEPKiS6_PKS3_S8_S4_PS3_21rocsparse_index_base_b
		.amdhsa_group_segment_fixed_size 0
		.amdhsa_private_segment_fixed_size 0
		.amdhsa_kernarg_size 72
		.amdhsa_user_sgpr_count 6
		.amdhsa_user_sgpr_private_segment_buffer 1
		.amdhsa_user_sgpr_dispatch_ptr 0
		.amdhsa_user_sgpr_queue_ptr 0
		.amdhsa_user_sgpr_kernarg_segment_ptr 1
		.amdhsa_user_sgpr_dispatch_id 0
		.amdhsa_user_sgpr_flat_scratch_init 0
		.amdhsa_user_sgpr_private_segment_size 0
		.amdhsa_uses_dynamic_stack 0
		.amdhsa_system_sgpr_private_segment_wavefront_offset 0
		.amdhsa_system_sgpr_workgroup_id_x 1
		.amdhsa_system_sgpr_workgroup_id_y 0
		.amdhsa_system_sgpr_workgroup_id_z 0
		.amdhsa_system_sgpr_workgroup_info 0
		.amdhsa_system_vgpr_workitem_id 0
		.amdhsa_next_free_vgpr 53
		.amdhsa_next_free_sgpr 16
		.amdhsa_reserve_vcc 1
		.amdhsa_reserve_flat_scratch 0
		.amdhsa_float_round_mode_32 0
		.amdhsa_float_round_mode_16_64 0
		.amdhsa_float_denorm_mode_32 3
		.amdhsa_float_denorm_mode_16_64 3
		.amdhsa_dx10_clamp 1
		.amdhsa_ieee_mode 1
		.amdhsa_fp16_overflow 0
		.amdhsa_exception_fp_ieee_invalid_op 0
		.amdhsa_exception_fp_denorm_src 0
		.amdhsa_exception_fp_ieee_div_zero 0
		.amdhsa_exception_fp_ieee_overflow 0
		.amdhsa_exception_fp_ieee_underflow 0
		.amdhsa_exception_fp_ieee_inexact 0
		.amdhsa_exception_int_div_zero 0
	.end_amdhsa_kernel
	.section	.text._ZN9rocsparseL19gebsrmvn_2xn_kernelILj128ELj8ELj8EdEEvi20rocsparse_direction_NS_24const_host_device_scalarIT2_EEPKiS6_PKS3_S8_S4_PS3_21rocsparse_index_base_b,"axG",@progbits,_ZN9rocsparseL19gebsrmvn_2xn_kernelILj128ELj8ELj8EdEEvi20rocsparse_direction_NS_24const_host_device_scalarIT2_EEPKiS6_PKS3_S8_S4_PS3_21rocsparse_index_base_b,comdat
.Lfunc_end107:
	.size	_ZN9rocsparseL19gebsrmvn_2xn_kernelILj128ELj8ELj8EdEEvi20rocsparse_direction_NS_24const_host_device_scalarIT2_EEPKiS6_PKS3_S8_S4_PS3_21rocsparse_index_base_b, .Lfunc_end107-_ZN9rocsparseL19gebsrmvn_2xn_kernelILj128ELj8ELj8EdEEvi20rocsparse_direction_NS_24const_host_device_scalarIT2_EEPKiS6_PKS3_S8_S4_PS3_21rocsparse_index_base_b
                                        ; -- End function
	.set _ZN9rocsparseL19gebsrmvn_2xn_kernelILj128ELj8ELj8EdEEvi20rocsparse_direction_NS_24const_host_device_scalarIT2_EEPKiS6_PKS3_S8_S4_PS3_21rocsparse_index_base_b.num_vgpr, 53
	.set _ZN9rocsparseL19gebsrmvn_2xn_kernelILj128ELj8ELj8EdEEvi20rocsparse_direction_NS_24const_host_device_scalarIT2_EEPKiS6_PKS3_S8_S4_PS3_21rocsparse_index_base_b.num_agpr, 0
	.set _ZN9rocsparseL19gebsrmvn_2xn_kernelILj128ELj8ELj8EdEEvi20rocsparse_direction_NS_24const_host_device_scalarIT2_EEPKiS6_PKS3_S8_S4_PS3_21rocsparse_index_base_b.numbered_sgpr, 16
	.set _ZN9rocsparseL19gebsrmvn_2xn_kernelILj128ELj8ELj8EdEEvi20rocsparse_direction_NS_24const_host_device_scalarIT2_EEPKiS6_PKS3_S8_S4_PS3_21rocsparse_index_base_b.num_named_barrier, 0
	.set _ZN9rocsparseL19gebsrmvn_2xn_kernelILj128ELj8ELj8EdEEvi20rocsparse_direction_NS_24const_host_device_scalarIT2_EEPKiS6_PKS3_S8_S4_PS3_21rocsparse_index_base_b.private_seg_size, 0
	.set _ZN9rocsparseL19gebsrmvn_2xn_kernelILj128ELj8ELj8EdEEvi20rocsparse_direction_NS_24const_host_device_scalarIT2_EEPKiS6_PKS3_S8_S4_PS3_21rocsparse_index_base_b.uses_vcc, 1
	.set _ZN9rocsparseL19gebsrmvn_2xn_kernelILj128ELj8ELj8EdEEvi20rocsparse_direction_NS_24const_host_device_scalarIT2_EEPKiS6_PKS3_S8_S4_PS3_21rocsparse_index_base_b.uses_flat_scratch, 0
	.set _ZN9rocsparseL19gebsrmvn_2xn_kernelILj128ELj8ELj8EdEEvi20rocsparse_direction_NS_24const_host_device_scalarIT2_EEPKiS6_PKS3_S8_S4_PS3_21rocsparse_index_base_b.has_dyn_sized_stack, 0
	.set _ZN9rocsparseL19gebsrmvn_2xn_kernelILj128ELj8ELj8EdEEvi20rocsparse_direction_NS_24const_host_device_scalarIT2_EEPKiS6_PKS3_S8_S4_PS3_21rocsparse_index_base_b.has_recursion, 0
	.set _ZN9rocsparseL19gebsrmvn_2xn_kernelILj128ELj8ELj8EdEEvi20rocsparse_direction_NS_24const_host_device_scalarIT2_EEPKiS6_PKS3_S8_S4_PS3_21rocsparse_index_base_b.has_indirect_call, 0
	.section	.AMDGPU.csdata,"",@progbits
; Kernel info:
; codeLenInByte = 1448
; TotalNumSgprs: 20
; NumVgprs: 53
; ScratchSize: 0
; MemoryBound: 1
; FloatMode: 240
; IeeeMode: 1
; LDSByteSize: 0 bytes/workgroup (compile time only)
; SGPRBlocks: 2
; VGPRBlocks: 13
; NumSGPRsForWavesPerEU: 20
; NumVGPRsForWavesPerEU: 53
; Occupancy: 4
; WaveLimiterHint : 1
; COMPUTE_PGM_RSRC2:SCRATCH_EN: 0
; COMPUTE_PGM_RSRC2:USER_SGPR: 6
; COMPUTE_PGM_RSRC2:TRAP_HANDLER: 0
; COMPUTE_PGM_RSRC2:TGID_X_EN: 1
; COMPUTE_PGM_RSRC2:TGID_Y_EN: 0
; COMPUTE_PGM_RSRC2:TGID_Z_EN: 0
; COMPUTE_PGM_RSRC2:TIDIG_COMP_CNT: 0
	.section	.text._ZN9rocsparseL19gebsrmvn_2xn_kernelILj128ELj8ELj16EdEEvi20rocsparse_direction_NS_24const_host_device_scalarIT2_EEPKiS6_PKS3_S8_S4_PS3_21rocsparse_index_base_b,"axG",@progbits,_ZN9rocsparseL19gebsrmvn_2xn_kernelILj128ELj8ELj16EdEEvi20rocsparse_direction_NS_24const_host_device_scalarIT2_EEPKiS6_PKS3_S8_S4_PS3_21rocsparse_index_base_b,comdat
	.globl	_ZN9rocsparseL19gebsrmvn_2xn_kernelILj128ELj8ELj16EdEEvi20rocsparse_direction_NS_24const_host_device_scalarIT2_EEPKiS6_PKS3_S8_S4_PS3_21rocsparse_index_base_b ; -- Begin function _ZN9rocsparseL19gebsrmvn_2xn_kernelILj128ELj8ELj16EdEEvi20rocsparse_direction_NS_24const_host_device_scalarIT2_EEPKiS6_PKS3_S8_S4_PS3_21rocsparse_index_base_b
	.p2align	8
	.type	_ZN9rocsparseL19gebsrmvn_2xn_kernelILj128ELj8ELj16EdEEvi20rocsparse_direction_NS_24const_host_device_scalarIT2_EEPKiS6_PKS3_S8_S4_PS3_21rocsparse_index_base_b,@function
_ZN9rocsparseL19gebsrmvn_2xn_kernelILj128ELj8ELj16EdEEvi20rocsparse_direction_NS_24const_host_device_scalarIT2_EEPKiS6_PKS3_S8_S4_PS3_21rocsparse_index_base_b: ; @_ZN9rocsparseL19gebsrmvn_2xn_kernelILj128ELj8ELj16EdEEvi20rocsparse_direction_NS_24const_host_device_scalarIT2_EEPKiS6_PKS3_S8_S4_PS3_21rocsparse_index_base_b
; %bb.0:
	s_load_dwordx2 s[2:3], s[4:5], 0x40
	s_load_dwordx2 s[10:11], s[4:5], 0x8
	;; [unrolled: 1-line block ×3, first 2 shown]
	s_waitcnt lgkmcnt(0)
	s_bitcmp1_b32 s3, 0
	s_cselect_b64 s[12:13], -1, 0
	v_mov_b32_e32 v1, s10
	s_xor_b64 s[8:9], s[12:13], -1
	s_and_b64 vcc, exec, s[12:13]
	v_mov_b32_e32 v2, s11
	s_cbranch_vccnz .LBB108_2
; %bb.1:
	v_mov_b32_e32 v1, s10
	v_mov_b32_e32 v2, s11
	flat_load_dwordx2 v[1:2], v[1:2]
.LBB108_2:
	v_mov_b32_e32 v4, s1
	s_andn2_b64 vcc, exec, s[8:9]
	v_mov_b32_e32 v3, s0
	s_cbranch_vccnz .LBB108_4
; %bb.3:
	v_mov_b32_e32 v4, s1
	v_mov_b32_e32 v3, s0
	flat_load_dwordx2 v[3:4], v[3:4]
.LBB108_4:
	s_waitcnt vmcnt(0) lgkmcnt(0)
	v_cmp_neq_f64_e32 vcc, 0, v[1:2]
	v_cmp_neq_f64_e64 s[0:1], 1.0, v[3:4]
	s_or_b64 s[0:1], vcc, s[0:1]
	s_and_saveexec_b64 s[8:9], s[0:1]
	s_cbranch_execz .LBB108_23
; %bb.5:
	s_load_dwordx2 s[0:1], s[4:5], 0x0
	v_lshrrev_b32_e32 v5, 4, v0
	v_lshl_or_b32 v5, s6, 3, v5
	s_waitcnt lgkmcnt(0)
	v_cmp_gt_i32_e32 vcc, s0, v5
	s_and_b64 exec, exec, vcc
	s_cbranch_execz .LBB108_23
; %bb.6:
	s_load_dwordx8 s[8:15], s[4:5], 0x10
	v_ashrrev_i32_e32 v6, 31, v5
	v_lshlrev_b64 v[6:7], 2, v[5:6]
	v_and_b32_e32 v0, 15, v0
	s_cmp_lg_u32 s1, 0
	s_waitcnt lgkmcnt(0)
	v_mov_b32_e32 v8, s9
	v_add_co_u32_e32 v6, vcc, s8, v6
	v_addc_co_u32_e32 v7, vcc, v8, v7, vcc
	global_load_dwordx2 v[6:7], v[6:7], off
	s_waitcnt vmcnt(0)
	v_subrev_u32_e32 v6, s2, v6
	v_subrev_u32_e32 v16, s2, v7
	v_add_u32_e32 v6, v6, v0
	v_cmp_lt_i32_e64 s[0:1], v6, v16
	s_cbranch_scc0 .LBB108_12
; %bb.7:
	v_mov_b32_e32 v8, 0
	v_mov_b32_e32 v10, 0
	;; [unrolled: 1-line block ×4, first 2 shown]
	s_and_saveexec_b64 s[6:7], s[0:1]
	s_cbranch_execz .LBB108_11
; %bb.8:
	v_mov_b32_e32 v8, 0
	v_mov_b32_e32 v10, 0
	v_lshlrev_b32_e32 v12, 4, v6
	v_mov_b32_e32 v9, 0
	s_mov_b64 s[8:9], 0
	v_mov_b32_e32 v7, s11
	v_mov_b32_e32 v13, 0
	;; [unrolled: 1-line block ×6, first 2 shown]
.LBB108_9:                              ; =>This Inner Loop Header: Depth=1
	v_ashrrev_i32_e32 v15, 31, v14
	v_lshlrev_b64 v[19:20], 2, v[14:15]
	v_mov_b32_e32 v32, v13
	v_add_co_u32_e32 v19, vcc, s10, v19
	v_addc_co_u32_e32 v20, vcc, v7, v20, vcc
	global_load_dword v15, v[19:20], off
	v_lshlrev_b64 v[19:20], 3, v[12:13]
	v_add_u32_e32 v14, 16, v14
	v_add_co_u32_e32 v47, vcc, s12, v19
	v_addc_co_u32_e32 v48, vcc, v17, v20, vcc
	global_load_dwordx4 v[19:22], v[47:48], off
	global_load_dwordx4 v[23:26], v[47:48], off offset:16
	global_load_dwordx4 v[27:30], v[47:48], off offset:32
	v_add_u32_e32 v12, 0x100, v12
	s_waitcnt vmcnt(3)
	v_subrev_u32_e32 v15, s2, v15
	v_lshlrev_b32_e32 v31, 3, v15
	v_lshlrev_b64 v[31:32], 3, v[31:32]
	v_add_co_u32_e32 v49, vcc, s14, v31
	v_addc_co_u32_e32 v50, vcc, v18, v32, vcc
	global_load_dwordx4 v[31:34], v[49:50], off
	global_load_dwordx4 v[35:38], v[49:50], off offset:16
	global_load_dwordx4 v[39:42], v[47:48], off offset:48
	;; [unrolled: 1-line block ×3, first 2 shown]
	v_cmp_ge_i32_e32 vcc, v14, v16
	s_or_b64 s[8:9], vcc, s[8:9]
	s_waitcnt vmcnt(3)
	v_fma_f64 v[19:20], v[19:20], v[31:32], v[8:9]
	v_fma_f64 v[21:22], v[21:22], v[31:32], v[10:11]
	global_load_dwordx4 v[8:11], v[49:50], off offset:32
	v_fma_f64 v[31:32], v[23:24], v[33:34], v[19:20]
	v_fma_f64 v[33:34], v[25:26], v[33:34], v[21:22]
	global_load_dwordx4 v[19:22], v[47:48], off offset:80
	global_load_dwordx4 v[23:26], v[47:48], off offset:96
	s_waitcnt vmcnt(5)
	v_fma_f64 v[51:52], v[27:28], v[35:36], v[31:32]
	v_fma_f64 v[35:36], v[29:30], v[35:36], v[33:34]
	global_load_dwordx4 v[27:30], v[49:50], off offset:48
	global_load_dwordx4 v[31:34], v[47:48], off offset:112
	s_waitcnt vmcnt(6)
	v_fma_f64 v[39:40], v[39:40], v[37:38], v[51:52]
	v_fma_f64 v[35:36], v[41:42], v[37:38], v[35:36]
	s_waitcnt vmcnt(4)
	v_fma_f64 v[37:38], v[43:44], v[8:9], v[39:40]
	v_fma_f64 v[8:9], v[45:46], v[8:9], v[35:36]
	;; [unrolled: 3-line block ×5, first 2 shown]
	s_andn2_b64 exec, exec, s[8:9]
	s_cbranch_execnz .LBB108_9
; %bb.10:
	s_or_b64 exec, exec, s[8:9]
.LBB108_11:
	s_or_b64 exec, exec, s[6:7]
	s_cbranch_execz .LBB108_13
	s_branch .LBB108_18
.LBB108_12:
                                        ; implicit-def: $vgpr8_vgpr9
                                        ; implicit-def: $vgpr10_vgpr11
.LBB108_13:
	v_mov_b32_e32 v8, 0
	v_mov_b32_e32 v10, 0
	;; [unrolled: 1-line block ×4, first 2 shown]
	s_and_saveexec_b64 s[6:7], s[0:1]
	s_cbranch_execz .LBB108_17
; %bb.14:
	v_mov_b32_e32 v8, 0
	v_mov_b32_e32 v10, 0
	v_lshlrev_b32_e32 v12, 4, v6
	v_mov_b32_e32 v9, 0
	s_mov_b64 s[0:1], 0
	v_mov_b32_e32 v14, s11
	v_mov_b32_e32 v13, 0
	;; [unrolled: 1-line block ×5, first 2 shown]
.LBB108_15:                             ; =>This Inner Loop Header: Depth=1
	v_lshlrev_b64 v[18:19], 3, v[12:13]
	v_ashrrev_i32_e32 v7, 31, v6
	v_lshlrev_b64 v[20:21], 2, v[6:7]
	v_add_co_u32_e32 v38, vcc, s12, v18
	v_addc_co_u32_e32 v39, vcc, v15, v19, vcc
	v_add_co_u32_e32 v28, vcc, s10, v20
	v_addc_co_u32_e32 v29, vcc, v14, v21, vcc
	global_load_dwordx4 v[18:21], v[38:39], off
	global_load_dwordx4 v[22:25], v[38:39], off offset:16
	global_load_dword v7, v[28:29], off
	v_mov_b32_e32 v27, v13
	v_add_u32_e32 v6, 16, v6
	v_add_u32_e32 v12, 0x100, v12
	s_waitcnt vmcnt(0)
	v_subrev_u32_e32 v7, s2, v7
	v_lshlrev_b32_e32 v26, 3, v7
	v_lshlrev_b64 v[26:27], 3, v[26:27]
	v_add_co_u32_e32 v40, vcc, s14, v26
	v_addc_co_u32_e32 v41, vcc, v17, v27, vcc
	global_load_dwordx4 v[26:29], v[40:41], off
	global_load_dwordx4 v[30:33], v[40:41], off offset:16
	v_cmp_ge_i32_e32 vcc, v6, v16
	s_or_b64 s[0:1], vcc, s[0:1]
	s_waitcnt vmcnt(1)
	v_fma_f64 v[7:8], v[18:19], v[26:27], v[8:9]
	v_fma_f64 v[7:8], v[20:21], v[28:29], v[7:8]
	global_load_dwordx4 v[18:21], v[38:39], off offset:64
	global_load_dwordx4 v[34:37], v[38:39], off offset:80
	s_waitcnt vmcnt(2)
	v_fma_f64 v[7:8], v[22:23], v[30:31], v[7:8]
	v_fma_f64 v[42:43], v[24:25], v[32:33], v[7:8]
	s_waitcnt vmcnt(1)
	v_fma_f64 v[9:10], v[18:19], v[26:27], v[10:11]
	v_fma_f64 v[18:19], v[20:21], v[28:29], v[9:10]
	global_load_dwordx4 v[7:10], v[38:39], off offset:32
	s_waitcnt vmcnt(1)
	v_fma_f64 v[18:19], v[34:35], v[30:31], v[18:19]
	v_fma_f64 v[34:35], v[36:37], v[32:33], v[18:19]
	global_load_dwordx4 v[18:21], v[38:39], off offset:48
	global_load_dwordx4 v[22:25], v[40:41], off offset:32
	;; [unrolled: 1-line block ×3, first 2 shown]
	s_waitcnt vmcnt(1)
	v_fma_f64 v[7:8], v[7:8], v[22:23], v[42:43]
	v_fma_f64 v[36:37], v[9:10], v[24:25], v[7:8]
	global_load_dwordx4 v[7:10], v[38:39], off offset:96
	global_load_dwordx4 v[30:33], v[38:39], off offset:112
	s_waitcnt vmcnt(1)
	v_fma_f64 v[7:8], v[7:8], v[22:23], v[34:35]
	v_fma_f64 v[7:8], v[9:10], v[24:25], v[7:8]
	v_fma_f64 v[9:10], v[18:19], v[26:27], v[36:37]
	s_waitcnt vmcnt(0)
	v_fma_f64 v[18:19], v[30:31], v[26:27], v[7:8]
	v_fma_f64 v[8:9], v[20:21], v[28:29], v[9:10]
	;; [unrolled: 1-line block ×3, first 2 shown]
	s_andn2_b64 exec, exec, s[0:1]
	s_cbranch_execnz .LBB108_15
; %bb.16:
	s_or_b64 exec, exec, s[0:1]
.LBB108_17:
	s_or_b64 exec, exec, s[6:7]
.LBB108_18:
	v_mov_b32_dpp v6, v8 row_shr:1 row_mask:0xf bank_mask:0xf
	v_mov_b32_dpp v7, v9 row_shr:1 row_mask:0xf bank_mask:0xf
	v_add_f64 v[6:7], v[8:9], v[6:7]
	v_mov_b32_dpp v8, v10 row_shr:1 row_mask:0xf bank_mask:0xf
	v_mov_b32_dpp v9, v11 row_shr:1 row_mask:0xf bank_mask:0xf
	v_add_f64 v[8:9], v[10:11], v[8:9]
	v_cmp_eq_u32_e32 vcc, 15, v0
	v_mov_b32_dpp v10, v6 row_shr:2 row_mask:0xf bank_mask:0xf
	v_mov_b32_dpp v11, v7 row_shr:2 row_mask:0xf bank_mask:0xf
	v_add_f64 v[6:7], v[6:7], v[10:11]
	v_mov_b32_dpp v12, v8 row_shr:2 row_mask:0xf bank_mask:0xf
	v_mov_b32_dpp v13, v9 row_shr:2 row_mask:0xf bank_mask:0xf
	v_add_f64 v[8:9], v[8:9], v[12:13]
	;; [unrolled: 3-line block ×4, first 2 shown]
	v_mov_b32_dpp v8, v6 row_shr:8 row_mask:0xf bank_mask:0xc
	v_mov_b32_dpp v9, v7 row_shr:8 row_mask:0xf bank_mask:0xc
	v_mov_b32_dpp v12, v10 row_shr:8 row_mask:0xf bank_mask:0xc
	v_mov_b32_dpp v13, v11 row_shr:8 row_mask:0xf bank_mask:0xc
	s_and_b64 exec, exec, vcc
	s_cbranch_execz .LBB108_23
; %bb.19:
	v_add_f64 v[8:9], v[6:7], v[8:9]
	v_add_f64 v[6:7], v[10:11], v[12:13]
	v_cmp_eq_f64_e32 vcc, 0, v[3:4]
	s_load_dwordx2 s[0:1], s[4:5], 0x38
	s_and_saveexec_b64 s[2:3], vcc
	s_xor_b64 s[2:3], exec, s[2:3]
	s_cbranch_execz .LBB108_21
; %bb.20:
	v_mul_f64 v[3:4], v[1:2], v[8:9]
	v_lshlrev_b32_e32 v0, 1, v5
	v_mul_f64 v[5:6], v[1:2], v[6:7]
	v_ashrrev_i32_e32 v1, 31, v0
	v_lshlrev_b64 v[0:1], 3, v[0:1]
	s_waitcnt lgkmcnt(0)
	v_mov_b32_e32 v2, s1
	v_add_co_u32_e32 v0, vcc, s0, v0
	v_addc_co_u32_e32 v1, vcc, v2, v1, vcc
	global_store_dwordx4 v[0:1], v[3:6], off
                                        ; implicit-def: $vgpr5
                                        ; implicit-def: $vgpr1_vgpr2
                                        ; implicit-def: $vgpr8_vgpr9
                                        ; implicit-def: $vgpr3_vgpr4
                                        ; implicit-def: $vgpr6_vgpr7
.LBB108_21:
	s_andn2_saveexec_b64 s[2:3], s[2:3]
	s_cbranch_execz .LBB108_23
; %bb.22:
	v_lshlrev_b32_e32 v10, 1, v5
	v_ashrrev_i32_e32 v11, 31, v10
	v_lshlrev_b64 v[10:11], 3, v[10:11]
	s_waitcnt lgkmcnt(0)
	v_mov_b32_e32 v0, s1
	v_add_co_u32_e32 v14, vcc, s0, v10
	v_addc_co_u32_e32 v15, vcc, v0, v11, vcc
	global_load_dwordx4 v[10:13], v[14:15], off
	v_mul_f64 v[8:9], v[1:2], v[8:9]
	v_mul_f64 v[5:6], v[1:2], v[6:7]
	s_waitcnt vmcnt(0)
	v_fma_f64 v[0:1], v[3:4], v[10:11], v[8:9]
	v_fma_f64 v[2:3], v[3:4], v[12:13], v[5:6]
	global_store_dwordx4 v[14:15], v[0:3], off
.LBB108_23:
	s_endpgm
	.section	.rodata,"a",@progbits
	.p2align	6, 0x0
	.amdhsa_kernel _ZN9rocsparseL19gebsrmvn_2xn_kernelILj128ELj8ELj16EdEEvi20rocsparse_direction_NS_24const_host_device_scalarIT2_EEPKiS6_PKS3_S8_S4_PS3_21rocsparse_index_base_b
		.amdhsa_group_segment_fixed_size 0
		.amdhsa_private_segment_fixed_size 0
		.amdhsa_kernarg_size 72
		.amdhsa_user_sgpr_count 6
		.amdhsa_user_sgpr_private_segment_buffer 1
		.amdhsa_user_sgpr_dispatch_ptr 0
		.amdhsa_user_sgpr_queue_ptr 0
		.amdhsa_user_sgpr_kernarg_segment_ptr 1
		.amdhsa_user_sgpr_dispatch_id 0
		.amdhsa_user_sgpr_flat_scratch_init 0
		.amdhsa_user_sgpr_private_segment_size 0
		.amdhsa_uses_dynamic_stack 0
		.amdhsa_system_sgpr_private_segment_wavefront_offset 0
		.amdhsa_system_sgpr_workgroup_id_x 1
		.amdhsa_system_sgpr_workgroup_id_y 0
		.amdhsa_system_sgpr_workgroup_id_z 0
		.amdhsa_system_sgpr_workgroup_info 0
		.amdhsa_system_vgpr_workitem_id 0
		.amdhsa_next_free_vgpr 53
		.amdhsa_next_free_sgpr 16
		.amdhsa_reserve_vcc 1
		.amdhsa_reserve_flat_scratch 0
		.amdhsa_float_round_mode_32 0
		.amdhsa_float_round_mode_16_64 0
		.amdhsa_float_denorm_mode_32 3
		.amdhsa_float_denorm_mode_16_64 3
		.amdhsa_dx10_clamp 1
		.amdhsa_ieee_mode 1
		.amdhsa_fp16_overflow 0
		.amdhsa_exception_fp_ieee_invalid_op 0
		.amdhsa_exception_fp_denorm_src 0
		.amdhsa_exception_fp_ieee_div_zero 0
		.amdhsa_exception_fp_ieee_overflow 0
		.amdhsa_exception_fp_ieee_underflow 0
		.amdhsa_exception_fp_ieee_inexact 0
		.amdhsa_exception_int_div_zero 0
	.end_amdhsa_kernel
	.section	.text._ZN9rocsparseL19gebsrmvn_2xn_kernelILj128ELj8ELj16EdEEvi20rocsparse_direction_NS_24const_host_device_scalarIT2_EEPKiS6_PKS3_S8_S4_PS3_21rocsparse_index_base_b,"axG",@progbits,_ZN9rocsparseL19gebsrmvn_2xn_kernelILj128ELj8ELj16EdEEvi20rocsparse_direction_NS_24const_host_device_scalarIT2_EEPKiS6_PKS3_S8_S4_PS3_21rocsparse_index_base_b,comdat
.Lfunc_end108:
	.size	_ZN9rocsparseL19gebsrmvn_2xn_kernelILj128ELj8ELj16EdEEvi20rocsparse_direction_NS_24const_host_device_scalarIT2_EEPKiS6_PKS3_S8_S4_PS3_21rocsparse_index_base_b, .Lfunc_end108-_ZN9rocsparseL19gebsrmvn_2xn_kernelILj128ELj8ELj16EdEEvi20rocsparse_direction_NS_24const_host_device_scalarIT2_EEPKiS6_PKS3_S8_S4_PS3_21rocsparse_index_base_b
                                        ; -- End function
	.set _ZN9rocsparseL19gebsrmvn_2xn_kernelILj128ELj8ELj16EdEEvi20rocsparse_direction_NS_24const_host_device_scalarIT2_EEPKiS6_PKS3_S8_S4_PS3_21rocsparse_index_base_b.num_vgpr, 53
	.set _ZN9rocsparseL19gebsrmvn_2xn_kernelILj128ELj8ELj16EdEEvi20rocsparse_direction_NS_24const_host_device_scalarIT2_EEPKiS6_PKS3_S8_S4_PS3_21rocsparse_index_base_b.num_agpr, 0
	.set _ZN9rocsparseL19gebsrmvn_2xn_kernelILj128ELj8ELj16EdEEvi20rocsparse_direction_NS_24const_host_device_scalarIT2_EEPKiS6_PKS3_S8_S4_PS3_21rocsparse_index_base_b.numbered_sgpr, 16
	.set _ZN9rocsparseL19gebsrmvn_2xn_kernelILj128ELj8ELj16EdEEvi20rocsparse_direction_NS_24const_host_device_scalarIT2_EEPKiS6_PKS3_S8_S4_PS3_21rocsparse_index_base_b.num_named_barrier, 0
	.set _ZN9rocsparseL19gebsrmvn_2xn_kernelILj128ELj8ELj16EdEEvi20rocsparse_direction_NS_24const_host_device_scalarIT2_EEPKiS6_PKS3_S8_S4_PS3_21rocsparse_index_base_b.private_seg_size, 0
	.set _ZN9rocsparseL19gebsrmvn_2xn_kernelILj128ELj8ELj16EdEEvi20rocsparse_direction_NS_24const_host_device_scalarIT2_EEPKiS6_PKS3_S8_S4_PS3_21rocsparse_index_base_b.uses_vcc, 1
	.set _ZN9rocsparseL19gebsrmvn_2xn_kernelILj128ELj8ELj16EdEEvi20rocsparse_direction_NS_24const_host_device_scalarIT2_EEPKiS6_PKS3_S8_S4_PS3_21rocsparse_index_base_b.uses_flat_scratch, 0
	.set _ZN9rocsparseL19gebsrmvn_2xn_kernelILj128ELj8ELj16EdEEvi20rocsparse_direction_NS_24const_host_device_scalarIT2_EEPKiS6_PKS3_S8_S4_PS3_21rocsparse_index_base_b.has_dyn_sized_stack, 0
	.set _ZN9rocsparseL19gebsrmvn_2xn_kernelILj128ELj8ELj16EdEEvi20rocsparse_direction_NS_24const_host_device_scalarIT2_EEPKiS6_PKS3_S8_S4_PS3_21rocsparse_index_base_b.has_recursion, 0
	.set _ZN9rocsparseL19gebsrmvn_2xn_kernelILj128ELj8ELj16EdEEvi20rocsparse_direction_NS_24const_host_device_scalarIT2_EEPKiS6_PKS3_S8_S4_PS3_21rocsparse_index_base_b.has_indirect_call, 0
	.section	.AMDGPU.csdata,"",@progbits
; Kernel info:
; codeLenInByte = 1496
; TotalNumSgprs: 20
; NumVgprs: 53
; ScratchSize: 0
; MemoryBound: 1
; FloatMode: 240
; IeeeMode: 1
; LDSByteSize: 0 bytes/workgroup (compile time only)
; SGPRBlocks: 2
; VGPRBlocks: 13
; NumSGPRsForWavesPerEU: 20
; NumVGPRsForWavesPerEU: 53
; Occupancy: 4
; WaveLimiterHint : 1
; COMPUTE_PGM_RSRC2:SCRATCH_EN: 0
; COMPUTE_PGM_RSRC2:USER_SGPR: 6
; COMPUTE_PGM_RSRC2:TRAP_HANDLER: 0
; COMPUTE_PGM_RSRC2:TGID_X_EN: 1
; COMPUTE_PGM_RSRC2:TGID_Y_EN: 0
; COMPUTE_PGM_RSRC2:TGID_Z_EN: 0
; COMPUTE_PGM_RSRC2:TIDIG_COMP_CNT: 0
	.section	.text._ZN9rocsparseL19gebsrmvn_2xn_kernelILj128ELj8ELj32EdEEvi20rocsparse_direction_NS_24const_host_device_scalarIT2_EEPKiS6_PKS3_S8_S4_PS3_21rocsparse_index_base_b,"axG",@progbits,_ZN9rocsparseL19gebsrmvn_2xn_kernelILj128ELj8ELj32EdEEvi20rocsparse_direction_NS_24const_host_device_scalarIT2_EEPKiS6_PKS3_S8_S4_PS3_21rocsparse_index_base_b,comdat
	.globl	_ZN9rocsparseL19gebsrmvn_2xn_kernelILj128ELj8ELj32EdEEvi20rocsparse_direction_NS_24const_host_device_scalarIT2_EEPKiS6_PKS3_S8_S4_PS3_21rocsparse_index_base_b ; -- Begin function _ZN9rocsparseL19gebsrmvn_2xn_kernelILj128ELj8ELj32EdEEvi20rocsparse_direction_NS_24const_host_device_scalarIT2_EEPKiS6_PKS3_S8_S4_PS3_21rocsparse_index_base_b
	.p2align	8
	.type	_ZN9rocsparseL19gebsrmvn_2xn_kernelILj128ELj8ELj32EdEEvi20rocsparse_direction_NS_24const_host_device_scalarIT2_EEPKiS6_PKS3_S8_S4_PS3_21rocsparse_index_base_b,@function
_ZN9rocsparseL19gebsrmvn_2xn_kernelILj128ELj8ELj32EdEEvi20rocsparse_direction_NS_24const_host_device_scalarIT2_EEPKiS6_PKS3_S8_S4_PS3_21rocsparse_index_base_b: ; @_ZN9rocsparseL19gebsrmvn_2xn_kernelILj128ELj8ELj32EdEEvi20rocsparse_direction_NS_24const_host_device_scalarIT2_EEPKiS6_PKS3_S8_S4_PS3_21rocsparse_index_base_b
; %bb.0:
	s_load_dwordx2 s[2:3], s[4:5], 0x40
	s_load_dwordx2 s[10:11], s[4:5], 0x8
	;; [unrolled: 1-line block ×3, first 2 shown]
	s_waitcnt lgkmcnt(0)
	s_bitcmp1_b32 s3, 0
	s_cselect_b64 s[12:13], -1, 0
	v_mov_b32_e32 v1, s10
	s_xor_b64 s[8:9], s[12:13], -1
	s_and_b64 vcc, exec, s[12:13]
	v_mov_b32_e32 v2, s11
	s_cbranch_vccnz .LBB109_2
; %bb.1:
	v_mov_b32_e32 v1, s10
	v_mov_b32_e32 v2, s11
	flat_load_dwordx2 v[1:2], v[1:2]
.LBB109_2:
	v_mov_b32_e32 v4, s1
	s_andn2_b64 vcc, exec, s[8:9]
	v_mov_b32_e32 v3, s0
	s_cbranch_vccnz .LBB109_4
; %bb.3:
	v_mov_b32_e32 v4, s1
	v_mov_b32_e32 v3, s0
	flat_load_dwordx2 v[3:4], v[3:4]
.LBB109_4:
	s_waitcnt vmcnt(0) lgkmcnt(0)
	v_cmp_neq_f64_e32 vcc, 0, v[1:2]
	v_cmp_neq_f64_e64 s[0:1], 1.0, v[3:4]
	s_or_b64 s[0:1], vcc, s[0:1]
	s_and_saveexec_b64 s[8:9], s[0:1]
	s_cbranch_execz .LBB109_23
; %bb.5:
	s_load_dwordx2 s[0:1], s[4:5], 0x0
	v_lshrrev_b32_e32 v5, 5, v0
	v_lshl_or_b32 v5, s6, 2, v5
	s_waitcnt lgkmcnt(0)
	v_cmp_gt_i32_e32 vcc, s0, v5
	s_and_b64 exec, exec, vcc
	s_cbranch_execz .LBB109_23
; %bb.6:
	s_load_dwordx8 s[8:15], s[4:5], 0x10
	v_ashrrev_i32_e32 v6, 31, v5
	v_lshlrev_b64 v[6:7], 2, v[5:6]
	v_and_b32_e32 v0, 31, v0
	s_cmp_lg_u32 s1, 0
	s_waitcnt lgkmcnt(0)
	v_mov_b32_e32 v8, s9
	v_add_co_u32_e32 v6, vcc, s8, v6
	v_addc_co_u32_e32 v7, vcc, v8, v7, vcc
	global_load_dwordx2 v[6:7], v[6:7], off
	s_waitcnt vmcnt(0)
	v_subrev_u32_e32 v6, s2, v6
	v_subrev_u32_e32 v16, s2, v7
	v_add_u32_e32 v6, v6, v0
	v_cmp_lt_i32_e64 s[0:1], v6, v16
	s_cbranch_scc0 .LBB109_12
; %bb.7:
	v_mov_b32_e32 v10, 0
	v_mov_b32_e32 v8, 0
	;; [unrolled: 1-line block ×4, first 2 shown]
	s_and_saveexec_b64 s[6:7], s[0:1]
	s_cbranch_execz .LBB109_11
; %bb.8:
	v_mov_b32_e32 v10, 0
	v_mov_b32_e32 v8, 0
	v_lshlrev_b32_e32 v12, 4, v6
	v_mov_b32_e32 v11, 0
	s_mov_b64 s[8:9], 0
	v_mov_b32_e32 v7, s11
	v_mov_b32_e32 v13, 0
	;; [unrolled: 1-line block ×6, first 2 shown]
.LBB109_9:                              ; =>This Inner Loop Header: Depth=1
	v_ashrrev_i32_e32 v15, 31, v14
	v_lshlrev_b64 v[19:20], 2, v[14:15]
	v_mov_b32_e32 v32, v13
	v_add_co_u32_e32 v19, vcc, s10, v19
	v_addc_co_u32_e32 v20, vcc, v7, v20, vcc
	global_load_dword v15, v[19:20], off
	v_lshlrev_b64 v[19:20], 3, v[12:13]
	v_add_u32_e32 v14, 32, v14
	v_add_co_u32_e32 v47, vcc, s12, v19
	v_addc_co_u32_e32 v48, vcc, v17, v20, vcc
	global_load_dwordx4 v[19:22], v[47:48], off
	global_load_dwordx4 v[23:26], v[47:48], off offset:16
	global_load_dwordx4 v[27:30], v[47:48], off offset:32
	v_add_u32_e32 v12, 0x200, v12
	s_waitcnt vmcnt(3)
	v_subrev_u32_e32 v15, s2, v15
	v_lshlrev_b32_e32 v31, 3, v15
	v_lshlrev_b64 v[31:32], 3, v[31:32]
	v_add_co_u32_e32 v49, vcc, s14, v31
	v_addc_co_u32_e32 v50, vcc, v18, v32, vcc
	global_load_dwordx4 v[31:34], v[49:50], off
	global_load_dwordx4 v[35:38], v[49:50], off offset:16
	global_load_dwordx4 v[39:42], v[47:48], off offset:48
	;; [unrolled: 1-line block ×3, first 2 shown]
	v_cmp_ge_i32_e32 vcc, v14, v16
	s_or_b64 s[8:9], vcc, s[8:9]
	s_waitcnt vmcnt(3)
	v_fma_f64 v[19:20], v[19:20], v[31:32], v[10:11]
	v_fma_f64 v[21:22], v[21:22], v[31:32], v[8:9]
	global_load_dwordx4 v[8:11], v[49:50], off offset:32
	v_fma_f64 v[31:32], v[23:24], v[33:34], v[19:20]
	v_fma_f64 v[33:34], v[25:26], v[33:34], v[21:22]
	global_load_dwordx4 v[19:22], v[47:48], off offset:80
	global_load_dwordx4 v[23:26], v[47:48], off offset:96
	s_waitcnt vmcnt(5)
	v_fma_f64 v[51:52], v[27:28], v[35:36], v[31:32]
	v_fma_f64 v[35:36], v[29:30], v[35:36], v[33:34]
	global_load_dwordx4 v[27:30], v[49:50], off offset:48
	global_load_dwordx4 v[31:34], v[47:48], off offset:112
	s_waitcnt vmcnt(6)
	v_fma_f64 v[39:40], v[39:40], v[37:38], v[51:52]
	v_fma_f64 v[35:36], v[41:42], v[37:38], v[35:36]
	s_waitcnt vmcnt(4)
	v_fma_f64 v[37:38], v[43:44], v[8:9], v[39:40]
	v_fma_f64 v[8:9], v[45:46], v[8:9], v[35:36]
	;; [unrolled: 3-line block ×5, first 2 shown]
	s_andn2_b64 exec, exec, s[8:9]
	s_cbranch_execnz .LBB109_9
; %bb.10:
	s_or_b64 exec, exec, s[8:9]
.LBB109_11:
	s_or_b64 exec, exec, s[6:7]
	s_cbranch_execz .LBB109_13
	s_branch .LBB109_18
.LBB109_12:
                                        ; implicit-def: $vgpr10_vgpr11
                                        ; implicit-def: $vgpr8_vgpr9
.LBB109_13:
	v_mov_b32_e32 v10, 0
	v_mov_b32_e32 v8, 0
	;; [unrolled: 1-line block ×4, first 2 shown]
	s_and_saveexec_b64 s[6:7], s[0:1]
	s_cbranch_execz .LBB109_17
; %bb.14:
	v_mov_b32_e32 v10, 0
	v_mov_b32_e32 v8, 0
	v_lshlrev_b32_e32 v12, 4, v6
	v_mov_b32_e32 v11, 0
	s_mov_b64 s[0:1], 0
	v_mov_b32_e32 v14, s11
	v_mov_b32_e32 v13, 0
	v_mov_b32_e32 v15, s13
	v_mov_b32_e32 v9, 0
	v_mov_b32_e32 v17, s15
.LBB109_15:                             ; =>This Inner Loop Header: Depth=1
	v_lshlrev_b64 v[18:19], 3, v[12:13]
	v_ashrrev_i32_e32 v7, 31, v6
	v_lshlrev_b64 v[20:21], 2, v[6:7]
	v_add_co_u32_e32 v38, vcc, s12, v18
	v_addc_co_u32_e32 v39, vcc, v15, v19, vcc
	v_add_co_u32_e32 v28, vcc, s10, v20
	v_addc_co_u32_e32 v29, vcc, v14, v21, vcc
	global_load_dwordx4 v[18:21], v[38:39], off
	global_load_dwordx4 v[22:25], v[38:39], off offset:16
	global_load_dword v7, v[28:29], off
	v_mov_b32_e32 v27, v13
	v_add_u32_e32 v6, 32, v6
	v_add_u32_e32 v12, 0x200, v12
	s_waitcnt vmcnt(0)
	v_subrev_u32_e32 v7, s2, v7
	v_lshlrev_b32_e32 v26, 3, v7
	v_lshlrev_b64 v[26:27], 3, v[26:27]
	v_add_co_u32_e32 v40, vcc, s14, v26
	v_addc_co_u32_e32 v41, vcc, v17, v27, vcc
	global_load_dwordx4 v[26:29], v[40:41], off
	global_load_dwordx4 v[30:33], v[40:41], off offset:16
	v_cmp_ge_i32_e32 vcc, v6, v16
	s_or_b64 s[0:1], vcc, s[0:1]
	s_waitcnt vmcnt(1)
	v_fma_f64 v[10:11], v[18:19], v[26:27], v[10:11]
	v_fma_f64 v[10:11], v[20:21], v[28:29], v[10:11]
	global_load_dwordx4 v[18:21], v[38:39], off offset:64
	global_load_dwordx4 v[34:37], v[38:39], off offset:80
	s_waitcnt vmcnt(1)
	v_fma_f64 v[7:8], v[18:19], v[26:27], v[8:9]
	v_fma_f64 v[18:19], v[20:21], v[28:29], v[7:8]
	;; [unrolled: 1-line block ×3, first 2 shown]
	s_waitcnt vmcnt(0)
	v_fma_f64 v[18:19], v[34:35], v[30:31], v[18:19]
	v_fma_f64 v[42:43], v[24:25], v[32:33], v[7:8]
	global_load_dwordx4 v[7:10], v[38:39], off offset:32
	v_fma_f64 v[34:35], v[36:37], v[32:33], v[18:19]
	global_load_dwordx4 v[18:21], v[38:39], off offset:48
	global_load_dwordx4 v[22:25], v[40:41], off offset:32
	;; [unrolled: 1-line block ×3, first 2 shown]
	s_waitcnt vmcnt(1)
	v_fma_f64 v[7:8], v[7:8], v[22:23], v[42:43]
	v_fma_f64 v[36:37], v[9:10], v[24:25], v[7:8]
	global_load_dwordx4 v[7:10], v[38:39], off offset:96
	global_load_dwordx4 v[30:33], v[38:39], off offset:112
	s_waitcnt vmcnt(1)
	v_fma_f64 v[7:8], v[7:8], v[22:23], v[34:35]
	v_fma_f64 v[7:8], v[9:10], v[24:25], v[7:8]
	v_fma_f64 v[9:10], v[18:19], v[26:27], v[36:37]
	s_waitcnt vmcnt(0)
	v_fma_f64 v[7:8], v[30:31], v[26:27], v[7:8]
	v_fma_f64 v[10:11], v[20:21], v[28:29], v[9:10]
	;; [unrolled: 1-line block ×3, first 2 shown]
	s_andn2_b64 exec, exec, s[0:1]
	s_cbranch_execnz .LBB109_15
; %bb.16:
	s_or_b64 exec, exec, s[0:1]
.LBB109_17:
	s_or_b64 exec, exec, s[6:7]
.LBB109_18:
	v_mov_b32_dpp v6, v10 row_shr:1 row_mask:0xf bank_mask:0xf
	v_mov_b32_dpp v7, v11 row_shr:1 row_mask:0xf bank_mask:0xf
	v_add_f64 v[6:7], v[10:11], v[6:7]
	v_mov_b32_dpp v10, v8 row_shr:1 row_mask:0xf bank_mask:0xf
	v_mov_b32_dpp v11, v9 row_shr:1 row_mask:0xf bank_mask:0xf
	v_add_f64 v[8:9], v[8:9], v[10:11]
	v_cmp_eq_u32_e32 vcc, 31, v0
	v_mov_b32_dpp v10, v6 row_shr:2 row_mask:0xf bank_mask:0xf
	v_mov_b32_dpp v11, v7 row_shr:2 row_mask:0xf bank_mask:0xf
	v_add_f64 v[6:7], v[6:7], v[10:11]
	v_mov_b32_dpp v12, v8 row_shr:2 row_mask:0xf bank_mask:0xf
	v_mov_b32_dpp v13, v9 row_shr:2 row_mask:0xf bank_mask:0xf
	v_add_f64 v[8:9], v[8:9], v[12:13]
	;; [unrolled: 3-line block ×6, first 2 shown]
	v_mov_b32_dpp v8, v6 row_bcast:15 row_mask:0xa bank_mask:0xf
	v_mov_b32_dpp v9, v7 row_bcast:15 row_mask:0xa bank_mask:0xf
	;; [unrolled: 1-line block ×4, first 2 shown]
	s_and_b64 exec, exec, vcc
	s_cbranch_execz .LBB109_23
; %bb.19:
	v_add_f64 v[8:9], v[6:7], v[8:9]
	v_add_f64 v[6:7], v[10:11], v[12:13]
	v_cmp_eq_f64_e32 vcc, 0, v[3:4]
	s_load_dwordx2 s[0:1], s[4:5], 0x38
	s_and_saveexec_b64 s[2:3], vcc
	s_xor_b64 s[2:3], exec, s[2:3]
	s_cbranch_execz .LBB109_21
; %bb.20:
	v_mul_f64 v[3:4], v[1:2], v[8:9]
	v_lshlrev_b32_e32 v0, 1, v5
	v_mul_f64 v[5:6], v[1:2], v[6:7]
	v_ashrrev_i32_e32 v1, 31, v0
	v_lshlrev_b64 v[0:1], 3, v[0:1]
	s_waitcnt lgkmcnt(0)
	v_mov_b32_e32 v2, s1
	v_add_co_u32_e32 v0, vcc, s0, v0
	v_addc_co_u32_e32 v1, vcc, v2, v1, vcc
	global_store_dwordx4 v[0:1], v[3:6], off
                                        ; implicit-def: $vgpr5
                                        ; implicit-def: $vgpr1_vgpr2
                                        ; implicit-def: $vgpr8_vgpr9
                                        ; implicit-def: $vgpr3_vgpr4
                                        ; implicit-def: $vgpr6_vgpr7
.LBB109_21:
	s_andn2_saveexec_b64 s[2:3], s[2:3]
	s_cbranch_execz .LBB109_23
; %bb.22:
	v_lshlrev_b32_e32 v10, 1, v5
	v_ashrrev_i32_e32 v11, 31, v10
	v_lshlrev_b64 v[10:11], 3, v[10:11]
	s_waitcnt lgkmcnt(0)
	v_mov_b32_e32 v0, s1
	v_add_co_u32_e32 v14, vcc, s0, v10
	v_addc_co_u32_e32 v15, vcc, v0, v11, vcc
	global_load_dwordx4 v[10:13], v[14:15], off
	v_mul_f64 v[8:9], v[1:2], v[8:9]
	v_mul_f64 v[5:6], v[1:2], v[6:7]
	s_waitcnt vmcnt(0)
	v_fma_f64 v[0:1], v[3:4], v[10:11], v[8:9]
	v_fma_f64 v[2:3], v[3:4], v[12:13], v[5:6]
	global_store_dwordx4 v[14:15], v[0:3], off
.LBB109_23:
	s_endpgm
	.section	.rodata,"a",@progbits
	.p2align	6, 0x0
	.amdhsa_kernel _ZN9rocsparseL19gebsrmvn_2xn_kernelILj128ELj8ELj32EdEEvi20rocsparse_direction_NS_24const_host_device_scalarIT2_EEPKiS6_PKS3_S8_S4_PS3_21rocsparse_index_base_b
		.amdhsa_group_segment_fixed_size 0
		.amdhsa_private_segment_fixed_size 0
		.amdhsa_kernarg_size 72
		.amdhsa_user_sgpr_count 6
		.amdhsa_user_sgpr_private_segment_buffer 1
		.amdhsa_user_sgpr_dispatch_ptr 0
		.amdhsa_user_sgpr_queue_ptr 0
		.amdhsa_user_sgpr_kernarg_segment_ptr 1
		.amdhsa_user_sgpr_dispatch_id 0
		.amdhsa_user_sgpr_flat_scratch_init 0
		.amdhsa_user_sgpr_private_segment_size 0
		.amdhsa_uses_dynamic_stack 0
		.amdhsa_system_sgpr_private_segment_wavefront_offset 0
		.amdhsa_system_sgpr_workgroup_id_x 1
		.amdhsa_system_sgpr_workgroup_id_y 0
		.amdhsa_system_sgpr_workgroup_id_z 0
		.amdhsa_system_sgpr_workgroup_info 0
		.amdhsa_system_vgpr_workitem_id 0
		.amdhsa_next_free_vgpr 53
		.amdhsa_next_free_sgpr 16
		.amdhsa_reserve_vcc 1
		.amdhsa_reserve_flat_scratch 0
		.amdhsa_float_round_mode_32 0
		.amdhsa_float_round_mode_16_64 0
		.amdhsa_float_denorm_mode_32 3
		.amdhsa_float_denorm_mode_16_64 3
		.amdhsa_dx10_clamp 1
		.amdhsa_ieee_mode 1
		.amdhsa_fp16_overflow 0
		.amdhsa_exception_fp_ieee_invalid_op 0
		.amdhsa_exception_fp_denorm_src 0
		.amdhsa_exception_fp_ieee_div_zero 0
		.amdhsa_exception_fp_ieee_overflow 0
		.amdhsa_exception_fp_ieee_underflow 0
		.amdhsa_exception_fp_ieee_inexact 0
		.amdhsa_exception_int_div_zero 0
	.end_amdhsa_kernel
	.section	.text._ZN9rocsparseL19gebsrmvn_2xn_kernelILj128ELj8ELj32EdEEvi20rocsparse_direction_NS_24const_host_device_scalarIT2_EEPKiS6_PKS3_S8_S4_PS3_21rocsparse_index_base_b,"axG",@progbits,_ZN9rocsparseL19gebsrmvn_2xn_kernelILj128ELj8ELj32EdEEvi20rocsparse_direction_NS_24const_host_device_scalarIT2_EEPKiS6_PKS3_S8_S4_PS3_21rocsparse_index_base_b,comdat
.Lfunc_end109:
	.size	_ZN9rocsparseL19gebsrmvn_2xn_kernelILj128ELj8ELj32EdEEvi20rocsparse_direction_NS_24const_host_device_scalarIT2_EEPKiS6_PKS3_S8_S4_PS3_21rocsparse_index_base_b, .Lfunc_end109-_ZN9rocsparseL19gebsrmvn_2xn_kernelILj128ELj8ELj32EdEEvi20rocsparse_direction_NS_24const_host_device_scalarIT2_EEPKiS6_PKS3_S8_S4_PS3_21rocsparse_index_base_b
                                        ; -- End function
	.set _ZN9rocsparseL19gebsrmvn_2xn_kernelILj128ELj8ELj32EdEEvi20rocsparse_direction_NS_24const_host_device_scalarIT2_EEPKiS6_PKS3_S8_S4_PS3_21rocsparse_index_base_b.num_vgpr, 53
	.set _ZN9rocsparseL19gebsrmvn_2xn_kernelILj128ELj8ELj32EdEEvi20rocsparse_direction_NS_24const_host_device_scalarIT2_EEPKiS6_PKS3_S8_S4_PS3_21rocsparse_index_base_b.num_agpr, 0
	.set _ZN9rocsparseL19gebsrmvn_2xn_kernelILj128ELj8ELj32EdEEvi20rocsparse_direction_NS_24const_host_device_scalarIT2_EEPKiS6_PKS3_S8_S4_PS3_21rocsparse_index_base_b.numbered_sgpr, 16
	.set _ZN9rocsparseL19gebsrmvn_2xn_kernelILj128ELj8ELj32EdEEvi20rocsparse_direction_NS_24const_host_device_scalarIT2_EEPKiS6_PKS3_S8_S4_PS3_21rocsparse_index_base_b.num_named_barrier, 0
	.set _ZN9rocsparseL19gebsrmvn_2xn_kernelILj128ELj8ELj32EdEEvi20rocsparse_direction_NS_24const_host_device_scalarIT2_EEPKiS6_PKS3_S8_S4_PS3_21rocsparse_index_base_b.private_seg_size, 0
	.set _ZN9rocsparseL19gebsrmvn_2xn_kernelILj128ELj8ELj32EdEEvi20rocsparse_direction_NS_24const_host_device_scalarIT2_EEPKiS6_PKS3_S8_S4_PS3_21rocsparse_index_base_b.uses_vcc, 1
	.set _ZN9rocsparseL19gebsrmvn_2xn_kernelILj128ELj8ELj32EdEEvi20rocsparse_direction_NS_24const_host_device_scalarIT2_EEPKiS6_PKS3_S8_S4_PS3_21rocsparse_index_base_b.uses_flat_scratch, 0
	.set _ZN9rocsparseL19gebsrmvn_2xn_kernelILj128ELj8ELj32EdEEvi20rocsparse_direction_NS_24const_host_device_scalarIT2_EEPKiS6_PKS3_S8_S4_PS3_21rocsparse_index_base_b.has_dyn_sized_stack, 0
	.set _ZN9rocsparseL19gebsrmvn_2xn_kernelILj128ELj8ELj32EdEEvi20rocsparse_direction_NS_24const_host_device_scalarIT2_EEPKiS6_PKS3_S8_S4_PS3_21rocsparse_index_base_b.has_recursion, 0
	.set _ZN9rocsparseL19gebsrmvn_2xn_kernelILj128ELj8ELj32EdEEvi20rocsparse_direction_NS_24const_host_device_scalarIT2_EEPKiS6_PKS3_S8_S4_PS3_21rocsparse_index_base_b.has_indirect_call, 0
	.section	.AMDGPU.csdata,"",@progbits
; Kernel info:
; codeLenInByte = 1540
; TotalNumSgprs: 20
; NumVgprs: 53
; ScratchSize: 0
; MemoryBound: 1
; FloatMode: 240
; IeeeMode: 1
; LDSByteSize: 0 bytes/workgroup (compile time only)
; SGPRBlocks: 2
; VGPRBlocks: 13
; NumSGPRsForWavesPerEU: 20
; NumVGPRsForWavesPerEU: 53
; Occupancy: 4
; WaveLimiterHint : 1
; COMPUTE_PGM_RSRC2:SCRATCH_EN: 0
; COMPUTE_PGM_RSRC2:USER_SGPR: 6
; COMPUTE_PGM_RSRC2:TRAP_HANDLER: 0
; COMPUTE_PGM_RSRC2:TGID_X_EN: 1
; COMPUTE_PGM_RSRC2:TGID_Y_EN: 0
; COMPUTE_PGM_RSRC2:TGID_Z_EN: 0
; COMPUTE_PGM_RSRC2:TIDIG_COMP_CNT: 0
	.section	.text._ZN9rocsparseL19gebsrmvn_2xn_kernelILj128ELj8ELj64EdEEvi20rocsparse_direction_NS_24const_host_device_scalarIT2_EEPKiS6_PKS3_S8_S4_PS3_21rocsparse_index_base_b,"axG",@progbits,_ZN9rocsparseL19gebsrmvn_2xn_kernelILj128ELj8ELj64EdEEvi20rocsparse_direction_NS_24const_host_device_scalarIT2_EEPKiS6_PKS3_S8_S4_PS3_21rocsparse_index_base_b,comdat
	.globl	_ZN9rocsparseL19gebsrmvn_2xn_kernelILj128ELj8ELj64EdEEvi20rocsparse_direction_NS_24const_host_device_scalarIT2_EEPKiS6_PKS3_S8_S4_PS3_21rocsparse_index_base_b ; -- Begin function _ZN9rocsparseL19gebsrmvn_2xn_kernelILj128ELj8ELj64EdEEvi20rocsparse_direction_NS_24const_host_device_scalarIT2_EEPKiS6_PKS3_S8_S4_PS3_21rocsparse_index_base_b
	.p2align	8
	.type	_ZN9rocsparseL19gebsrmvn_2xn_kernelILj128ELj8ELj64EdEEvi20rocsparse_direction_NS_24const_host_device_scalarIT2_EEPKiS6_PKS3_S8_S4_PS3_21rocsparse_index_base_b,@function
_ZN9rocsparseL19gebsrmvn_2xn_kernelILj128ELj8ELj64EdEEvi20rocsparse_direction_NS_24const_host_device_scalarIT2_EEPKiS6_PKS3_S8_S4_PS3_21rocsparse_index_base_b: ; @_ZN9rocsparseL19gebsrmvn_2xn_kernelILj128ELj8ELj64EdEEvi20rocsparse_direction_NS_24const_host_device_scalarIT2_EEPKiS6_PKS3_S8_S4_PS3_21rocsparse_index_base_b
; %bb.0:
	s_load_dwordx2 s[2:3], s[4:5], 0x40
	s_load_dwordx2 s[10:11], s[4:5], 0x8
	;; [unrolled: 1-line block ×3, first 2 shown]
	s_waitcnt lgkmcnt(0)
	s_bitcmp1_b32 s3, 0
	s_cselect_b64 s[12:13], -1, 0
	v_mov_b32_e32 v1, s10
	s_xor_b64 s[8:9], s[12:13], -1
	s_and_b64 vcc, exec, s[12:13]
	v_mov_b32_e32 v2, s11
	s_cbranch_vccnz .LBB110_2
; %bb.1:
	v_mov_b32_e32 v1, s10
	v_mov_b32_e32 v2, s11
	flat_load_dwordx2 v[1:2], v[1:2]
.LBB110_2:
	v_mov_b32_e32 v4, s1
	s_andn2_b64 vcc, exec, s[8:9]
	v_mov_b32_e32 v3, s0
	s_cbranch_vccnz .LBB110_4
; %bb.3:
	v_mov_b32_e32 v4, s1
	v_mov_b32_e32 v3, s0
	flat_load_dwordx2 v[3:4], v[3:4]
.LBB110_4:
	s_waitcnt vmcnt(0) lgkmcnt(0)
	v_cmp_neq_f64_e32 vcc, 0, v[1:2]
	v_cmp_neq_f64_e64 s[0:1], 1.0, v[3:4]
	s_or_b64 s[0:1], vcc, s[0:1]
	s_and_saveexec_b64 s[8:9], s[0:1]
	s_cbranch_execz .LBB110_23
; %bb.5:
	s_load_dwordx2 s[0:1], s[4:5], 0x0
	v_lshrrev_b32_e32 v5, 6, v0
	v_lshl_or_b32 v5, s6, 1, v5
	s_waitcnt lgkmcnt(0)
	v_cmp_gt_i32_e32 vcc, s0, v5
	s_and_b64 exec, exec, vcc
	s_cbranch_execz .LBB110_23
; %bb.6:
	s_load_dwordx8 s[8:15], s[4:5], 0x10
	v_ashrrev_i32_e32 v6, 31, v5
	v_lshlrev_b64 v[6:7], 2, v[5:6]
	v_and_b32_e32 v0, 63, v0
	s_cmp_lg_u32 s1, 0
	s_waitcnt lgkmcnt(0)
	v_mov_b32_e32 v8, s9
	v_add_co_u32_e32 v6, vcc, s8, v6
	v_addc_co_u32_e32 v7, vcc, v8, v7, vcc
	global_load_dwordx2 v[6:7], v[6:7], off
	s_waitcnt vmcnt(0)
	v_subrev_u32_e32 v6, s2, v6
	v_subrev_u32_e32 v16, s2, v7
	v_add_u32_e32 v6, v6, v0
	v_cmp_lt_i32_e64 s[0:1], v6, v16
	s_cbranch_scc0 .LBB110_12
; %bb.7:
	v_mov_b32_e32 v10, 0
	v_mov_b32_e32 v8, 0
	;; [unrolled: 1-line block ×4, first 2 shown]
	s_and_saveexec_b64 s[6:7], s[0:1]
	s_cbranch_execz .LBB110_11
; %bb.8:
	v_mov_b32_e32 v10, 0
	v_mov_b32_e32 v8, 0
	v_lshlrev_b32_e32 v12, 4, v6
	v_mov_b32_e32 v11, 0
	s_mov_b64 s[8:9], 0
	v_mov_b32_e32 v7, s11
	v_mov_b32_e32 v13, 0
	;; [unrolled: 1-line block ×6, first 2 shown]
.LBB110_9:                              ; =>This Inner Loop Header: Depth=1
	v_ashrrev_i32_e32 v15, 31, v14
	v_lshlrev_b64 v[19:20], 2, v[14:15]
	v_mov_b32_e32 v32, v13
	v_add_co_u32_e32 v19, vcc, s10, v19
	v_addc_co_u32_e32 v20, vcc, v7, v20, vcc
	global_load_dword v15, v[19:20], off
	v_lshlrev_b64 v[19:20], 3, v[12:13]
	v_add_u32_e32 v14, 64, v14
	v_add_co_u32_e32 v47, vcc, s12, v19
	v_addc_co_u32_e32 v48, vcc, v17, v20, vcc
	global_load_dwordx4 v[19:22], v[47:48], off
	global_load_dwordx4 v[23:26], v[47:48], off offset:16
	global_load_dwordx4 v[27:30], v[47:48], off offset:32
	v_add_u32_e32 v12, 0x400, v12
	s_waitcnt vmcnt(3)
	v_subrev_u32_e32 v15, s2, v15
	v_lshlrev_b32_e32 v31, 3, v15
	v_lshlrev_b64 v[31:32], 3, v[31:32]
	v_add_co_u32_e32 v49, vcc, s14, v31
	v_addc_co_u32_e32 v50, vcc, v18, v32, vcc
	global_load_dwordx4 v[31:34], v[49:50], off
	global_load_dwordx4 v[35:38], v[49:50], off offset:16
	global_load_dwordx4 v[39:42], v[47:48], off offset:48
	;; [unrolled: 1-line block ×3, first 2 shown]
	v_cmp_ge_i32_e32 vcc, v14, v16
	s_or_b64 s[8:9], vcc, s[8:9]
	s_waitcnt vmcnt(3)
	v_fma_f64 v[19:20], v[19:20], v[31:32], v[10:11]
	v_fma_f64 v[21:22], v[21:22], v[31:32], v[8:9]
	global_load_dwordx4 v[8:11], v[49:50], off offset:32
	v_fma_f64 v[31:32], v[23:24], v[33:34], v[19:20]
	v_fma_f64 v[33:34], v[25:26], v[33:34], v[21:22]
	global_load_dwordx4 v[19:22], v[47:48], off offset:80
	global_load_dwordx4 v[23:26], v[47:48], off offset:96
	s_waitcnt vmcnt(5)
	v_fma_f64 v[51:52], v[27:28], v[35:36], v[31:32]
	v_fma_f64 v[35:36], v[29:30], v[35:36], v[33:34]
	global_load_dwordx4 v[27:30], v[49:50], off offset:48
	global_load_dwordx4 v[31:34], v[47:48], off offset:112
	s_waitcnt vmcnt(6)
	v_fma_f64 v[39:40], v[39:40], v[37:38], v[51:52]
	v_fma_f64 v[35:36], v[41:42], v[37:38], v[35:36]
	s_waitcnt vmcnt(4)
	v_fma_f64 v[37:38], v[43:44], v[8:9], v[39:40]
	v_fma_f64 v[8:9], v[45:46], v[8:9], v[35:36]
	;; [unrolled: 3-line block ×5, first 2 shown]
	s_andn2_b64 exec, exec, s[8:9]
	s_cbranch_execnz .LBB110_9
; %bb.10:
	s_or_b64 exec, exec, s[8:9]
.LBB110_11:
	s_or_b64 exec, exec, s[6:7]
	s_cbranch_execz .LBB110_13
	s_branch .LBB110_18
.LBB110_12:
                                        ; implicit-def: $vgpr10_vgpr11
                                        ; implicit-def: $vgpr8_vgpr9
.LBB110_13:
	v_mov_b32_e32 v10, 0
	v_mov_b32_e32 v8, 0
	;; [unrolled: 1-line block ×4, first 2 shown]
	s_and_saveexec_b64 s[6:7], s[0:1]
	s_cbranch_execz .LBB110_17
; %bb.14:
	v_mov_b32_e32 v10, 0
	v_mov_b32_e32 v8, 0
	v_lshlrev_b32_e32 v12, 4, v6
	v_mov_b32_e32 v11, 0
	s_mov_b64 s[0:1], 0
	v_mov_b32_e32 v14, s11
	v_mov_b32_e32 v13, 0
	;; [unrolled: 1-line block ×5, first 2 shown]
.LBB110_15:                             ; =>This Inner Loop Header: Depth=1
	v_lshlrev_b64 v[18:19], 3, v[12:13]
	v_ashrrev_i32_e32 v7, 31, v6
	v_lshlrev_b64 v[20:21], 2, v[6:7]
	v_add_co_u32_e32 v38, vcc, s12, v18
	v_addc_co_u32_e32 v39, vcc, v15, v19, vcc
	v_add_co_u32_e32 v28, vcc, s10, v20
	v_addc_co_u32_e32 v29, vcc, v14, v21, vcc
	global_load_dwordx4 v[18:21], v[38:39], off
	global_load_dwordx4 v[22:25], v[38:39], off offset:16
	global_load_dword v7, v[28:29], off
	v_mov_b32_e32 v27, v13
	v_add_u32_e32 v6, 64, v6
	v_add_u32_e32 v12, 0x400, v12
	s_waitcnt vmcnt(0)
	v_subrev_u32_e32 v7, s2, v7
	v_lshlrev_b32_e32 v26, 3, v7
	v_lshlrev_b64 v[26:27], 3, v[26:27]
	v_add_co_u32_e32 v40, vcc, s14, v26
	v_addc_co_u32_e32 v41, vcc, v17, v27, vcc
	global_load_dwordx4 v[26:29], v[40:41], off
	global_load_dwordx4 v[30:33], v[40:41], off offset:16
	v_cmp_ge_i32_e32 vcc, v6, v16
	s_or_b64 s[0:1], vcc, s[0:1]
	s_waitcnt vmcnt(1)
	v_fma_f64 v[10:11], v[18:19], v[26:27], v[10:11]
	v_fma_f64 v[10:11], v[20:21], v[28:29], v[10:11]
	global_load_dwordx4 v[18:21], v[38:39], off offset:64
	global_load_dwordx4 v[34:37], v[38:39], off offset:80
	s_waitcnt vmcnt(1)
	v_fma_f64 v[7:8], v[18:19], v[26:27], v[8:9]
	v_fma_f64 v[18:19], v[20:21], v[28:29], v[7:8]
	;; [unrolled: 1-line block ×3, first 2 shown]
	s_waitcnt vmcnt(0)
	v_fma_f64 v[18:19], v[34:35], v[30:31], v[18:19]
	v_fma_f64 v[42:43], v[24:25], v[32:33], v[7:8]
	global_load_dwordx4 v[7:10], v[38:39], off offset:32
	v_fma_f64 v[34:35], v[36:37], v[32:33], v[18:19]
	global_load_dwordx4 v[18:21], v[38:39], off offset:48
	global_load_dwordx4 v[22:25], v[40:41], off offset:32
	;; [unrolled: 1-line block ×3, first 2 shown]
	s_waitcnt vmcnt(1)
	v_fma_f64 v[7:8], v[7:8], v[22:23], v[42:43]
	v_fma_f64 v[36:37], v[9:10], v[24:25], v[7:8]
	global_load_dwordx4 v[7:10], v[38:39], off offset:96
	global_load_dwordx4 v[30:33], v[38:39], off offset:112
	s_waitcnt vmcnt(1)
	v_fma_f64 v[7:8], v[7:8], v[22:23], v[34:35]
	v_fma_f64 v[7:8], v[9:10], v[24:25], v[7:8]
	;; [unrolled: 1-line block ×3, first 2 shown]
	s_waitcnt vmcnt(0)
	v_fma_f64 v[7:8], v[30:31], v[26:27], v[7:8]
	v_fma_f64 v[10:11], v[20:21], v[28:29], v[9:10]
	v_fma_f64 v[8:9], v[32:33], v[28:29], v[7:8]
	s_andn2_b64 exec, exec, s[0:1]
	s_cbranch_execnz .LBB110_15
; %bb.16:
	s_or_b64 exec, exec, s[0:1]
.LBB110_17:
	s_or_b64 exec, exec, s[6:7]
.LBB110_18:
	v_mov_b32_dpp v6, v10 row_shr:1 row_mask:0xf bank_mask:0xf
	v_mov_b32_dpp v7, v11 row_shr:1 row_mask:0xf bank_mask:0xf
	v_add_f64 v[6:7], v[10:11], v[6:7]
	v_mov_b32_dpp v10, v8 row_shr:1 row_mask:0xf bank_mask:0xf
	v_mov_b32_dpp v11, v9 row_shr:1 row_mask:0xf bank_mask:0xf
	v_add_f64 v[8:9], v[8:9], v[10:11]
	v_cmp_eq_u32_e32 vcc, 63, v0
	v_mov_b32_dpp v10, v6 row_shr:2 row_mask:0xf bank_mask:0xf
	v_mov_b32_dpp v11, v7 row_shr:2 row_mask:0xf bank_mask:0xf
	v_add_f64 v[6:7], v[6:7], v[10:11]
	v_mov_b32_dpp v12, v8 row_shr:2 row_mask:0xf bank_mask:0xf
	v_mov_b32_dpp v13, v9 row_shr:2 row_mask:0xf bank_mask:0xf
	v_add_f64 v[8:9], v[8:9], v[12:13]
	;; [unrolled: 3-line block ×6, first 2 shown]
	v_mov_b32_dpp v10, v6 row_bcast:15 row_mask:0xa bank_mask:0xf
	v_mov_b32_dpp v11, v7 row_bcast:15 row_mask:0xa bank_mask:0xf
	v_add_f64 v[6:7], v[6:7], v[10:11]
	v_mov_b32_dpp v12, v8 row_bcast:15 row_mask:0xa bank_mask:0xf
	v_mov_b32_dpp v13, v9 row_bcast:15 row_mask:0xa bank_mask:0xf
	v_add_f64 v[10:11], v[8:9], v[12:13]
	v_mov_b32_dpp v8, v6 row_bcast:31 row_mask:0xc bank_mask:0xf
	v_mov_b32_dpp v9, v7 row_bcast:31 row_mask:0xc bank_mask:0xf
	;; [unrolled: 1-line block ×4, first 2 shown]
	s_and_b64 exec, exec, vcc
	s_cbranch_execz .LBB110_23
; %bb.19:
	v_add_f64 v[8:9], v[6:7], v[8:9]
	v_add_f64 v[6:7], v[10:11], v[12:13]
	v_cmp_eq_f64_e32 vcc, 0, v[3:4]
	s_load_dwordx2 s[0:1], s[4:5], 0x38
	s_and_saveexec_b64 s[2:3], vcc
	s_xor_b64 s[2:3], exec, s[2:3]
	s_cbranch_execz .LBB110_21
; %bb.20:
	v_mul_f64 v[3:4], v[1:2], v[8:9]
	v_lshlrev_b32_e32 v0, 1, v5
	v_mul_f64 v[5:6], v[1:2], v[6:7]
	v_ashrrev_i32_e32 v1, 31, v0
	v_lshlrev_b64 v[0:1], 3, v[0:1]
	s_waitcnt lgkmcnt(0)
	v_mov_b32_e32 v2, s1
	v_add_co_u32_e32 v0, vcc, s0, v0
	v_addc_co_u32_e32 v1, vcc, v2, v1, vcc
	global_store_dwordx4 v[0:1], v[3:6], off
                                        ; implicit-def: $vgpr5
                                        ; implicit-def: $vgpr1_vgpr2
                                        ; implicit-def: $vgpr8_vgpr9
                                        ; implicit-def: $vgpr3_vgpr4
                                        ; implicit-def: $vgpr6_vgpr7
.LBB110_21:
	s_andn2_saveexec_b64 s[2:3], s[2:3]
	s_cbranch_execz .LBB110_23
; %bb.22:
	v_lshlrev_b32_e32 v10, 1, v5
	v_ashrrev_i32_e32 v11, 31, v10
	v_lshlrev_b64 v[10:11], 3, v[10:11]
	s_waitcnt lgkmcnt(0)
	v_mov_b32_e32 v0, s1
	v_add_co_u32_e32 v14, vcc, s0, v10
	v_addc_co_u32_e32 v15, vcc, v0, v11, vcc
	global_load_dwordx4 v[10:13], v[14:15], off
	v_mul_f64 v[8:9], v[1:2], v[8:9]
	v_mul_f64 v[5:6], v[1:2], v[6:7]
	s_waitcnt vmcnt(0)
	v_fma_f64 v[0:1], v[3:4], v[10:11], v[8:9]
	v_fma_f64 v[2:3], v[3:4], v[12:13], v[5:6]
	global_store_dwordx4 v[14:15], v[0:3], off
.LBB110_23:
	s_endpgm
	.section	.rodata,"a",@progbits
	.p2align	6, 0x0
	.amdhsa_kernel _ZN9rocsparseL19gebsrmvn_2xn_kernelILj128ELj8ELj64EdEEvi20rocsparse_direction_NS_24const_host_device_scalarIT2_EEPKiS6_PKS3_S8_S4_PS3_21rocsparse_index_base_b
		.amdhsa_group_segment_fixed_size 0
		.amdhsa_private_segment_fixed_size 0
		.amdhsa_kernarg_size 72
		.amdhsa_user_sgpr_count 6
		.amdhsa_user_sgpr_private_segment_buffer 1
		.amdhsa_user_sgpr_dispatch_ptr 0
		.amdhsa_user_sgpr_queue_ptr 0
		.amdhsa_user_sgpr_kernarg_segment_ptr 1
		.amdhsa_user_sgpr_dispatch_id 0
		.amdhsa_user_sgpr_flat_scratch_init 0
		.amdhsa_user_sgpr_private_segment_size 0
		.amdhsa_uses_dynamic_stack 0
		.amdhsa_system_sgpr_private_segment_wavefront_offset 0
		.amdhsa_system_sgpr_workgroup_id_x 1
		.amdhsa_system_sgpr_workgroup_id_y 0
		.amdhsa_system_sgpr_workgroup_id_z 0
		.amdhsa_system_sgpr_workgroup_info 0
		.amdhsa_system_vgpr_workitem_id 0
		.amdhsa_next_free_vgpr 53
		.amdhsa_next_free_sgpr 16
		.amdhsa_reserve_vcc 1
		.amdhsa_reserve_flat_scratch 0
		.amdhsa_float_round_mode_32 0
		.amdhsa_float_round_mode_16_64 0
		.amdhsa_float_denorm_mode_32 3
		.amdhsa_float_denorm_mode_16_64 3
		.amdhsa_dx10_clamp 1
		.amdhsa_ieee_mode 1
		.amdhsa_fp16_overflow 0
		.amdhsa_exception_fp_ieee_invalid_op 0
		.amdhsa_exception_fp_denorm_src 0
		.amdhsa_exception_fp_ieee_div_zero 0
		.amdhsa_exception_fp_ieee_overflow 0
		.amdhsa_exception_fp_ieee_underflow 0
		.amdhsa_exception_fp_ieee_inexact 0
		.amdhsa_exception_int_div_zero 0
	.end_amdhsa_kernel
	.section	.text._ZN9rocsparseL19gebsrmvn_2xn_kernelILj128ELj8ELj64EdEEvi20rocsparse_direction_NS_24const_host_device_scalarIT2_EEPKiS6_PKS3_S8_S4_PS3_21rocsparse_index_base_b,"axG",@progbits,_ZN9rocsparseL19gebsrmvn_2xn_kernelILj128ELj8ELj64EdEEvi20rocsparse_direction_NS_24const_host_device_scalarIT2_EEPKiS6_PKS3_S8_S4_PS3_21rocsparse_index_base_b,comdat
.Lfunc_end110:
	.size	_ZN9rocsparseL19gebsrmvn_2xn_kernelILj128ELj8ELj64EdEEvi20rocsparse_direction_NS_24const_host_device_scalarIT2_EEPKiS6_PKS3_S8_S4_PS3_21rocsparse_index_base_b, .Lfunc_end110-_ZN9rocsparseL19gebsrmvn_2xn_kernelILj128ELj8ELj64EdEEvi20rocsparse_direction_NS_24const_host_device_scalarIT2_EEPKiS6_PKS3_S8_S4_PS3_21rocsparse_index_base_b
                                        ; -- End function
	.set _ZN9rocsparseL19gebsrmvn_2xn_kernelILj128ELj8ELj64EdEEvi20rocsparse_direction_NS_24const_host_device_scalarIT2_EEPKiS6_PKS3_S8_S4_PS3_21rocsparse_index_base_b.num_vgpr, 53
	.set _ZN9rocsparseL19gebsrmvn_2xn_kernelILj128ELj8ELj64EdEEvi20rocsparse_direction_NS_24const_host_device_scalarIT2_EEPKiS6_PKS3_S8_S4_PS3_21rocsparse_index_base_b.num_agpr, 0
	.set _ZN9rocsparseL19gebsrmvn_2xn_kernelILj128ELj8ELj64EdEEvi20rocsparse_direction_NS_24const_host_device_scalarIT2_EEPKiS6_PKS3_S8_S4_PS3_21rocsparse_index_base_b.numbered_sgpr, 16
	.set _ZN9rocsparseL19gebsrmvn_2xn_kernelILj128ELj8ELj64EdEEvi20rocsparse_direction_NS_24const_host_device_scalarIT2_EEPKiS6_PKS3_S8_S4_PS3_21rocsparse_index_base_b.num_named_barrier, 0
	.set _ZN9rocsparseL19gebsrmvn_2xn_kernelILj128ELj8ELj64EdEEvi20rocsparse_direction_NS_24const_host_device_scalarIT2_EEPKiS6_PKS3_S8_S4_PS3_21rocsparse_index_base_b.private_seg_size, 0
	.set _ZN9rocsparseL19gebsrmvn_2xn_kernelILj128ELj8ELj64EdEEvi20rocsparse_direction_NS_24const_host_device_scalarIT2_EEPKiS6_PKS3_S8_S4_PS3_21rocsparse_index_base_b.uses_vcc, 1
	.set _ZN9rocsparseL19gebsrmvn_2xn_kernelILj128ELj8ELj64EdEEvi20rocsparse_direction_NS_24const_host_device_scalarIT2_EEPKiS6_PKS3_S8_S4_PS3_21rocsparse_index_base_b.uses_flat_scratch, 0
	.set _ZN9rocsparseL19gebsrmvn_2xn_kernelILj128ELj8ELj64EdEEvi20rocsparse_direction_NS_24const_host_device_scalarIT2_EEPKiS6_PKS3_S8_S4_PS3_21rocsparse_index_base_b.has_dyn_sized_stack, 0
	.set _ZN9rocsparseL19gebsrmvn_2xn_kernelILj128ELj8ELj64EdEEvi20rocsparse_direction_NS_24const_host_device_scalarIT2_EEPKiS6_PKS3_S8_S4_PS3_21rocsparse_index_base_b.has_recursion, 0
	.set _ZN9rocsparseL19gebsrmvn_2xn_kernelILj128ELj8ELj64EdEEvi20rocsparse_direction_NS_24const_host_device_scalarIT2_EEPKiS6_PKS3_S8_S4_PS3_21rocsparse_index_base_b.has_indirect_call, 0
	.section	.AMDGPU.csdata,"",@progbits
; Kernel info:
; codeLenInByte = 1588
; TotalNumSgprs: 20
; NumVgprs: 53
; ScratchSize: 0
; MemoryBound: 1
; FloatMode: 240
; IeeeMode: 1
; LDSByteSize: 0 bytes/workgroup (compile time only)
; SGPRBlocks: 2
; VGPRBlocks: 13
; NumSGPRsForWavesPerEU: 20
; NumVGPRsForWavesPerEU: 53
; Occupancy: 4
; WaveLimiterHint : 1
; COMPUTE_PGM_RSRC2:SCRATCH_EN: 0
; COMPUTE_PGM_RSRC2:USER_SGPR: 6
; COMPUTE_PGM_RSRC2:TRAP_HANDLER: 0
; COMPUTE_PGM_RSRC2:TGID_X_EN: 1
; COMPUTE_PGM_RSRC2:TGID_Y_EN: 0
; COMPUTE_PGM_RSRC2:TGID_Z_EN: 0
; COMPUTE_PGM_RSRC2:TIDIG_COMP_CNT: 0
	.section	.text._ZN9rocsparseL19gebsrmvn_2xn_kernelILj128ELj9ELj4EdEEvi20rocsparse_direction_NS_24const_host_device_scalarIT2_EEPKiS6_PKS3_S8_S4_PS3_21rocsparse_index_base_b,"axG",@progbits,_ZN9rocsparseL19gebsrmvn_2xn_kernelILj128ELj9ELj4EdEEvi20rocsparse_direction_NS_24const_host_device_scalarIT2_EEPKiS6_PKS3_S8_S4_PS3_21rocsparse_index_base_b,comdat
	.globl	_ZN9rocsparseL19gebsrmvn_2xn_kernelILj128ELj9ELj4EdEEvi20rocsparse_direction_NS_24const_host_device_scalarIT2_EEPKiS6_PKS3_S8_S4_PS3_21rocsparse_index_base_b ; -- Begin function _ZN9rocsparseL19gebsrmvn_2xn_kernelILj128ELj9ELj4EdEEvi20rocsparse_direction_NS_24const_host_device_scalarIT2_EEPKiS6_PKS3_S8_S4_PS3_21rocsparse_index_base_b
	.p2align	8
	.type	_ZN9rocsparseL19gebsrmvn_2xn_kernelILj128ELj9ELj4EdEEvi20rocsparse_direction_NS_24const_host_device_scalarIT2_EEPKiS6_PKS3_S8_S4_PS3_21rocsparse_index_base_b,@function
_ZN9rocsparseL19gebsrmvn_2xn_kernelILj128ELj9ELj4EdEEvi20rocsparse_direction_NS_24const_host_device_scalarIT2_EEPKiS6_PKS3_S8_S4_PS3_21rocsparse_index_base_b: ; @_ZN9rocsparseL19gebsrmvn_2xn_kernelILj128ELj9ELj4EdEEvi20rocsparse_direction_NS_24const_host_device_scalarIT2_EEPKiS6_PKS3_S8_S4_PS3_21rocsparse_index_base_b
; %bb.0:
	s_load_dwordx2 s[2:3], s[4:5], 0x40
	s_load_dwordx2 s[10:11], s[4:5], 0x8
	s_load_dwordx2 s[0:1], s[4:5], 0x30
	s_waitcnt lgkmcnt(0)
	s_bitcmp1_b32 s3, 0
	s_cselect_b64 s[12:13], -1, 0
	v_mov_b32_e32 v1, s10
	s_xor_b64 s[8:9], s[12:13], -1
	s_and_b64 vcc, exec, s[12:13]
	v_mov_b32_e32 v2, s11
	s_cbranch_vccnz .LBB111_2
; %bb.1:
	v_mov_b32_e32 v1, s10
	v_mov_b32_e32 v2, s11
	flat_load_dwordx2 v[1:2], v[1:2]
.LBB111_2:
	v_mov_b32_e32 v4, s1
	s_andn2_b64 vcc, exec, s[8:9]
	v_mov_b32_e32 v3, s0
	s_cbranch_vccnz .LBB111_4
; %bb.3:
	v_mov_b32_e32 v4, s1
	v_mov_b32_e32 v3, s0
	flat_load_dwordx2 v[3:4], v[3:4]
.LBB111_4:
	s_waitcnt vmcnt(0) lgkmcnt(0)
	v_cmp_neq_f64_e32 vcc, 0, v[1:2]
	v_cmp_neq_f64_e64 s[0:1], 1.0, v[3:4]
	s_or_b64 s[0:1], vcc, s[0:1]
	s_and_saveexec_b64 s[8:9], s[0:1]
	s_cbranch_execz .LBB111_23
; %bb.5:
	s_load_dwordx2 s[0:1], s[4:5], 0x0
	v_lshrrev_b32_e32 v5, 2, v0
	v_lshl_or_b32 v5, s6, 5, v5
	s_waitcnt lgkmcnt(0)
	v_cmp_gt_i32_e32 vcc, s0, v5
	s_and_b64 exec, exec, vcc
	s_cbranch_execz .LBB111_23
; %bb.6:
	s_load_dwordx8 s[8:15], s[4:5], 0x10
	v_ashrrev_i32_e32 v6, 31, v5
	v_lshlrev_b64 v[6:7], 2, v[5:6]
	v_and_b32_e32 v0, 3, v0
	s_cmp_lg_u32 s1, 0
	s_waitcnt lgkmcnt(0)
	v_mov_b32_e32 v8, s9
	v_add_co_u32_e32 v6, vcc, s8, v6
	v_addc_co_u32_e32 v7, vcc, v8, v7, vcc
	global_load_dwordx2 v[6:7], v[6:7], off
	s_waitcnt vmcnt(0)
	v_subrev_u32_e32 v6, s2, v6
	v_subrev_u32_e32 v18, s2, v7
	v_add_u32_e32 v6, v6, v0
	v_cmp_lt_i32_e64 s[0:1], v6, v18
	s_cbranch_scc0 .LBB111_12
; %bb.7:
	v_mov_b32_e32 v8, 0
	v_mov_b32_e32 v10, 0
	;; [unrolled: 1-line block ×4, first 2 shown]
	s_and_saveexec_b64 s[6:7], s[0:1]
	s_cbranch_execz .LBB111_11
; %bb.8:
	v_mad_u64_u32 v[12:13], s[8:9], v6, 18, 16
	v_mov_b32_e32 v8, 0
	v_mov_b32_e32 v10, 0
	;; [unrolled: 1-line block ×3, first 2 shown]
	s_mov_b64 s[8:9], 0
	v_mov_b32_e32 v7, s11
	v_mov_b32_e32 v15, 0
	;; [unrolled: 1-line block ×6, first 2 shown]
.LBB111_9:                              ; =>This Inner Loop Header: Depth=1
	v_ashrrev_i32_e32 v17, 31, v16
	v_lshlrev_b64 v[21:22], 2, v[16:17]
	v_add_u32_e32 v14, -16, v12
	v_lshlrev_b64 v[23:24], 3, v[14:15]
	v_add_co_u32_e32 v27, vcc, s10, v21
	v_addc_co_u32_e32 v28, vcc, v7, v22, vcc
	v_add_co_u32_e32 v31, vcc, s12, v23
	v_addc_co_u32_e32 v32, vcc, v19, v24, vcc
	global_load_dword v17, v[27:28], off
	global_load_dwordx4 v[21:24], v[31:32], off
	v_mov_b32_e32 v13, v15
	v_lshlrev_b64 v[25:26], 3, v[12:13]
	v_add_u32_e32 v14, -14, v12
	v_lshlrev_b64 v[13:14], 3, v[14:15]
	v_add_co_u32_e32 v33, vcc, s12, v25
	v_mov_b32_e32 v30, v15
	v_addc_co_u32_e32 v34, vcc, v19, v26, vcc
	v_add_co_u32_e32 v13, vcc, s12, v13
	v_addc_co_u32_e32 v14, vcc, v19, v14, vcc
	v_add_u32_e32 v16, 4, v16
	s_waitcnt vmcnt(1)
	v_subrev_u32_e32 v17, s2, v17
	v_lshl_add_u32 v29, v17, 3, v17
	v_lshlrev_b64 v[25:26], 3, v[29:30]
	v_add_co_u32_e32 v30, vcc, s14, v25
	v_addc_co_u32_e32 v31, vcc, v20, v26, vcc
	global_load_dwordx4 v[25:28], v[33:34], off
	global_load_dwordx2 v[35:36], v[30:31], off
	s_waitcnt vmcnt(0)
	v_fma_f64 v[21:22], v[21:22], v[35:36], v[8:9]
	v_fma_f64 v[23:24], v[23:24], v[35:36], v[10:11]
	global_load_dwordx4 v[8:11], v[13:14], off
	v_add_u32_e32 v14, 1, v29
	v_lshlrev_b64 v[30:31], 3, v[14:15]
	v_add_u32_e32 v14, -12, v12
	v_add_co_u32_e32 v30, vcc, s14, v30
	v_addc_co_u32_e32 v31, vcc, v20, v31, vcc
	global_load_dwordx2 v[30:31], v[30:31], off
	v_lshlrev_b64 v[32:33], 3, v[14:15]
	v_add_u32_e32 v14, 2, v29
	s_waitcnt vmcnt(0)
	v_fma_f64 v[21:22], v[8:9], v[30:31], v[21:22]
	v_fma_f64 v[23:24], v[10:11], v[30:31], v[23:24]
	v_lshlrev_b64 v[8:9], 3, v[14:15]
	v_add_co_u32_e32 v30, vcc, s12, v32
	v_addc_co_u32_e32 v31, vcc, v19, v33, vcc
	v_add_co_u32_e32 v34, vcc, s14, v8
	v_addc_co_u32_e32 v35, vcc, v20, v9, vcc
	global_load_dwordx4 v[8:11], v[30:31], off
	global_load_dwordx2 v[36:37], v[34:35], off
	v_add_u32_e32 v14, -10, v12
	v_lshlrev_b64 v[32:33], 3, v[14:15]
	v_add_u32_e32 v14, 3, v29
	v_add_co_u32_e32 v30, vcc, s12, v32
	v_addc_co_u32_e32 v31, vcc, v19, v33, vcc
	s_waitcnt vmcnt(0)
	v_fma_f64 v[21:22], v[8:9], v[36:37], v[21:22]
	v_lshlrev_b64 v[8:9], 3, v[14:15]
	v_fma_f64 v[23:24], v[10:11], v[36:37], v[23:24]
	v_add_co_u32_e32 v34, vcc, s14, v8
	v_addc_co_u32_e32 v35, vcc, v20, v9, vcc
	global_load_dwordx4 v[8:11], v[30:31], off
	global_load_dwordx2 v[36:37], v[34:35], off
	v_add_u32_e32 v14, -8, v12
	v_lshlrev_b64 v[32:33], 3, v[14:15]
	v_add_u32_e32 v14, 4, v29
	v_add_co_u32_e32 v30, vcc, s12, v32
	v_addc_co_u32_e32 v31, vcc, v19, v33, vcc
	s_waitcnt vmcnt(0)
	v_fma_f64 v[21:22], v[8:9], v[36:37], v[21:22]
	v_lshlrev_b64 v[8:9], 3, v[14:15]
	v_fma_f64 v[23:24], v[10:11], v[36:37], v[23:24]
	;; [unrolled: 13-line block ×4, first 2 shown]
	v_add_co_u32_e32 v34, vcc, s14, v8
	v_addc_co_u32_e32 v35, vcc, v20, v9, vcc
	global_load_dwordx4 v[8:11], v[30:31], off
	global_load_dwordx2 v[36:37], v[34:35], off
	v_add_u32_e32 v14, -2, v12
	v_lshlrev_b64 v[32:33], 3, v[14:15]
	v_add_u32_e32 v14, 7, v29
	v_add_co_u32_e32 v13, vcc, s12, v32
	v_add_u32_e32 v12, 0x48, v12
	s_waitcnt vmcnt(0)
	v_fma_f64 v[21:22], v[8:9], v[36:37], v[21:22]
	v_lshlrev_b64 v[8:9], 3, v[14:15]
	v_addc_co_u32_e32 v14, vcc, v19, v33, vcc
	v_add_co_u32_e32 v30, vcc, s14, v8
	v_fma_f64 v[23:24], v[10:11], v[36:37], v[23:24]
	v_addc_co_u32_e32 v31, vcc, v20, v9, vcc
	global_load_dwordx4 v[8:11], v[13:14], off
	global_load_dwordx2 v[32:33], v[30:31], off
	v_add_u32_e32 v14, 8, v29
	v_lshlrev_b64 v[13:14], 3, v[14:15]
	v_add_co_u32_e32 v13, vcc, s14, v13
	v_addc_co_u32_e32 v14, vcc, v20, v14, vcc
	global_load_dwordx2 v[13:14], v[13:14], off
	v_cmp_ge_i32_e32 vcc, v16, v18
	s_or_b64 s[8:9], vcc, s[8:9]
	s_waitcnt vmcnt(1)
	v_fma_f64 v[8:9], v[8:9], v[32:33], v[21:22]
	v_fma_f64 v[10:11], v[10:11], v[32:33], v[23:24]
	s_waitcnt vmcnt(0)
	v_fma_f64 v[8:9], v[25:26], v[13:14], v[8:9]
	v_fma_f64 v[10:11], v[27:28], v[13:14], v[10:11]
	s_andn2_b64 exec, exec, s[8:9]
	s_cbranch_execnz .LBB111_9
; %bb.10:
	s_or_b64 exec, exec, s[8:9]
.LBB111_11:
	s_or_b64 exec, exec, s[6:7]
	s_cbranch_execz .LBB111_13
	s_branch .LBB111_18
.LBB111_12:
                                        ; implicit-def: $vgpr8_vgpr9
                                        ; implicit-def: $vgpr10_vgpr11
.LBB111_13:
	v_mov_b32_e32 v8, 0
	v_mov_b32_e32 v10, 0
	;; [unrolled: 1-line block ×4, first 2 shown]
	s_and_saveexec_b64 s[6:7], s[0:1]
	s_cbranch_execz .LBB111_17
; %bb.14:
	v_mad_u64_u32 v[12:13], s[0:1], v6, 18, 17
	v_mov_b32_e32 v8, 0
	v_mov_b32_e32 v10, 0
	;; [unrolled: 1-line block ×3, first 2 shown]
	s_mov_b64 s[0:1], 0
	v_mov_b32_e32 v16, s11
	v_mov_b32_e32 v15, 0
	v_mov_b32_e32 v17, s13
	v_mov_b32_e32 v11, 0
	v_mov_b32_e32 v19, s15
.LBB111_15:                             ; =>This Inner Loop Header: Depth=1
	v_ashrrev_i32_e32 v7, 31, v6
	v_lshlrev_b64 v[22:23], 2, v[6:7]
	v_subrev_u32_e32 v14, 17, v12
	v_add_co_u32_e32 v22, vcc, s10, v22
	v_addc_co_u32_e32 v23, vcc, v16, v23, vcc
	global_load_dword v7, v[22:23], off
	v_lshlrev_b64 v[24:25], 3, v[14:15]
	v_add_u32_e32 v20, -8, v12
	v_mov_b32_e32 v21, v15
	v_lshlrev_b64 v[20:21], 3, v[20:21]
	v_add_co_u32_e32 v24, vcc, s12, v24
	v_mov_b32_e32 v13, v15
	v_addc_co_u32_e32 v25, vcc, v17, v25, vcc
	v_lshlrev_b64 v[13:14], 3, v[12:13]
	v_add_co_u32_e32 v20, vcc, s12, v20
	v_addc_co_u32_e32 v21, vcc, v17, v21, vcc
	v_add_co_u32_e32 v26, vcc, s12, v13
	v_addc_co_u32_e32 v27, vcc, v17, v14, vcc
	v_mov_b32_e32 v14, v15
	v_add_u32_e32 v6, 4, v6
	s_waitcnt vmcnt(0)
	v_subrev_u32_e32 v7, s2, v7
	v_lshl_add_u32 v13, v7, 3, v7
	v_lshlrev_b64 v[22:23], 3, v[13:14]
	v_add_u32_e32 v14, 1, v13
	v_add_co_u32_e32 v22, vcc, s14, v22
	v_addc_co_u32_e32 v23, vcc, v19, v23, vcc
	global_load_dwordx2 v[30:31], v[20:21], off
	global_load_dwordx2 v[32:33], v[22:23], off
	v_lshlrev_b64 v[28:29], 3, v[14:15]
	global_load_dwordx4 v[20:23], v[24:25], off
	v_add_co_u32_e32 v28, vcc, s14, v28
	v_addc_co_u32_e32 v29, vcc, v19, v29, vcc
	v_add_u32_e32 v14, -7, v12
	s_waitcnt vmcnt(1)
	v_fma_f64 v[10:11], v[30:31], v[32:33], v[10:11]
	s_waitcnt vmcnt(0)
	v_fma_f64 v[7:8], v[20:21], v[32:33], v[8:9]
	global_load_dwordx2 v[20:21], v[28:29], off
	s_waitcnt vmcnt(0)
	v_fma_f64 v[7:8], v[22:23], v[20:21], v[7:8]
	v_lshlrev_b64 v[22:23], 3, v[14:15]
	v_add_u32_e32 v14, -15, v12
	v_add_co_u32_e32 v22, vcc, s12, v22
	v_lshlrev_b64 v[24:25], 3, v[14:15]
	v_addc_co_u32_e32 v23, vcc, v17, v23, vcc
	v_add_co_u32_e32 v24, vcc, s12, v24
	v_addc_co_u32_e32 v25, vcc, v17, v25, vcc
	global_load_dwordx2 v[28:29], v[22:23], off
	global_load_dwordx2 v[30:31], v[24:25], off
	v_add_u32_e32 v14, 2, v13
	s_waitcnt vmcnt(1)
	v_fma_f64 v[9:10], v[28:29], v[20:21], v[10:11]
	v_lshlrev_b64 v[20:21], 3, v[14:15]
	v_add_u32_e32 v14, -6, v12
	v_add_co_u32_e32 v20, vcc, s14, v20
	v_addc_co_u32_e32 v21, vcc, v19, v21, vcc
	global_load_dwordx2 v[20:21], v[20:21], off
	v_lshlrev_b64 v[22:23], 3, v[14:15]
	v_add_u32_e32 v14, -14, v12
	v_add_co_u32_e32 v22, vcc, s12, v22
	v_lshlrev_b64 v[24:25], 3, v[14:15]
	v_addc_co_u32_e32 v23, vcc, v17, v23, vcc
	v_add_co_u32_e32 v24, vcc, s12, v24
	v_addc_co_u32_e32 v25, vcc, v17, v25, vcc
	v_add_u32_e32 v14, 3, v13
	s_waitcnt vmcnt(0)
	v_fma_f64 v[7:8], v[30:31], v[20:21], v[7:8]
	global_load_dwordx2 v[28:29], v[22:23], off
	global_load_dwordx2 v[30:31], v[24:25], off
	s_waitcnt vmcnt(1)
	v_fma_f64 v[9:10], v[28:29], v[20:21], v[9:10]
	v_lshlrev_b64 v[20:21], 3, v[14:15]
	v_add_u32_e32 v14, -5, v12
	v_add_co_u32_e32 v20, vcc, s14, v20
	v_addc_co_u32_e32 v21, vcc, v19, v21, vcc
	global_load_dwordx2 v[20:21], v[20:21], off
	v_lshlrev_b64 v[22:23], 3, v[14:15]
	v_add_u32_e32 v14, -13, v12
	v_add_co_u32_e32 v22, vcc, s12, v22
	v_lshlrev_b64 v[24:25], 3, v[14:15]
	v_addc_co_u32_e32 v23, vcc, v17, v23, vcc
	v_add_co_u32_e32 v24, vcc, s12, v24
	v_addc_co_u32_e32 v25, vcc, v17, v25, vcc
	v_add_u32_e32 v14, 4, v13
	s_waitcnt vmcnt(0)
	v_fma_f64 v[7:8], v[30:31], v[20:21], v[7:8]
	global_load_dwordx2 v[28:29], v[22:23], off
	global_load_dwordx2 v[30:31], v[24:25], off
	;; [unrolled: 19-line block ×5, first 2 shown]
	s_waitcnt vmcnt(1)
	v_fma_f64 v[9:10], v[28:29], v[20:21], v[9:10]
	v_lshlrev_b64 v[20:21], 3, v[14:15]
	v_add_u32_e32 v14, -1, v12
	v_add_co_u32_e32 v20, vcc, s14, v20
	v_addc_co_u32_e32 v21, vcc, v19, v21, vcc
	global_load_dwordx2 v[20:21], v[20:21], off
	v_lshlrev_b64 v[22:23], 3, v[14:15]
	v_add_u32_e32 v14, -9, v12
	v_lshlrev_b64 v[24:25], 3, v[14:15]
	v_add_co_u32_e32 v22, vcc, s12, v22
	v_add_u32_e32 v14, 8, v13
	v_addc_co_u32_e32 v23, vcc, v17, v23, vcc
	v_add_co_u32_e32 v24, vcc, s12, v24
	v_lshlrev_b64 v[13:14], 3, v[14:15]
	v_addc_co_u32_e32 v25, vcc, v17, v25, vcc
	v_add_co_u32_e32 v13, vcc, s14, v13
	v_addc_co_u32_e32 v14, vcc, v19, v14, vcc
	v_cmp_ge_i32_e32 vcc, v6, v18
	s_or_b64 s[0:1], vcc, s[0:1]
	v_add_u32_e32 v12, 0x48, v12
	s_waitcnt vmcnt(0)
	v_fma_f64 v[7:8], v[30:31], v[20:21], v[7:8]
	global_load_dwordx2 v[28:29], v[22:23], off
	global_load_dwordx2 v[30:31], v[26:27], off
	;; [unrolled: 1-line block ×4, first 2 shown]
	s_waitcnt vmcnt(3)
	v_fma_f64 v[10:11], v[28:29], v[20:21], v[9:10]
	s_waitcnt vmcnt(0)
	v_fma_f64 v[8:9], v[32:33], v[34:35], v[7:8]
	v_fma_f64 v[10:11], v[30:31], v[34:35], v[10:11]
	s_andn2_b64 exec, exec, s[0:1]
	s_cbranch_execnz .LBB111_15
; %bb.16:
	s_or_b64 exec, exec, s[0:1]
.LBB111_17:
	s_or_b64 exec, exec, s[6:7]
.LBB111_18:
	v_mov_b32_dpp v6, v8 row_shr:1 row_mask:0xf bank_mask:0xf
	v_mov_b32_dpp v7, v9 row_shr:1 row_mask:0xf bank_mask:0xf
	v_add_f64 v[6:7], v[8:9], v[6:7]
	v_mov_b32_dpp v8, v10 row_shr:1 row_mask:0xf bank_mask:0xf
	v_mov_b32_dpp v9, v11 row_shr:1 row_mask:0xf bank_mask:0xf
	v_add_f64 v[10:11], v[10:11], v[8:9]
	v_cmp_eq_u32_e32 vcc, 3, v0
	v_mov_b32_dpp v8, v6 row_shr:2 row_mask:0xf bank_mask:0xf
	v_mov_b32_dpp v9, v7 row_shr:2 row_mask:0xf bank_mask:0xf
	;; [unrolled: 1-line block ×4, first 2 shown]
	s_and_b64 exec, exec, vcc
	s_cbranch_execz .LBB111_23
; %bb.19:
	v_add_f64 v[8:9], v[6:7], v[8:9]
	v_add_f64 v[6:7], v[10:11], v[12:13]
	v_cmp_eq_f64_e32 vcc, 0, v[3:4]
	s_load_dwordx2 s[0:1], s[4:5], 0x38
	s_and_saveexec_b64 s[2:3], vcc
	s_xor_b64 s[2:3], exec, s[2:3]
	s_cbranch_execz .LBB111_21
; %bb.20:
	v_mul_f64 v[3:4], v[1:2], v[8:9]
	v_lshlrev_b32_e32 v0, 1, v5
	v_mul_f64 v[5:6], v[1:2], v[6:7]
	v_ashrrev_i32_e32 v1, 31, v0
	v_lshlrev_b64 v[0:1], 3, v[0:1]
	s_waitcnt lgkmcnt(0)
	v_mov_b32_e32 v2, s1
	v_add_co_u32_e32 v0, vcc, s0, v0
	v_addc_co_u32_e32 v1, vcc, v2, v1, vcc
	global_store_dwordx4 v[0:1], v[3:6], off
                                        ; implicit-def: $vgpr5
                                        ; implicit-def: $vgpr1_vgpr2
                                        ; implicit-def: $vgpr8_vgpr9
                                        ; implicit-def: $vgpr3_vgpr4
                                        ; implicit-def: $vgpr6_vgpr7
.LBB111_21:
	s_andn2_saveexec_b64 s[2:3], s[2:3]
	s_cbranch_execz .LBB111_23
; %bb.22:
	v_lshlrev_b32_e32 v10, 1, v5
	v_ashrrev_i32_e32 v11, 31, v10
	v_lshlrev_b64 v[10:11], 3, v[10:11]
	s_waitcnt lgkmcnt(0)
	v_mov_b32_e32 v0, s1
	v_add_co_u32_e32 v14, vcc, s0, v10
	v_addc_co_u32_e32 v15, vcc, v0, v11, vcc
	global_load_dwordx4 v[10:13], v[14:15], off
	v_mul_f64 v[8:9], v[1:2], v[8:9]
	v_mul_f64 v[5:6], v[1:2], v[6:7]
	s_waitcnt vmcnt(0)
	v_fma_f64 v[0:1], v[3:4], v[10:11], v[8:9]
	v_fma_f64 v[2:3], v[3:4], v[12:13], v[5:6]
	global_store_dwordx4 v[14:15], v[0:3], off
.LBB111_23:
	s_endpgm
	.section	.rodata,"a",@progbits
	.p2align	6, 0x0
	.amdhsa_kernel _ZN9rocsparseL19gebsrmvn_2xn_kernelILj128ELj9ELj4EdEEvi20rocsparse_direction_NS_24const_host_device_scalarIT2_EEPKiS6_PKS3_S8_S4_PS3_21rocsparse_index_base_b
		.amdhsa_group_segment_fixed_size 0
		.amdhsa_private_segment_fixed_size 0
		.amdhsa_kernarg_size 72
		.amdhsa_user_sgpr_count 6
		.amdhsa_user_sgpr_private_segment_buffer 1
		.amdhsa_user_sgpr_dispatch_ptr 0
		.amdhsa_user_sgpr_queue_ptr 0
		.amdhsa_user_sgpr_kernarg_segment_ptr 1
		.amdhsa_user_sgpr_dispatch_id 0
		.amdhsa_user_sgpr_flat_scratch_init 0
		.amdhsa_user_sgpr_private_segment_size 0
		.amdhsa_uses_dynamic_stack 0
		.amdhsa_system_sgpr_private_segment_wavefront_offset 0
		.amdhsa_system_sgpr_workgroup_id_x 1
		.amdhsa_system_sgpr_workgroup_id_y 0
		.amdhsa_system_sgpr_workgroup_id_z 0
		.amdhsa_system_sgpr_workgroup_info 0
		.amdhsa_system_vgpr_workitem_id 0
		.amdhsa_next_free_vgpr 38
		.amdhsa_next_free_sgpr 16
		.amdhsa_reserve_vcc 1
		.amdhsa_reserve_flat_scratch 0
		.amdhsa_float_round_mode_32 0
		.amdhsa_float_round_mode_16_64 0
		.amdhsa_float_denorm_mode_32 3
		.amdhsa_float_denorm_mode_16_64 3
		.amdhsa_dx10_clamp 1
		.amdhsa_ieee_mode 1
		.amdhsa_fp16_overflow 0
		.amdhsa_exception_fp_ieee_invalid_op 0
		.amdhsa_exception_fp_denorm_src 0
		.amdhsa_exception_fp_ieee_div_zero 0
		.amdhsa_exception_fp_ieee_overflow 0
		.amdhsa_exception_fp_ieee_underflow 0
		.amdhsa_exception_fp_ieee_inexact 0
		.amdhsa_exception_int_div_zero 0
	.end_amdhsa_kernel
	.section	.text._ZN9rocsparseL19gebsrmvn_2xn_kernelILj128ELj9ELj4EdEEvi20rocsparse_direction_NS_24const_host_device_scalarIT2_EEPKiS6_PKS3_S8_S4_PS3_21rocsparse_index_base_b,"axG",@progbits,_ZN9rocsparseL19gebsrmvn_2xn_kernelILj128ELj9ELj4EdEEvi20rocsparse_direction_NS_24const_host_device_scalarIT2_EEPKiS6_PKS3_S8_S4_PS3_21rocsparse_index_base_b,comdat
.Lfunc_end111:
	.size	_ZN9rocsparseL19gebsrmvn_2xn_kernelILj128ELj9ELj4EdEEvi20rocsparse_direction_NS_24const_host_device_scalarIT2_EEPKiS6_PKS3_S8_S4_PS3_21rocsparse_index_base_b, .Lfunc_end111-_ZN9rocsparseL19gebsrmvn_2xn_kernelILj128ELj9ELj4EdEEvi20rocsparse_direction_NS_24const_host_device_scalarIT2_EEPKiS6_PKS3_S8_S4_PS3_21rocsparse_index_base_b
                                        ; -- End function
	.set _ZN9rocsparseL19gebsrmvn_2xn_kernelILj128ELj9ELj4EdEEvi20rocsparse_direction_NS_24const_host_device_scalarIT2_EEPKiS6_PKS3_S8_S4_PS3_21rocsparse_index_base_b.num_vgpr, 38
	.set _ZN9rocsparseL19gebsrmvn_2xn_kernelILj128ELj9ELj4EdEEvi20rocsparse_direction_NS_24const_host_device_scalarIT2_EEPKiS6_PKS3_S8_S4_PS3_21rocsparse_index_base_b.num_agpr, 0
	.set _ZN9rocsparseL19gebsrmvn_2xn_kernelILj128ELj9ELj4EdEEvi20rocsparse_direction_NS_24const_host_device_scalarIT2_EEPKiS6_PKS3_S8_S4_PS3_21rocsparse_index_base_b.numbered_sgpr, 16
	.set _ZN9rocsparseL19gebsrmvn_2xn_kernelILj128ELj9ELj4EdEEvi20rocsparse_direction_NS_24const_host_device_scalarIT2_EEPKiS6_PKS3_S8_S4_PS3_21rocsparse_index_base_b.num_named_barrier, 0
	.set _ZN9rocsparseL19gebsrmvn_2xn_kernelILj128ELj9ELj4EdEEvi20rocsparse_direction_NS_24const_host_device_scalarIT2_EEPKiS6_PKS3_S8_S4_PS3_21rocsparse_index_base_b.private_seg_size, 0
	.set _ZN9rocsparseL19gebsrmvn_2xn_kernelILj128ELj9ELj4EdEEvi20rocsparse_direction_NS_24const_host_device_scalarIT2_EEPKiS6_PKS3_S8_S4_PS3_21rocsparse_index_base_b.uses_vcc, 1
	.set _ZN9rocsparseL19gebsrmvn_2xn_kernelILj128ELj9ELj4EdEEvi20rocsparse_direction_NS_24const_host_device_scalarIT2_EEPKiS6_PKS3_S8_S4_PS3_21rocsparse_index_base_b.uses_flat_scratch, 0
	.set _ZN9rocsparseL19gebsrmvn_2xn_kernelILj128ELj9ELj4EdEEvi20rocsparse_direction_NS_24const_host_device_scalarIT2_EEPKiS6_PKS3_S8_S4_PS3_21rocsparse_index_base_b.has_dyn_sized_stack, 0
	.set _ZN9rocsparseL19gebsrmvn_2xn_kernelILj128ELj9ELj4EdEEvi20rocsparse_direction_NS_24const_host_device_scalarIT2_EEPKiS6_PKS3_S8_S4_PS3_21rocsparse_index_base_b.has_recursion, 0
	.set _ZN9rocsparseL19gebsrmvn_2xn_kernelILj128ELj9ELj4EdEEvi20rocsparse_direction_NS_24const_host_device_scalarIT2_EEPKiS6_PKS3_S8_S4_PS3_21rocsparse_index_base_b.has_indirect_call, 0
	.section	.AMDGPU.csdata,"",@progbits
; Kernel info:
; codeLenInByte = 2468
; TotalNumSgprs: 20
; NumVgprs: 38
; ScratchSize: 0
; MemoryBound: 0
; FloatMode: 240
; IeeeMode: 1
; LDSByteSize: 0 bytes/workgroup (compile time only)
; SGPRBlocks: 2
; VGPRBlocks: 9
; NumSGPRsForWavesPerEU: 20
; NumVGPRsForWavesPerEU: 38
; Occupancy: 6
; WaveLimiterHint : 1
; COMPUTE_PGM_RSRC2:SCRATCH_EN: 0
; COMPUTE_PGM_RSRC2:USER_SGPR: 6
; COMPUTE_PGM_RSRC2:TRAP_HANDLER: 0
; COMPUTE_PGM_RSRC2:TGID_X_EN: 1
; COMPUTE_PGM_RSRC2:TGID_Y_EN: 0
; COMPUTE_PGM_RSRC2:TGID_Z_EN: 0
; COMPUTE_PGM_RSRC2:TIDIG_COMP_CNT: 0
	.section	.text._ZN9rocsparseL19gebsrmvn_2xn_kernelILj128ELj9ELj8EdEEvi20rocsparse_direction_NS_24const_host_device_scalarIT2_EEPKiS6_PKS3_S8_S4_PS3_21rocsparse_index_base_b,"axG",@progbits,_ZN9rocsparseL19gebsrmvn_2xn_kernelILj128ELj9ELj8EdEEvi20rocsparse_direction_NS_24const_host_device_scalarIT2_EEPKiS6_PKS3_S8_S4_PS3_21rocsparse_index_base_b,comdat
	.globl	_ZN9rocsparseL19gebsrmvn_2xn_kernelILj128ELj9ELj8EdEEvi20rocsparse_direction_NS_24const_host_device_scalarIT2_EEPKiS6_PKS3_S8_S4_PS3_21rocsparse_index_base_b ; -- Begin function _ZN9rocsparseL19gebsrmvn_2xn_kernelILj128ELj9ELj8EdEEvi20rocsparse_direction_NS_24const_host_device_scalarIT2_EEPKiS6_PKS3_S8_S4_PS3_21rocsparse_index_base_b
	.p2align	8
	.type	_ZN9rocsparseL19gebsrmvn_2xn_kernelILj128ELj9ELj8EdEEvi20rocsparse_direction_NS_24const_host_device_scalarIT2_EEPKiS6_PKS3_S8_S4_PS3_21rocsparse_index_base_b,@function
_ZN9rocsparseL19gebsrmvn_2xn_kernelILj128ELj9ELj8EdEEvi20rocsparse_direction_NS_24const_host_device_scalarIT2_EEPKiS6_PKS3_S8_S4_PS3_21rocsparse_index_base_b: ; @_ZN9rocsparseL19gebsrmvn_2xn_kernelILj128ELj9ELj8EdEEvi20rocsparse_direction_NS_24const_host_device_scalarIT2_EEPKiS6_PKS3_S8_S4_PS3_21rocsparse_index_base_b
; %bb.0:
	s_load_dwordx2 s[2:3], s[4:5], 0x40
	s_load_dwordx2 s[10:11], s[4:5], 0x8
	;; [unrolled: 1-line block ×3, first 2 shown]
	s_waitcnt lgkmcnt(0)
	s_bitcmp1_b32 s3, 0
	s_cselect_b64 s[12:13], -1, 0
	v_mov_b32_e32 v1, s10
	s_xor_b64 s[8:9], s[12:13], -1
	s_and_b64 vcc, exec, s[12:13]
	v_mov_b32_e32 v2, s11
	s_cbranch_vccnz .LBB112_2
; %bb.1:
	v_mov_b32_e32 v1, s10
	v_mov_b32_e32 v2, s11
	flat_load_dwordx2 v[1:2], v[1:2]
.LBB112_2:
	v_mov_b32_e32 v4, s1
	s_andn2_b64 vcc, exec, s[8:9]
	v_mov_b32_e32 v3, s0
	s_cbranch_vccnz .LBB112_4
; %bb.3:
	v_mov_b32_e32 v4, s1
	v_mov_b32_e32 v3, s0
	flat_load_dwordx2 v[3:4], v[3:4]
.LBB112_4:
	s_waitcnt vmcnt(0) lgkmcnt(0)
	v_cmp_neq_f64_e32 vcc, 0, v[1:2]
	v_cmp_neq_f64_e64 s[0:1], 1.0, v[3:4]
	s_or_b64 s[0:1], vcc, s[0:1]
	s_and_saveexec_b64 s[8:9], s[0:1]
	s_cbranch_execz .LBB112_23
; %bb.5:
	s_load_dwordx2 s[0:1], s[4:5], 0x0
	v_lshrrev_b32_e32 v5, 3, v0
	v_lshl_or_b32 v5, s6, 4, v5
	s_waitcnt lgkmcnt(0)
	v_cmp_gt_i32_e32 vcc, s0, v5
	s_and_b64 exec, exec, vcc
	s_cbranch_execz .LBB112_23
; %bb.6:
	s_load_dwordx8 s[8:15], s[4:5], 0x10
	v_ashrrev_i32_e32 v6, 31, v5
	v_lshlrev_b64 v[6:7], 2, v[5:6]
	v_and_b32_e32 v0, 7, v0
	s_cmp_lg_u32 s1, 0
	s_waitcnt lgkmcnt(0)
	v_mov_b32_e32 v8, s9
	v_add_co_u32_e32 v6, vcc, s8, v6
	v_addc_co_u32_e32 v7, vcc, v8, v7, vcc
	global_load_dwordx2 v[6:7], v[6:7], off
	s_waitcnt vmcnt(0)
	v_subrev_u32_e32 v6, s2, v6
	v_subrev_u32_e32 v18, s2, v7
	v_add_u32_e32 v6, v6, v0
	v_cmp_lt_i32_e64 s[0:1], v6, v18
	s_cbranch_scc0 .LBB112_12
; %bb.7:
	v_mov_b32_e32 v8, 0
	v_mov_b32_e32 v10, 0
	;; [unrolled: 1-line block ×4, first 2 shown]
	s_and_saveexec_b64 s[6:7], s[0:1]
	s_cbranch_execz .LBB112_11
; %bb.8:
	v_mad_u64_u32 v[12:13], s[8:9], v6, 18, 16
	v_mov_b32_e32 v8, 0
	v_mov_b32_e32 v10, 0
	v_mov_b32_e32 v9, 0
	s_mov_b64 s[8:9], 0
	v_mov_b32_e32 v7, s11
	v_mov_b32_e32 v15, 0
	;; [unrolled: 1-line block ×6, first 2 shown]
.LBB112_9:                              ; =>This Inner Loop Header: Depth=1
	v_ashrrev_i32_e32 v17, 31, v16
	v_lshlrev_b64 v[21:22], 2, v[16:17]
	v_add_u32_e32 v14, -16, v12
	v_lshlrev_b64 v[23:24], 3, v[14:15]
	v_add_co_u32_e32 v27, vcc, s10, v21
	v_addc_co_u32_e32 v28, vcc, v7, v22, vcc
	v_add_co_u32_e32 v31, vcc, s12, v23
	v_addc_co_u32_e32 v32, vcc, v19, v24, vcc
	global_load_dword v17, v[27:28], off
	global_load_dwordx4 v[21:24], v[31:32], off
	v_mov_b32_e32 v13, v15
	v_lshlrev_b64 v[25:26], 3, v[12:13]
	v_add_u32_e32 v14, -14, v12
	v_lshlrev_b64 v[13:14], 3, v[14:15]
	v_add_co_u32_e32 v33, vcc, s12, v25
	v_mov_b32_e32 v30, v15
	v_addc_co_u32_e32 v34, vcc, v19, v26, vcc
	v_add_co_u32_e32 v13, vcc, s12, v13
	v_addc_co_u32_e32 v14, vcc, v19, v14, vcc
	v_add_u32_e32 v16, 8, v16
	s_waitcnt vmcnt(1)
	v_subrev_u32_e32 v17, s2, v17
	v_lshl_add_u32 v29, v17, 3, v17
	v_lshlrev_b64 v[25:26], 3, v[29:30]
	v_add_co_u32_e32 v30, vcc, s14, v25
	v_addc_co_u32_e32 v31, vcc, v20, v26, vcc
	global_load_dwordx4 v[25:28], v[33:34], off
	global_load_dwordx2 v[35:36], v[30:31], off
	s_waitcnt vmcnt(0)
	v_fma_f64 v[21:22], v[21:22], v[35:36], v[8:9]
	v_fma_f64 v[23:24], v[23:24], v[35:36], v[10:11]
	global_load_dwordx4 v[8:11], v[13:14], off
	v_add_u32_e32 v14, 1, v29
	v_lshlrev_b64 v[30:31], 3, v[14:15]
	v_add_u32_e32 v14, -12, v12
	v_add_co_u32_e32 v30, vcc, s14, v30
	v_addc_co_u32_e32 v31, vcc, v20, v31, vcc
	global_load_dwordx2 v[30:31], v[30:31], off
	v_lshlrev_b64 v[32:33], 3, v[14:15]
	v_add_u32_e32 v14, 2, v29
	s_waitcnt vmcnt(0)
	v_fma_f64 v[21:22], v[8:9], v[30:31], v[21:22]
	v_fma_f64 v[23:24], v[10:11], v[30:31], v[23:24]
	v_lshlrev_b64 v[8:9], 3, v[14:15]
	v_add_co_u32_e32 v30, vcc, s12, v32
	v_addc_co_u32_e32 v31, vcc, v19, v33, vcc
	v_add_co_u32_e32 v34, vcc, s14, v8
	v_addc_co_u32_e32 v35, vcc, v20, v9, vcc
	global_load_dwordx4 v[8:11], v[30:31], off
	global_load_dwordx2 v[36:37], v[34:35], off
	v_add_u32_e32 v14, -10, v12
	v_lshlrev_b64 v[32:33], 3, v[14:15]
	v_add_u32_e32 v14, 3, v29
	v_add_co_u32_e32 v30, vcc, s12, v32
	v_addc_co_u32_e32 v31, vcc, v19, v33, vcc
	s_waitcnt vmcnt(0)
	v_fma_f64 v[21:22], v[8:9], v[36:37], v[21:22]
	v_lshlrev_b64 v[8:9], 3, v[14:15]
	v_fma_f64 v[23:24], v[10:11], v[36:37], v[23:24]
	v_add_co_u32_e32 v34, vcc, s14, v8
	v_addc_co_u32_e32 v35, vcc, v20, v9, vcc
	global_load_dwordx4 v[8:11], v[30:31], off
	global_load_dwordx2 v[36:37], v[34:35], off
	v_add_u32_e32 v14, -8, v12
	v_lshlrev_b64 v[32:33], 3, v[14:15]
	v_add_u32_e32 v14, 4, v29
	v_add_co_u32_e32 v30, vcc, s12, v32
	v_addc_co_u32_e32 v31, vcc, v19, v33, vcc
	s_waitcnt vmcnt(0)
	v_fma_f64 v[21:22], v[8:9], v[36:37], v[21:22]
	v_lshlrev_b64 v[8:9], 3, v[14:15]
	v_fma_f64 v[23:24], v[10:11], v[36:37], v[23:24]
	;; [unrolled: 13-line block ×4, first 2 shown]
	v_add_co_u32_e32 v34, vcc, s14, v8
	v_addc_co_u32_e32 v35, vcc, v20, v9, vcc
	global_load_dwordx4 v[8:11], v[30:31], off
	global_load_dwordx2 v[36:37], v[34:35], off
	v_add_u32_e32 v14, -2, v12
	v_lshlrev_b64 v[32:33], 3, v[14:15]
	v_add_u32_e32 v14, 7, v29
	v_add_co_u32_e32 v13, vcc, s12, v32
	v_add_u32_e32 v12, 0x90, v12
	s_waitcnt vmcnt(0)
	v_fma_f64 v[21:22], v[8:9], v[36:37], v[21:22]
	v_lshlrev_b64 v[8:9], 3, v[14:15]
	v_addc_co_u32_e32 v14, vcc, v19, v33, vcc
	v_add_co_u32_e32 v30, vcc, s14, v8
	v_fma_f64 v[23:24], v[10:11], v[36:37], v[23:24]
	v_addc_co_u32_e32 v31, vcc, v20, v9, vcc
	global_load_dwordx4 v[8:11], v[13:14], off
	global_load_dwordx2 v[32:33], v[30:31], off
	v_add_u32_e32 v14, 8, v29
	v_lshlrev_b64 v[13:14], 3, v[14:15]
	v_add_co_u32_e32 v13, vcc, s14, v13
	v_addc_co_u32_e32 v14, vcc, v20, v14, vcc
	global_load_dwordx2 v[13:14], v[13:14], off
	v_cmp_ge_i32_e32 vcc, v16, v18
	s_or_b64 s[8:9], vcc, s[8:9]
	s_waitcnt vmcnt(1)
	v_fma_f64 v[8:9], v[8:9], v[32:33], v[21:22]
	v_fma_f64 v[10:11], v[10:11], v[32:33], v[23:24]
	s_waitcnt vmcnt(0)
	v_fma_f64 v[8:9], v[25:26], v[13:14], v[8:9]
	v_fma_f64 v[10:11], v[27:28], v[13:14], v[10:11]
	s_andn2_b64 exec, exec, s[8:9]
	s_cbranch_execnz .LBB112_9
; %bb.10:
	s_or_b64 exec, exec, s[8:9]
.LBB112_11:
	s_or_b64 exec, exec, s[6:7]
	s_cbranch_execz .LBB112_13
	s_branch .LBB112_18
.LBB112_12:
                                        ; implicit-def: $vgpr8_vgpr9
                                        ; implicit-def: $vgpr10_vgpr11
.LBB112_13:
	v_mov_b32_e32 v8, 0
	v_mov_b32_e32 v10, 0
	;; [unrolled: 1-line block ×4, first 2 shown]
	s_and_saveexec_b64 s[6:7], s[0:1]
	s_cbranch_execz .LBB112_17
; %bb.14:
	v_mad_u64_u32 v[12:13], s[0:1], v6, 18, 17
	v_mov_b32_e32 v8, 0
	v_mov_b32_e32 v10, 0
	;; [unrolled: 1-line block ×3, first 2 shown]
	s_mov_b64 s[0:1], 0
	v_mov_b32_e32 v16, s11
	v_mov_b32_e32 v15, 0
	;; [unrolled: 1-line block ×5, first 2 shown]
.LBB112_15:                             ; =>This Inner Loop Header: Depth=1
	v_ashrrev_i32_e32 v7, 31, v6
	v_lshlrev_b64 v[22:23], 2, v[6:7]
	v_subrev_u32_e32 v14, 17, v12
	v_add_co_u32_e32 v22, vcc, s10, v22
	v_addc_co_u32_e32 v23, vcc, v16, v23, vcc
	global_load_dword v7, v[22:23], off
	v_lshlrev_b64 v[24:25], 3, v[14:15]
	v_add_u32_e32 v20, -8, v12
	v_mov_b32_e32 v21, v15
	v_lshlrev_b64 v[20:21], 3, v[20:21]
	v_add_co_u32_e32 v24, vcc, s12, v24
	v_mov_b32_e32 v13, v15
	v_addc_co_u32_e32 v25, vcc, v17, v25, vcc
	v_lshlrev_b64 v[13:14], 3, v[12:13]
	v_add_co_u32_e32 v20, vcc, s12, v20
	v_addc_co_u32_e32 v21, vcc, v17, v21, vcc
	v_add_co_u32_e32 v26, vcc, s12, v13
	v_addc_co_u32_e32 v27, vcc, v17, v14, vcc
	v_mov_b32_e32 v14, v15
	v_add_u32_e32 v6, 8, v6
	s_waitcnt vmcnt(0)
	v_subrev_u32_e32 v7, s2, v7
	v_lshl_add_u32 v13, v7, 3, v7
	v_lshlrev_b64 v[22:23], 3, v[13:14]
	v_add_u32_e32 v14, 1, v13
	v_add_co_u32_e32 v22, vcc, s14, v22
	v_addc_co_u32_e32 v23, vcc, v19, v23, vcc
	global_load_dwordx2 v[30:31], v[20:21], off
	global_load_dwordx2 v[32:33], v[22:23], off
	v_lshlrev_b64 v[28:29], 3, v[14:15]
	global_load_dwordx4 v[20:23], v[24:25], off
	v_add_co_u32_e32 v28, vcc, s14, v28
	v_addc_co_u32_e32 v29, vcc, v19, v29, vcc
	v_add_u32_e32 v14, -7, v12
	s_waitcnt vmcnt(1)
	v_fma_f64 v[10:11], v[30:31], v[32:33], v[10:11]
	s_waitcnt vmcnt(0)
	v_fma_f64 v[7:8], v[20:21], v[32:33], v[8:9]
	global_load_dwordx2 v[20:21], v[28:29], off
	s_waitcnt vmcnt(0)
	v_fma_f64 v[7:8], v[22:23], v[20:21], v[7:8]
	v_lshlrev_b64 v[22:23], 3, v[14:15]
	v_add_u32_e32 v14, -15, v12
	v_add_co_u32_e32 v22, vcc, s12, v22
	v_lshlrev_b64 v[24:25], 3, v[14:15]
	v_addc_co_u32_e32 v23, vcc, v17, v23, vcc
	v_add_co_u32_e32 v24, vcc, s12, v24
	v_addc_co_u32_e32 v25, vcc, v17, v25, vcc
	global_load_dwordx2 v[28:29], v[22:23], off
	global_load_dwordx2 v[30:31], v[24:25], off
	v_add_u32_e32 v14, 2, v13
	s_waitcnt vmcnt(1)
	v_fma_f64 v[9:10], v[28:29], v[20:21], v[10:11]
	v_lshlrev_b64 v[20:21], 3, v[14:15]
	v_add_u32_e32 v14, -6, v12
	v_add_co_u32_e32 v20, vcc, s14, v20
	v_addc_co_u32_e32 v21, vcc, v19, v21, vcc
	global_load_dwordx2 v[20:21], v[20:21], off
	v_lshlrev_b64 v[22:23], 3, v[14:15]
	v_add_u32_e32 v14, -14, v12
	v_add_co_u32_e32 v22, vcc, s12, v22
	v_lshlrev_b64 v[24:25], 3, v[14:15]
	v_addc_co_u32_e32 v23, vcc, v17, v23, vcc
	v_add_co_u32_e32 v24, vcc, s12, v24
	v_addc_co_u32_e32 v25, vcc, v17, v25, vcc
	v_add_u32_e32 v14, 3, v13
	s_waitcnt vmcnt(0)
	v_fma_f64 v[7:8], v[30:31], v[20:21], v[7:8]
	global_load_dwordx2 v[28:29], v[22:23], off
	global_load_dwordx2 v[30:31], v[24:25], off
	s_waitcnt vmcnt(1)
	v_fma_f64 v[9:10], v[28:29], v[20:21], v[9:10]
	v_lshlrev_b64 v[20:21], 3, v[14:15]
	v_add_u32_e32 v14, -5, v12
	v_add_co_u32_e32 v20, vcc, s14, v20
	v_addc_co_u32_e32 v21, vcc, v19, v21, vcc
	global_load_dwordx2 v[20:21], v[20:21], off
	v_lshlrev_b64 v[22:23], 3, v[14:15]
	v_add_u32_e32 v14, -13, v12
	v_add_co_u32_e32 v22, vcc, s12, v22
	v_lshlrev_b64 v[24:25], 3, v[14:15]
	v_addc_co_u32_e32 v23, vcc, v17, v23, vcc
	v_add_co_u32_e32 v24, vcc, s12, v24
	v_addc_co_u32_e32 v25, vcc, v17, v25, vcc
	v_add_u32_e32 v14, 4, v13
	s_waitcnt vmcnt(0)
	v_fma_f64 v[7:8], v[30:31], v[20:21], v[7:8]
	global_load_dwordx2 v[28:29], v[22:23], off
	global_load_dwordx2 v[30:31], v[24:25], off
	;; [unrolled: 19-line block ×5, first 2 shown]
	s_waitcnt vmcnt(1)
	v_fma_f64 v[9:10], v[28:29], v[20:21], v[9:10]
	v_lshlrev_b64 v[20:21], 3, v[14:15]
	v_add_u32_e32 v14, -1, v12
	v_add_co_u32_e32 v20, vcc, s14, v20
	v_addc_co_u32_e32 v21, vcc, v19, v21, vcc
	global_load_dwordx2 v[20:21], v[20:21], off
	v_lshlrev_b64 v[22:23], 3, v[14:15]
	v_add_u32_e32 v14, -9, v12
	v_lshlrev_b64 v[24:25], 3, v[14:15]
	v_add_co_u32_e32 v22, vcc, s12, v22
	v_add_u32_e32 v14, 8, v13
	v_addc_co_u32_e32 v23, vcc, v17, v23, vcc
	v_add_co_u32_e32 v24, vcc, s12, v24
	v_lshlrev_b64 v[13:14], 3, v[14:15]
	v_addc_co_u32_e32 v25, vcc, v17, v25, vcc
	v_add_co_u32_e32 v13, vcc, s14, v13
	v_addc_co_u32_e32 v14, vcc, v19, v14, vcc
	v_cmp_ge_i32_e32 vcc, v6, v18
	s_or_b64 s[0:1], vcc, s[0:1]
	v_add_u32_e32 v12, 0x90, v12
	s_waitcnt vmcnt(0)
	v_fma_f64 v[7:8], v[30:31], v[20:21], v[7:8]
	global_load_dwordx2 v[28:29], v[22:23], off
	global_load_dwordx2 v[30:31], v[26:27], off
	global_load_dwordx2 v[32:33], v[24:25], off
	global_load_dwordx2 v[34:35], v[13:14], off
	s_waitcnt vmcnt(3)
	v_fma_f64 v[10:11], v[28:29], v[20:21], v[9:10]
	s_waitcnt vmcnt(0)
	v_fma_f64 v[8:9], v[32:33], v[34:35], v[7:8]
	v_fma_f64 v[10:11], v[30:31], v[34:35], v[10:11]
	s_andn2_b64 exec, exec, s[0:1]
	s_cbranch_execnz .LBB112_15
; %bb.16:
	s_or_b64 exec, exec, s[0:1]
.LBB112_17:
	s_or_b64 exec, exec, s[6:7]
.LBB112_18:
	v_mov_b32_dpp v6, v8 row_shr:1 row_mask:0xf bank_mask:0xf
	v_mov_b32_dpp v7, v9 row_shr:1 row_mask:0xf bank_mask:0xf
	v_add_f64 v[6:7], v[8:9], v[6:7]
	v_mov_b32_dpp v8, v10 row_shr:1 row_mask:0xf bank_mask:0xf
	v_mov_b32_dpp v9, v11 row_shr:1 row_mask:0xf bank_mask:0xf
	v_add_f64 v[8:9], v[10:11], v[8:9]
	v_cmp_eq_u32_e32 vcc, 7, v0
	v_mov_b32_dpp v10, v6 row_shr:2 row_mask:0xf bank_mask:0xf
	v_mov_b32_dpp v11, v7 row_shr:2 row_mask:0xf bank_mask:0xf
	v_add_f64 v[6:7], v[6:7], v[10:11]
	v_mov_b32_dpp v12, v8 row_shr:2 row_mask:0xf bank_mask:0xf
	v_mov_b32_dpp v13, v9 row_shr:2 row_mask:0xf bank_mask:0xf
	v_add_f64 v[10:11], v[8:9], v[12:13]
	v_mov_b32_dpp v8, v6 row_shr:4 row_mask:0xf bank_mask:0xe
	v_mov_b32_dpp v9, v7 row_shr:4 row_mask:0xf bank_mask:0xe
	;; [unrolled: 1-line block ×4, first 2 shown]
	s_and_b64 exec, exec, vcc
	s_cbranch_execz .LBB112_23
; %bb.19:
	v_add_f64 v[8:9], v[6:7], v[8:9]
	v_add_f64 v[6:7], v[10:11], v[12:13]
	v_cmp_eq_f64_e32 vcc, 0, v[3:4]
	s_load_dwordx2 s[0:1], s[4:5], 0x38
	s_and_saveexec_b64 s[2:3], vcc
	s_xor_b64 s[2:3], exec, s[2:3]
	s_cbranch_execz .LBB112_21
; %bb.20:
	v_mul_f64 v[3:4], v[1:2], v[8:9]
	v_lshlrev_b32_e32 v0, 1, v5
	v_mul_f64 v[5:6], v[1:2], v[6:7]
	v_ashrrev_i32_e32 v1, 31, v0
	v_lshlrev_b64 v[0:1], 3, v[0:1]
	s_waitcnt lgkmcnt(0)
	v_mov_b32_e32 v2, s1
	v_add_co_u32_e32 v0, vcc, s0, v0
	v_addc_co_u32_e32 v1, vcc, v2, v1, vcc
	global_store_dwordx4 v[0:1], v[3:6], off
                                        ; implicit-def: $vgpr5
                                        ; implicit-def: $vgpr1_vgpr2
                                        ; implicit-def: $vgpr8_vgpr9
                                        ; implicit-def: $vgpr3_vgpr4
                                        ; implicit-def: $vgpr6_vgpr7
.LBB112_21:
	s_andn2_saveexec_b64 s[2:3], s[2:3]
	s_cbranch_execz .LBB112_23
; %bb.22:
	v_lshlrev_b32_e32 v10, 1, v5
	v_ashrrev_i32_e32 v11, 31, v10
	v_lshlrev_b64 v[10:11], 3, v[10:11]
	s_waitcnt lgkmcnt(0)
	v_mov_b32_e32 v0, s1
	v_add_co_u32_e32 v14, vcc, s0, v10
	v_addc_co_u32_e32 v15, vcc, v0, v11, vcc
	global_load_dwordx4 v[10:13], v[14:15], off
	v_mul_f64 v[8:9], v[1:2], v[8:9]
	v_mul_f64 v[5:6], v[1:2], v[6:7]
	s_waitcnt vmcnt(0)
	v_fma_f64 v[0:1], v[3:4], v[10:11], v[8:9]
	v_fma_f64 v[2:3], v[3:4], v[12:13], v[5:6]
	global_store_dwordx4 v[14:15], v[0:3], off
.LBB112_23:
	s_endpgm
	.section	.rodata,"a",@progbits
	.p2align	6, 0x0
	.amdhsa_kernel _ZN9rocsparseL19gebsrmvn_2xn_kernelILj128ELj9ELj8EdEEvi20rocsparse_direction_NS_24const_host_device_scalarIT2_EEPKiS6_PKS3_S8_S4_PS3_21rocsparse_index_base_b
		.amdhsa_group_segment_fixed_size 0
		.amdhsa_private_segment_fixed_size 0
		.amdhsa_kernarg_size 72
		.amdhsa_user_sgpr_count 6
		.amdhsa_user_sgpr_private_segment_buffer 1
		.amdhsa_user_sgpr_dispatch_ptr 0
		.amdhsa_user_sgpr_queue_ptr 0
		.amdhsa_user_sgpr_kernarg_segment_ptr 1
		.amdhsa_user_sgpr_dispatch_id 0
		.amdhsa_user_sgpr_flat_scratch_init 0
		.amdhsa_user_sgpr_private_segment_size 0
		.amdhsa_uses_dynamic_stack 0
		.amdhsa_system_sgpr_private_segment_wavefront_offset 0
		.amdhsa_system_sgpr_workgroup_id_x 1
		.amdhsa_system_sgpr_workgroup_id_y 0
		.amdhsa_system_sgpr_workgroup_id_z 0
		.amdhsa_system_sgpr_workgroup_info 0
		.amdhsa_system_vgpr_workitem_id 0
		.amdhsa_next_free_vgpr 38
		.amdhsa_next_free_sgpr 16
		.amdhsa_reserve_vcc 1
		.amdhsa_reserve_flat_scratch 0
		.amdhsa_float_round_mode_32 0
		.amdhsa_float_round_mode_16_64 0
		.amdhsa_float_denorm_mode_32 3
		.amdhsa_float_denorm_mode_16_64 3
		.amdhsa_dx10_clamp 1
		.amdhsa_ieee_mode 1
		.amdhsa_fp16_overflow 0
		.amdhsa_exception_fp_ieee_invalid_op 0
		.amdhsa_exception_fp_denorm_src 0
		.amdhsa_exception_fp_ieee_div_zero 0
		.amdhsa_exception_fp_ieee_overflow 0
		.amdhsa_exception_fp_ieee_underflow 0
		.amdhsa_exception_fp_ieee_inexact 0
		.amdhsa_exception_int_div_zero 0
	.end_amdhsa_kernel
	.section	.text._ZN9rocsparseL19gebsrmvn_2xn_kernelILj128ELj9ELj8EdEEvi20rocsparse_direction_NS_24const_host_device_scalarIT2_EEPKiS6_PKS3_S8_S4_PS3_21rocsparse_index_base_b,"axG",@progbits,_ZN9rocsparseL19gebsrmvn_2xn_kernelILj128ELj9ELj8EdEEvi20rocsparse_direction_NS_24const_host_device_scalarIT2_EEPKiS6_PKS3_S8_S4_PS3_21rocsparse_index_base_b,comdat
.Lfunc_end112:
	.size	_ZN9rocsparseL19gebsrmvn_2xn_kernelILj128ELj9ELj8EdEEvi20rocsparse_direction_NS_24const_host_device_scalarIT2_EEPKiS6_PKS3_S8_S4_PS3_21rocsparse_index_base_b, .Lfunc_end112-_ZN9rocsparseL19gebsrmvn_2xn_kernelILj128ELj9ELj8EdEEvi20rocsparse_direction_NS_24const_host_device_scalarIT2_EEPKiS6_PKS3_S8_S4_PS3_21rocsparse_index_base_b
                                        ; -- End function
	.set _ZN9rocsparseL19gebsrmvn_2xn_kernelILj128ELj9ELj8EdEEvi20rocsparse_direction_NS_24const_host_device_scalarIT2_EEPKiS6_PKS3_S8_S4_PS3_21rocsparse_index_base_b.num_vgpr, 38
	.set _ZN9rocsparseL19gebsrmvn_2xn_kernelILj128ELj9ELj8EdEEvi20rocsparse_direction_NS_24const_host_device_scalarIT2_EEPKiS6_PKS3_S8_S4_PS3_21rocsparse_index_base_b.num_agpr, 0
	.set _ZN9rocsparseL19gebsrmvn_2xn_kernelILj128ELj9ELj8EdEEvi20rocsparse_direction_NS_24const_host_device_scalarIT2_EEPKiS6_PKS3_S8_S4_PS3_21rocsparse_index_base_b.numbered_sgpr, 16
	.set _ZN9rocsparseL19gebsrmvn_2xn_kernelILj128ELj9ELj8EdEEvi20rocsparse_direction_NS_24const_host_device_scalarIT2_EEPKiS6_PKS3_S8_S4_PS3_21rocsparse_index_base_b.num_named_barrier, 0
	.set _ZN9rocsparseL19gebsrmvn_2xn_kernelILj128ELj9ELj8EdEEvi20rocsparse_direction_NS_24const_host_device_scalarIT2_EEPKiS6_PKS3_S8_S4_PS3_21rocsparse_index_base_b.private_seg_size, 0
	.set _ZN9rocsparseL19gebsrmvn_2xn_kernelILj128ELj9ELj8EdEEvi20rocsparse_direction_NS_24const_host_device_scalarIT2_EEPKiS6_PKS3_S8_S4_PS3_21rocsparse_index_base_b.uses_vcc, 1
	.set _ZN9rocsparseL19gebsrmvn_2xn_kernelILj128ELj9ELj8EdEEvi20rocsparse_direction_NS_24const_host_device_scalarIT2_EEPKiS6_PKS3_S8_S4_PS3_21rocsparse_index_base_b.uses_flat_scratch, 0
	.set _ZN9rocsparseL19gebsrmvn_2xn_kernelILj128ELj9ELj8EdEEvi20rocsparse_direction_NS_24const_host_device_scalarIT2_EEPKiS6_PKS3_S8_S4_PS3_21rocsparse_index_base_b.has_dyn_sized_stack, 0
	.set _ZN9rocsparseL19gebsrmvn_2xn_kernelILj128ELj9ELj8EdEEvi20rocsparse_direction_NS_24const_host_device_scalarIT2_EEPKiS6_PKS3_S8_S4_PS3_21rocsparse_index_base_b.has_recursion, 0
	.set _ZN9rocsparseL19gebsrmvn_2xn_kernelILj128ELj9ELj8EdEEvi20rocsparse_direction_NS_24const_host_device_scalarIT2_EEPKiS6_PKS3_S8_S4_PS3_21rocsparse_index_base_b.has_indirect_call, 0
	.section	.AMDGPU.csdata,"",@progbits
; Kernel info:
; codeLenInByte = 2516
; TotalNumSgprs: 20
; NumVgprs: 38
; ScratchSize: 0
; MemoryBound: 0
; FloatMode: 240
; IeeeMode: 1
; LDSByteSize: 0 bytes/workgroup (compile time only)
; SGPRBlocks: 2
; VGPRBlocks: 9
; NumSGPRsForWavesPerEU: 20
; NumVGPRsForWavesPerEU: 38
; Occupancy: 6
; WaveLimiterHint : 1
; COMPUTE_PGM_RSRC2:SCRATCH_EN: 0
; COMPUTE_PGM_RSRC2:USER_SGPR: 6
; COMPUTE_PGM_RSRC2:TRAP_HANDLER: 0
; COMPUTE_PGM_RSRC2:TGID_X_EN: 1
; COMPUTE_PGM_RSRC2:TGID_Y_EN: 0
; COMPUTE_PGM_RSRC2:TGID_Z_EN: 0
; COMPUTE_PGM_RSRC2:TIDIG_COMP_CNT: 0
	.section	.text._ZN9rocsparseL19gebsrmvn_2xn_kernelILj128ELj9ELj16EdEEvi20rocsparse_direction_NS_24const_host_device_scalarIT2_EEPKiS6_PKS3_S8_S4_PS3_21rocsparse_index_base_b,"axG",@progbits,_ZN9rocsparseL19gebsrmvn_2xn_kernelILj128ELj9ELj16EdEEvi20rocsparse_direction_NS_24const_host_device_scalarIT2_EEPKiS6_PKS3_S8_S4_PS3_21rocsparse_index_base_b,comdat
	.globl	_ZN9rocsparseL19gebsrmvn_2xn_kernelILj128ELj9ELj16EdEEvi20rocsparse_direction_NS_24const_host_device_scalarIT2_EEPKiS6_PKS3_S8_S4_PS3_21rocsparse_index_base_b ; -- Begin function _ZN9rocsparseL19gebsrmvn_2xn_kernelILj128ELj9ELj16EdEEvi20rocsparse_direction_NS_24const_host_device_scalarIT2_EEPKiS6_PKS3_S8_S4_PS3_21rocsparse_index_base_b
	.p2align	8
	.type	_ZN9rocsparseL19gebsrmvn_2xn_kernelILj128ELj9ELj16EdEEvi20rocsparse_direction_NS_24const_host_device_scalarIT2_EEPKiS6_PKS3_S8_S4_PS3_21rocsparse_index_base_b,@function
_ZN9rocsparseL19gebsrmvn_2xn_kernelILj128ELj9ELj16EdEEvi20rocsparse_direction_NS_24const_host_device_scalarIT2_EEPKiS6_PKS3_S8_S4_PS3_21rocsparse_index_base_b: ; @_ZN9rocsparseL19gebsrmvn_2xn_kernelILj128ELj9ELj16EdEEvi20rocsparse_direction_NS_24const_host_device_scalarIT2_EEPKiS6_PKS3_S8_S4_PS3_21rocsparse_index_base_b
; %bb.0:
	s_load_dwordx2 s[2:3], s[4:5], 0x40
	s_load_dwordx2 s[10:11], s[4:5], 0x8
	;; [unrolled: 1-line block ×3, first 2 shown]
	s_waitcnt lgkmcnt(0)
	s_bitcmp1_b32 s3, 0
	s_cselect_b64 s[12:13], -1, 0
	v_mov_b32_e32 v1, s10
	s_xor_b64 s[8:9], s[12:13], -1
	s_and_b64 vcc, exec, s[12:13]
	v_mov_b32_e32 v2, s11
	s_cbranch_vccnz .LBB113_2
; %bb.1:
	v_mov_b32_e32 v1, s10
	v_mov_b32_e32 v2, s11
	flat_load_dwordx2 v[1:2], v[1:2]
.LBB113_2:
	v_mov_b32_e32 v4, s1
	s_andn2_b64 vcc, exec, s[8:9]
	v_mov_b32_e32 v3, s0
	s_cbranch_vccnz .LBB113_4
; %bb.3:
	v_mov_b32_e32 v4, s1
	v_mov_b32_e32 v3, s0
	flat_load_dwordx2 v[3:4], v[3:4]
.LBB113_4:
	s_waitcnt vmcnt(0) lgkmcnt(0)
	v_cmp_neq_f64_e32 vcc, 0, v[1:2]
	v_cmp_neq_f64_e64 s[0:1], 1.0, v[3:4]
	s_or_b64 s[0:1], vcc, s[0:1]
	s_and_saveexec_b64 s[8:9], s[0:1]
	s_cbranch_execz .LBB113_23
; %bb.5:
	s_load_dwordx2 s[0:1], s[4:5], 0x0
	v_lshrrev_b32_e32 v5, 4, v0
	v_lshl_or_b32 v5, s6, 3, v5
	s_waitcnt lgkmcnt(0)
	v_cmp_gt_i32_e32 vcc, s0, v5
	s_and_b64 exec, exec, vcc
	s_cbranch_execz .LBB113_23
; %bb.6:
	s_load_dwordx8 s[8:15], s[4:5], 0x10
	v_ashrrev_i32_e32 v6, 31, v5
	v_lshlrev_b64 v[6:7], 2, v[5:6]
	v_and_b32_e32 v0, 15, v0
	s_cmp_lg_u32 s1, 0
	s_waitcnt lgkmcnt(0)
	v_mov_b32_e32 v8, s9
	v_add_co_u32_e32 v6, vcc, s8, v6
	v_addc_co_u32_e32 v7, vcc, v8, v7, vcc
	global_load_dwordx2 v[6:7], v[6:7], off
	s_waitcnt vmcnt(0)
	v_subrev_u32_e32 v6, s2, v6
	v_subrev_u32_e32 v18, s2, v7
	v_add_u32_e32 v6, v6, v0
	v_cmp_lt_i32_e64 s[0:1], v6, v18
	s_cbranch_scc0 .LBB113_12
; %bb.7:
	v_mov_b32_e32 v8, 0
	v_mov_b32_e32 v10, 0
	v_mov_b32_e32 v9, 0
	v_mov_b32_e32 v11, 0
	s_and_saveexec_b64 s[6:7], s[0:1]
	s_cbranch_execz .LBB113_11
; %bb.8:
	v_mad_u64_u32 v[12:13], s[8:9], v6, 18, 16
	v_mov_b32_e32 v8, 0
	v_mov_b32_e32 v10, 0
	;; [unrolled: 1-line block ×3, first 2 shown]
	s_mov_b64 s[8:9], 0
	v_mov_b32_e32 v7, s11
	v_mov_b32_e32 v15, 0
	;; [unrolled: 1-line block ×6, first 2 shown]
.LBB113_9:                              ; =>This Inner Loop Header: Depth=1
	v_ashrrev_i32_e32 v17, 31, v16
	v_lshlrev_b64 v[21:22], 2, v[16:17]
	v_add_u32_e32 v14, -16, v12
	v_lshlrev_b64 v[23:24], 3, v[14:15]
	v_add_co_u32_e32 v27, vcc, s10, v21
	v_addc_co_u32_e32 v28, vcc, v7, v22, vcc
	v_add_co_u32_e32 v31, vcc, s12, v23
	v_addc_co_u32_e32 v32, vcc, v19, v24, vcc
	global_load_dword v17, v[27:28], off
	global_load_dwordx4 v[21:24], v[31:32], off
	v_mov_b32_e32 v13, v15
	v_lshlrev_b64 v[25:26], 3, v[12:13]
	v_add_u32_e32 v14, -14, v12
	v_lshlrev_b64 v[13:14], 3, v[14:15]
	v_add_co_u32_e32 v33, vcc, s12, v25
	v_mov_b32_e32 v30, v15
	v_addc_co_u32_e32 v34, vcc, v19, v26, vcc
	v_add_co_u32_e32 v13, vcc, s12, v13
	v_addc_co_u32_e32 v14, vcc, v19, v14, vcc
	v_add_u32_e32 v16, 16, v16
	s_waitcnt vmcnt(1)
	v_subrev_u32_e32 v17, s2, v17
	v_lshl_add_u32 v29, v17, 3, v17
	v_lshlrev_b64 v[25:26], 3, v[29:30]
	v_add_co_u32_e32 v30, vcc, s14, v25
	v_addc_co_u32_e32 v31, vcc, v20, v26, vcc
	global_load_dwordx4 v[25:28], v[33:34], off
	global_load_dwordx2 v[35:36], v[30:31], off
	s_waitcnt vmcnt(0)
	v_fma_f64 v[21:22], v[21:22], v[35:36], v[8:9]
	v_fma_f64 v[23:24], v[23:24], v[35:36], v[10:11]
	global_load_dwordx4 v[8:11], v[13:14], off
	v_add_u32_e32 v14, 1, v29
	v_lshlrev_b64 v[30:31], 3, v[14:15]
	v_add_u32_e32 v14, -12, v12
	v_add_co_u32_e32 v30, vcc, s14, v30
	v_addc_co_u32_e32 v31, vcc, v20, v31, vcc
	global_load_dwordx2 v[30:31], v[30:31], off
	v_lshlrev_b64 v[32:33], 3, v[14:15]
	v_add_u32_e32 v14, 2, v29
	s_waitcnt vmcnt(0)
	v_fma_f64 v[21:22], v[8:9], v[30:31], v[21:22]
	v_fma_f64 v[23:24], v[10:11], v[30:31], v[23:24]
	v_lshlrev_b64 v[8:9], 3, v[14:15]
	v_add_co_u32_e32 v30, vcc, s12, v32
	v_addc_co_u32_e32 v31, vcc, v19, v33, vcc
	v_add_co_u32_e32 v34, vcc, s14, v8
	v_addc_co_u32_e32 v35, vcc, v20, v9, vcc
	global_load_dwordx4 v[8:11], v[30:31], off
	global_load_dwordx2 v[36:37], v[34:35], off
	v_add_u32_e32 v14, -10, v12
	v_lshlrev_b64 v[32:33], 3, v[14:15]
	v_add_u32_e32 v14, 3, v29
	v_add_co_u32_e32 v30, vcc, s12, v32
	v_addc_co_u32_e32 v31, vcc, v19, v33, vcc
	s_waitcnt vmcnt(0)
	v_fma_f64 v[21:22], v[8:9], v[36:37], v[21:22]
	v_lshlrev_b64 v[8:9], 3, v[14:15]
	v_fma_f64 v[23:24], v[10:11], v[36:37], v[23:24]
	v_add_co_u32_e32 v34, vcc, s14, v8
	v_addc_co_u32_e32 v35, vcc, v20, v9, vcc
	global_load_dwordx4 v[8:11], v[30:31], off
	global_load_dwordx2 v[36:37], v[34:35], off
	v_add_u32_e32 v14, -8, v12
	v_lshlrev_b64 v[32:33], 3, v[14:15]
	v_add_u32_e32 v14, 4, v29
	v_add_co_u32_e32 v30, vcc, s12, v32
	v_addc_co_u32_e32 v31, vcc, v19, v33, vcc
	s_waitcnt vmcnt(0)
	v_fma_f64 v[21:22], v[8:9], v[36:37], v[21:22]
	v_lshlrev_b64 v[8:9], 3, v[14:15]
	v_fma_f64 v[23:24], v[10:11], v[36:37], v[23:24]
	;; [unrolled: 13-line block ×4, first 2 shown]
	v_add_co_u32_e32 v34, vcc, s14, v8
	v_addc_co_u32_e32 v35, vcc, v20, v9, vcc
	global_load_dwordx4 v[8:11], v[30:31], off
	global_load_dwordx2 v[36:37], v[34:35], off
	v_add_u32_e32 v14, -2, v12
	v_lshlrev_b64 v[32:33], 3, v[14:15]
	v_add_u32_e32 v14, 7, v29
	v_add_co_u32_e32 v13, vcc, s12, v32
	v_add_u32_e32 v12, 0x120, v12
	s_waitcnt vmcnt(0)
	v_fma_f64 v[21:22], v[8:9], v[36:37], v[21:22]
	v_lshlrev_b64 v[8:9], 3, v[14:15]
	v_addc_co_u32_e32 v14, vcc, v19, v33, vcc
	v_add_co_u32_e32 v30, vcc, s14, v8
	v_fma_f64 v[23:24], v[10:11], v[36:37], v[23:24]
	v_addc_co_u32_e32 v31, vcc, v20, v9, vcc
	global_load_dwordx4 v[8:11], v[13:14], off
	global_load_dwordx2 v[32:33], v[30:31], off
	v_add_u32_e32 v14, 8, v29
	v_lshlrev_b64 v[13:14], 3, v[14:15]
	v_add_co_u32_e32 v13, vcc, s14, v13
	v_addc_co_u32_e32 v14, vcc, v20, v14, vcc
	global_load_dwordx2 v[13:14], v[13:14], off
	v_cmp_ge_i32_e32 vcc, v16, v18
	s_or_b64 s[8:9], vcc, s[8:9]
	s_waitcnt vmcnt(1)
	v_fma_f64 v[8:9], v[8:9], v[32:33], v[21:22]
	v_fma_f64 v[10:11], v[10:11], v[32:33], v[23:24]
	s_waitcnt vmcnt(0)
	v_fma_f64 v[8:9], v[25:26], v[13:14], v[8:9]
	v_fma_f64 v[10:11], v[27:28], v[13:14], v[10:11]
	s_andn2_b64 exec, exec, s[8:9]
	s_cbranch_execnz .LBB113_9
; %bb.10:
	s_or_b64 exec, exec, s[8:9]
.LBB113_11:
	s_or_b64 exec, exec, s[6:7]
	s_cbranch_execz .LBB113_13
	s_branch .LBB113_18
.LBB113_12:
                                        ; implicit-def: $vgpr8_vgpr9
                                        ; implicit-def: $vgpr10_vgpr11
.LBB113_13:
	v_mov_b32_e32 v8, 0
	v_mov_b32_e32 v10, 0
	;; [unrolled: 1-line block ×4, first 2 shown]
	s_and_saveexec_b64 s[6:7], s[0:1]
	s_cbranch_execz .LBB113_17
; %bb.14:
	v_mad_u64_u32 v[12:13], s[0:1], v6, 18, 17
	v_mov_b32_e32 v8, 0
	v_mov_b32_e32 v10, 0
	;; [unrolled: 1-line block ×3, first 2 shown]
	s_mov_b64 s[0:1], 0
	v_mov_b32_e32 v16, s11
	v_mov_b32_e32 v15, 0
	;; [unrolled: 1-line block ×5, first 2 shown]
.LBB113_15:                             ; =>This Inner Loop Header: Depth=1
	v_ashrrev_i32_e32 v7, 31, v6
	v_lshlrev_b64 v[22:23], 2, v[6:7]
	v_subrev_u32_e32 v14, 17, v12
	v_add_co_u32_e32 v22, vcc, s10, v22
	v_addc_co_u32_e32 v23, vcc, v16, v23, vcc
	global_load_dword v7, v[22:23], off
	v_lshlrev_b64 v[24:25], 3, v[14:15]
	v_add_u32_e32 v20, -8, v12
	v_mov_b32_e32 v21, v15
	v_lshlrev_b64 v[20:21], 3, v[20:21]
	v_add_co_u32_e32 v24, vcc, s12, v24
	v_mov_b32_e32 v13, v15
	v_addc_co_u32_e32 v25, vcc, v17, v25, vcc
	v_lshlrev_b64 v[13:14], 3, v[12:13]
	v_add_co_u32_e32 v20, vcc, s12, v20
	v_addc_co_u32_e32 v21, vcc, v17, v21, vcc
	v_add_co_u32_e32 v26, vcc, s12, v13
	v_addc_co_u32_e32 v27, vcc, v17, v14, vcc
	v_mov_b32_e32 v14, v15
	v_add_u32_e32 v6, 16, v6
	s_waitcnt vmcnt(0)
	v_subrev_u32_e32 v7, s2, v7
	v_lshl_add_u32 v13, v7, 3, v7
	v_lshlrev_b64 v[22:23], 3, v[13:14]
	v_add_u32_e32 v14, 1, v13
	v_add_co_u32_e32 v22, vcc, s14, v22
	v_addc_co_u32_e32 v23, vcc, v19, v23, vcc
	global_load_dwordx2 v[30:31], v[20:21], off
	global_load_dwordx2 v[32:33], v[22:23], off
	v_lshlrev_b64 v[28:29], 3, v[14:15]
	global_load_dwordx4 v[20:23], v[24:25], off
	v_add_co_u32_e32 v28, vcc, s14, v28
	v_addc_co_u32_e32 v29, vcc, v19, v29, vcc
	v_add_u32_e32 v14, -7, v12
	s_waitcnt vmcnt(1)
	v_fma_f64 v[10:11], v[30:31], v[32:33], v[10:11]
	s_waitcnt vmcnt(0)
	v_fma_f64 v[7:8], v[20:21], v[32:33], v[8:9]
	global_load_dwordx2 v[20:21], v[28:29], off
	s_waitcnt vmcnt(0)
	v_fma_f64 v[7:8], v[22:23], v[20:21], v[7:8]
	v_lshlrev_b64 v[22:23], 3, v[14:15]
	v_add_u32_e32 v14, -15, v12
	v_add_co_u32_e32 v22, vcc, s12, v22
	v_lshlrev_b64 v[24:25], 3, v[14:15]
	v_addc_co_u32_e32 v23, vcc, v17, v23, vcc
	v_add_co_u32_e32 v24, vcc, s12, v24
	v_addc_co_u32_e32 v25, vcc, v17, v25, vcc
	global_load_dwordx2 v[28:29], v[22:23], off
	global_load_dwordx2 v[30:31], v[24:25], off
	v_add_u32_e32 v14, 2, v13
	s_waitcnt vmcnt(1)
	v_fma_f64 v[9:10], v[28:29], v[20:21], v[10:11]
	v_lshlrev_b64 v[20:21], 3, v[14:15]
	v_add_u32_e32 v14, -6, v12
	v_add_co_u32_e32 v20, vcc, s14, v20
	v_addc_co_u32_e32 v21, vcc, v19, v21, vcc
	global_load_dwordx2 v[20:21], v[20:21], off
	v_lshlrev_b64 v[22:23], 3, v[14:15]
	v_add_u32_e32 v14, -14, v12
	v_add_co_u32_e32 v22, vcc, s12, v22
	v_lshlrev_b64 v[24:25], 3, v[14:15]
	v_addc_co_u32_e32 v23, vcc, v17, v23, vcc
	v_add_co_u32_e32 v24, vcc, s12, v24
	v_addc_co_u32_e32 v25, vcc, v17, v25, vcc
	v_add_u32_e32 v14, 3, v13
	s_waitcnt vmcnt(0)
	v_fma_f64 v[7:8], v[30:31], v[20:21], v[7:8]
	global_load_dwordx2 v[28:29], v[22:23], off
	global_load_dwordx2 v[30:31], v[24:25], off
	s_waitcnt vmcnt(1)
	v_fma_f64 v[9:10], v[28:29], v[20:21], v[9:10]
	v_lshlrev_b64 v[20:21], 3, v[14:15]
	v_add_u32_e32 v14, -5, v12
	v_add_co_u32_e32 v20, vcc, s14, v20
	v_addc_co_u32_e32 v21, vcc, v19, v21, vcc
	global_load_dwordx2 v[20:21], v[20:21], off
	v_lshlrev_b64 v[22:23], 3, v[14:15]
	v_add_u32_e32 v14, -13, v12
	v_add_co_u32_e32 v22, vcc, s12, v22
	v_lshlrev_b64 v[24:25], 3, v[14:15]
	v_addc_co_u32_e32 v23, vcc, v17, v23, vcc
	v_add_co_u32_e32 v24, vcc, s12, v24
	v_addc_co_u32_e32 v25, vcc, v17, v25, vcc
	v_add_u32_e32 v14, 4, v13
	s_waitcnt vmcnt(0)
	v_fma_f64 v[7:8], v[30:31], v[20:21], v[7:8]
	global_load_dwordx2 v[28:29], v[22:23], off
	global_load_dwordx2 v[30:31], v[24:25], off
	;; [unrolled: 19-line block ×5, first 2 shown]
	s_waitcnt vmcnt(1)
	v_fma_f64 v[9:10], v[28:29], v[20:21], v[9:10]
	v_lshlrev_b64 v[20:21], 3, v[14:15]
	v_add_u32_e32 v14, -1, v12
	v_add_co_u32_e32 v20, vcc, s14, v20
	v_addc_co_u32_e32 v21, vcc, v19, v21, vcc
	global_load_dwordx2 v[20:21], v[20:21], off
	v_lshlrev_b64 v[22:23], 3, v[14:15]
	v_add_u32_e32 v14, -9, v12
	v_lshlrev_b64 v[24:25], 3, v[14:15]
	v_add_co_u32_e32 v22, vcc, s12, v22
	v_add_u32_e32 v14, 8, v13
	v_addc_co_u32_e32 v23, vcc, v17, v23, vcc
	v_add_co_u32_e32 v24, vcc, s12, v24
	v_lshlrev_b64 v[13:14], 3, v[14:15]
	v_addc_co_u32_e32 v25, vcc, v17, v25, vcc
	v_add_co_u32_e32 v13, vcc, s14, v13
	v_addc_co_u32_e32 v14, vcc, v19, v14, vcc
	v_cmp_ge_i32_e32 vcc, v6, v18
	s_or_b64 s[0:1], vcc, s[0:1]
	v_add_u32_e32 v12, 0x120, v12
	s_waitcnt vmcnt(0)
	v_fma_f64 v[7:8], v[30:31], v[20:21], v[7:8]
	global_load_dwordx2 v[28:29], v[22:23], off
	global_load_dwordx2 v[30:31], v[26:27], off
	;; [unrolled: 1-line block ×4, first 2 shown]
	s_waitcnt vmcnt(3)
	v_fma_f64 v[10:11], v[28:29], v[20:21], v[9:10]
	s_waitcnt vmcnt(0)
	v_fma_f64 v[8:9], v[32:33], v[34:35], v[7:8]
	v_fma_f64 v[10:11], v[30:31], v[34:35], v[10:11]
	s_andn2_b64 exec, exec, s[0:1]
	s_cbranch_execnz .LBB113_15
; %bb.16:
	s_or_b64 exec, exec, s[0:1]
.LBB113_17:
	s_or_b64 exec, exec, s[6:7]
.LBB113_18:
	v_mov_b32_dpp v6, v8 row_shr:1 row_mask:0xf bank_mask:0xf
	v_mov_b32_dpp v7, v9 row_shr:1 row_mask:0xf bank_mask:0xf
	v_add_f64 v[6:7], v[8:9], v[6:7]
	v_mov_b32_dpp v8, v10 row_shr:1 row_mask:0xf bank_mask:0xf
	v_mov_b32_dpp v9, v11 row_shr:1 row_mask:0xf bank_mask:0xf
	v_add_f64 v[8:9], v[10:11], v[8:9]
	v_cmp_eq_u32_e32 vcc, 15, v0
	v_mov_b32_dpp v10, v6 row_shr:2 row_mask:0xf bank_mask:0xf
	v_mov_b32_dpp v11, v7 row_shr:2 row_mask:0xf bank_mask:0xf
	v_add_f64 v[6:7], v[6:7], v[10:11]
	v_mov_b32_dpp v12, v8 row_shr:2 row_mask:0xf bank_mask:0xf
	v_mov_b32_dpp v13, v9 row_shr:2 row_mask:0xf bank_mask:0xf
	v_add_f64 v[8:9], v[8:9], v[12:13]
	;; [unrolled: 3-line block ×4, first 2 shown]
	v_mov_b32_dpp v8, v6 row_shr:8 row_mask:0xf bank_mask:0xc
	v_mov_b32_dpp v9, v7 row_shr:8 row_mask:0xf bank_mask:0xc
	;; [unrolled: 1-line block ×4, first 2 shown]
	s_and_b64 exec, exec, vcc
	s_cbranch_execz .LBB113_23
; %bb.19:
	v_add_f64 v[8:9], v[6:7], v[8:9]
	v_add_f64 v[6:7], v[10:11], v[12:13]
	v_cmp_eq_f64_e32 vcc, 0, v[3:4]
	s_load_dwordx2 s[0:1], s[4:5], 0x38
	s_and_saveexec_b64 s[2:3], vcc
	s_xor_b64 s[2:3], exec, s[2:3]
	s_cbranch_execz .LBB113_21
; %bb.20:
	v_mul_f64 v[3:4], v[1:2], v[8:9]
	v_lshlrev_b32_e32 v0, 1, v5
	v_mul_f64 v[5:6], v[1:2], v[6:7]
	v_ashrrev_i32_e32 v1, 31, v0
	v_lshlrev_b64 v[0:1], 3, v[0:1]
	s_waitcnt lgkmcnt(0)
	v_mov_b32_e32 v2, s1
	v_add_co_u32_e32 v0, vcc, s0, v0
	v_addc_co_u32_e32 v1, vcc, v2, v1, vcc
	global_store_dwordx4 v[0:1], v[3:6], off
                                        ; implicit-def: $vgpr5
                                        ; implicit-def: $vgpr1_vgpr2
                                        ; implicit-def: $vgpr8_vgpr9
                                        ; implicit-def: $vgpr3_vgpr4
                                        ; implicit-def: $vgpr6_vgpr7
.LBB113_21:
	s_andn2_saveexec_b64 s[2:3], s[2:3]
	s_cbranch_execz .LBB113_23
; %bb.22:
	v_lshlrev_b32_e32 v10, 1, v5
	v_ashrrev_i32_e32 v11, 31, v10
	v_lshlrev_b64 v[10:11], 3, v[10:11]
	s_waitcnt lgkmcnt(0)
	v_mov_b32_e32 v0, s1
	v_add_co_u32_e32 v14, vcc, s0, v10
	v_addc_co_u32_e32 v15, vcc, v0, v11, vcc
	global_load_dwordx4 v[10:13], v[14:15], off
	v_mul_f64 v[8:9], v[1:2], v[8:9]
	v_mul_f64 v[5:6], v[1:2], v[6:7]
	s_waitcnt vmcnt(0)
	v_fma_f64 v[0:1], v[3:4], v[10:11], v[8:9]
	v_fma_f64 v[2:3], v[3:4], v[12:13], v[5:6]
	global_store_dwordx4 v[14:15], v[0:3], off
.LBB113_23:
	s_endpgm
	.section	.rodata,"a",@progbits
	.p2align	6, 0x0
	.amdhsa_kernel _ZN9rocsparseL19gebsrmvn_2xn_kernelILj128ELj9ELj16EdEEvi20rocsparse_direction_NS_24const_host_device_scalarIT2_EEPKiS6_PKS3_S8_S4_PS3_21rocsparse_index_base_b
		.amdhsa_group_segment_fixed_size 0
		.amdhsa_private_segment_fixed_size 0
		.amdhsa_kernarg_size 72
		.amdhsa_user_sgpr_count 6
		.amdhsa_user_sgpr_private_segment_buffer 1
		.amdhsa_user_sgpr_dispatch_ptr 0
		.amdhsa_user_sgpr_queue_ptr 0
		.amdhsa_user_sgpr_kernarg_segment_ptr 1
		.amdhsa_user_sgpr_dispatch_id 0
		.amdhsa_user_sgpr_flat_scratch_init 0
		.amdhsa_user_sgpr_private_segment_size 0
		.amdhsa_uses_dynamic_stack 0
		.amdhsa_system_sgpr_private_segment_wavefront_offset 0
		.amdhsa_system_sgpr_workgroup_id_x 1
		.amdhsa_system_sgpr_workgroup_id_y 0
		.amdhsa_system_sgpr_workgroup_id_z 0
		.amdhsa_system_sgpr_workgroup_info 0
		.amdhsa_system_vgpr_workitem_id 0
		.amdhsa_next_free_vgpr 38
		.amdhsa_next_free_sgpr 16
		.amdhsa_reserve_vcc 1
		.amdhsa_reserve_flat_scratch 0
		.amdhsa_float_round_mode_32 0
		.amdhsa_float_round_mode_16_64 0
		.amdhsa_float_denorm_mode_32 3
		.amdhsa_float_denorm_mode_16_64 3
		.amdhsa_dx10_clamp 1
		.amdhsa_ieee_mode 1
		.amdhsa_fp16_overflow 0
		.amdhsa_exception_fp_ieee_invalid_op 0
		.amdhsa_exception_fp_denorm_src 0
		.amdhsa_exception_fp_ieee_div_zero 0
		.amdhsa_exception_fp_ieee_overflow 0
		.amdhsa_exception_fp_ieee_underflow 0
		.amdhsa_exception_fp_ieee_inexact 0
		.amdhsa_exception_int_div_zero 0
	.end_amdhsa_kernel
	.section	.text._ZN9rocsparseL19gebsrmvn_2xn_kernelILj128ELj9ELj16EdEEvi20rocsparse_direction_NS_24const_host_device_scalarIT2_EEPKiS6_PKS3_S8_S4_PS3_21rocsparse_index_base_b,"axG",@progbits,_ZN9rocsparseL19gebsrmvn_2xn_kernelILj128ELj9ELj16EdEEvi20rocsparse_direction_NS_24const_host_device_scalarIT2_EEPKiS6_PKS3_S8_S4_PS3_21rocsparse_index_base_b,comdat
.Lfunc_end113:
	.size	_ZN9rocsparseL19gebsrmvn_2xn_kernelILj128ELj9ELj16EdEEvi20rocsparse_direction_NS_24const_host_device_scalarIT2_EEPKiS6_PKS3_S8_S4_PS3_21rocsparse_index_base_b, .Lfunc_end113-_ZN9rocsparseL19gebsrmvn_2xn_kernelILj128ELj9ELj16EdEEvi20rocsparse_direction_NS_24const_host_device_scalarIT2_EEPKiS6_PKS3_S8_S4_PS3_21rocsparse_index_base_b
                                        ; -- End function
	.set _ZN9rocsparseL19gebsrmvn_2xn_kernelILj128ELj9ELj16EdEEvi20rocsparse_direction_NS_24const_host_device_scalarIT2_EEPKiS6_PKS3_S8_S4_PS3_21rocsparse_index_base_b.num_vgpr, 38
	.set _ZN9rocsparseL19gebsrmvn_2xn_kernelILj128ELj9ELj16EdEEvi20rocsparse_direction_NS_24const_host_device_scalarIT2_EEPKiS6_PKS3_S8_S4_PS3_21rocsparse_index_base_b.num_agpr, 0
	.set _ZN9rocsparseL19gebsrmvn_2xn_kernelILj128ELj9ELj16EdEEvi20rocsparse_direction_NS_24const_host_device_scalarIT2_EEPKiS6_PKS3_S8_S4_PS3_21rocsparse_index_base_b.numbered_sgpr, 16
	.set _ZN9rocsparseL19gebsrmvn_2xn_kernelILj128ELj9ELj16EdEEvi20rocsparse_direction_NS_24const_host_device_scalarIT2_EEPKiS6_PKS3_S8_S4_PS3_21rocsparse_index_base_b.num_named_barrier, 0
	.set _ZN9rocsparseL19gebsrmvn_2xn_kernelILj128ELj9ELj16EdEEvi20rocsparse_direction_NS_24const_host_device_scalarIT2_EEPKiS6_PKS3_S8_S4_PS3_21rocsparse_index_base_b.private_seg_size, 0
	.set _ZN9rocsparseL19gebsrmvn_2xn_kernelILj128ELj9ELj16EdEEvi20rocsparse_direction_NS_24const_host_device_scalarIT2_EEPKiS6_PKS3_S8_S4_PS3_21rocsparse_index_base_b.uses_vcc, 1
	.set _ZN9rocsparseL19gebsrmvn_2xn_kernelILj128ELj9ELj16EdEEvi20rocsparse_direction_NS_24const_host_device_scalarIT2_EEPKiS6_PKS3_S8_S4_PS3_21rocsparse_index_base_b.uses_flat_scratch, 0
	.set _ZN9rocsparseL19gebsrmvn_2xn_kernelILj128ELj9ELj16EdEEvi20rocsparse_direction_NS_24const_host_device_scalarIT2_EEPKiS6_PKS3_S8_S4_PS3_21rocsparse_index_base_b.has_dyn_sized_stack, 0
	.set _ZN9rocsparseL19gebsrmvn_2xn_kernelILj128ELj9ELj16EdEEvi20rocsparse_direction_NS_24const_host_device_scalarIT2_EEPKiS6_PKS3_S8_S4_PS3_21rocsparse_index_base_b.has_recursion, 0
	.set _ZN9rocsparseL19gebsrmvn_2xn_kernelILj128ELj9ELj16EdEEvi20rocsparse_direction_NS_24const_host_device_scalarIT2_EEPKiS6_PKS3_S8_S4_PS3_21rocsparse_index_base_b.has_indirect_call, 0
	.section	.AMDGPU.csdata,"",@progbits
; Kernel info:
; codeLenInByte = 2564
; TotalNumSgprs: 20
; NumVgprs: 38
; ScratchSize: 0
; MemoryBound: 0
; FloatMode: 240
; IeeeMode: 1
; LDSByteSize: 0 bytes/workgroup (compile time only)
; SGPRBlocks: 2
; VGPRBlocks: 9
; NumSGPRsForWavesPerEU: 20
; NumVGPRsForWavesPerEU: 38
; Occupancy: 6
; WaveLimiterHint : 1
; COMPUTE_PGM_RSRC2:SCRATCH_EN: 0
; COMPUTE_PGM_RSRC2:USER_SGPR: 6
; COMPUTE_PGM_RSRC2:TRAP_HANDLER: 0
; COMPUTE_PGM_RSRC2:TGID_X_EN: 1
; COMPUTE_PGM_RSRC2:TGID_Y_EN: 0
; COMPUTE_PGM_RSRC2:TGID_Z_EN: 0
; COMPUTE_PGM_RSRC2:TIDIG_COMP_CNT: 0
	.section	.text._ZN9rocsparseL19gebsrmvn_2xn_kernelILj128ELj9ELj32EdEEvi20rocsparse_direction_NS_24const_host_device_scalarIT2_EEPKiS6_PKS3_S8_S4_PS3_21rocsparse_index_base_b,"axG",@progbits,_ZN9rocsparseL19gebsrmvn_2xn_kernelILj128ELj9ELj32EdEEvi20rocsparse_direction_NS_24const_host_device_scalarIT2_EEPKiS6_PKS3_S8_S4_PS3_21rocsparse_index_base_b,comdat
	.globl	_ZN9rocsparseL19gebsrmvn_2xn_kernelILj128ELj9ELj32EdEEvi20rocsparse_direction_NS_24const_host_device_scalarIT2_EEPKiS6_PKS3_S8_S4_PS3_21rocsparse_index_base_b ; -- Begin function _ZN9rocsparseL19gebsrmvn_2xn_kernelILj128ELj9ELj32EdEEvi20rocsparse_direction_NS_24const_host_device_scalarIT2_EEPKiS6_PKS3_S8_S4_PS3_21rocsparse_index_base_b
	.p2align	8
	.type	_ZN9rocsparseL19gebsrmvn_2xn_kernelILj128ELj9ELj32EdEEvi20rocsparse_direction_NS_24const_host_device_scalarIT2_EEPKiS6_PKS3_S8_S4_PS3_21rocsparse_index_base_b,@function
_ZN9rocsparseL19gebsrmvn_2xn_kernelILj128ELj9ELj32EdEEvi20rocsparse_direction_NS_24const_host_device_scalarIT2_EEPKiS6_PKS3_S8_S4_PS3_21rocsparse_index_base_b: ; @_ZN9rocsparseL19gebsrmvn_2xn_kernelILj128ELj9ELj32EdEEvi20rocsparse_direction_NS_24const_host_device_scalarIT2_EEPKiS6_PKS3_S8_S4_PS3_21rocsparse_index_base_b
; %bb.0:
	s_load_dwordx2 s[2:3], s[4:5], 0x40
	s_load_dwordx2 s[10:11], s[4:5], 0x8
	;; [unrolled: 1-line block ×3, first 2 shown]
	s_waitcnt lgkmcnt(0)
	s_bitcmp1_b32 s3, 0
	s_cselect_b64 s[12:13], -1, 0
	v_mov_b32_e32 v1, s10
	s_xor_b64 s[8:9], s[12:13], -1
	s_and_b64 vcc, exec, s[12:13]
	v_mov_b32_e32 v2, s11
	s_cbranch_vccnz .LBB114_2
; %bb.1:
	v_mov_b32_e32 v1, s10
	v_mov_b32_e32 v2, s11
	flat_load_dwordx2 v[1:2], v[1:2]
.LBB114_2:
	v_mov_b32_e32 v4, s1
	s_andn2_b64 vcc, exec, s[8:9]
	v_mov_b32_e32 v3, s0
	s_cbranch_vccnz .LBB114_4
; %bb.3:
	v_mov_b32_e32 v4, s1
	v_mov_b32_e32 v3, s0
	flat_load_dwordx2 v[3:4], v[3:4]
.LBB114_4:
	s_waitcnt vmcnt(0) lgkmcnt(0)
	v_cmp_neq_f64_e32 vcc, 0, v[1:2]
	v_cmp_neq_f64_e64 s[0:1], 1.0, v[3:4]
	s_or_b64 s[0:1], vcc, s[0:1]
	s_and_saveexec_b64 s[8:9], s[0:1]
	s_cbranch_execz .LBB114_23
; %bb.5:
	s_load_dwordx2 s[0:1], s[4:5], 0x0
	v_lshrrev_b32_e32 v5, 5, v0
	v_lshl_or_b32 v5, s6, 2, v5
	s_waitcnt lgkmcnt(0)
	v_cmp_gt_i32_e32 vcc, s0, v5
	s_and_b64 exec, exec, vcc
	s_cbranch_execz .LBB114_23
; %bb.6:
	s_load_dwordx8 s[8:15], s[4:5], 0x10
	v_ashrrev_i32_e32 v6, 31, v5
	v_lshlrev_b64 v[6:7], 2, v[5:6]
	v_and_b32_e32 v0, 31, v0
	s_cmp_lg_u32 s1, 0
	s_waitcnt lgkmcnt(0)
	v_mov_b32_e32 v8, s9
	v_add_co_u32_e32 v6, vcc, s8, v6
	v_addc_co_u32_e32 v7, vcc, v8, v7, vcc
	global_load_dwordx2 v[6:7], v[6:7], off
	s_waitcnt vmcnt(0)
	v_subrev_u32_e32 v6, s2, v6
	v_subrev_u32_e32 v18, s2, v7
	v_add_u32_e32 v6, v6, v0
	v_cmp_lt_i32_e64 s[0:1], v6, v18
	s_cbranch_scc0 .LBB114_12
; %bb.7:
	v_mov_b32_e32 v8, 0
	v_mov_b32_e32 v10, 0
	;; [unrolled: 1-line block ×4, first 2 shown]
	s_and_saveexec_b64 s[6:7], s[0:1]
	s_cbranch_execz .LBB114_11
; %bb.8:
	v_mad_u64_u32 v[12:13], s[8:9], v6, 18, 16
	v_mov_b32_e32 v8, 0
	v_mov_b32_e32 v10, 0
	v_mov_b32_e32 v9, 0
	s_mov_b64 s[8:9], 0
	v_mov_b32_e32 v7, s11
	v_mov_b32_e32 v15, 0
	v_mov_b32_e32 v19, s13
	v_mov_b32_e32 v20, s15
	v_mov_b32_e32 v11, 0
	v_mov_b32_e32 v16, v6
.LBB114_9:                              ; =>This Inner Loop Header: Depth=1
	v_ashrrev_i32_e32 v17, 31, v16
	v_lshlrev_b64 v[21:22], 2, v[16:17]
	v_add_u32_e32 v14, -16, v12
	v_lshlrev_b64 v[23:24], 3, v[14:15]
	v_add_co_u32_e32 v27, vcc, s10, v21
	v_addc_co_u32_e32 v28, vcc, v7, v22, vcc
	v_add_co_u32_e32 v31, vcc, s12, v23
	v_addc_co_u32_e32 v32, vcc, v19, v24, vcc
	global_load_dword v17, v[27:28], off
	global_load_dwordx4 v[21:24], v[31:32], off
	v_mov_b32_e32 v13, v15
	v_lshlrev_b64 v[25:26], 3, v[12:13]
	v_add_u32_e32 v14, -14, v12
	v_lshlrev_b64 v[13:14], 3, v[14:15]
	v_add_co_u32_e32 v33, vcc, s12, v25
	v_mov_b32_e32 v30, v15
	v_addc_co_u32_e32 v34, vcc, v19, v26, vcc
	v_add_co_u32_e32 v13, vcc, s12, v13
	v_addc_co_u32_e32 v14, vcc, v19, v14, vcc
	v_add_u32_e32 v16, 32, v16
	s_waitcnt vmcnt(1)
	v_subrev_u32_e32 v17, s2, v17
	v_lshl_add_u32 v29, v17, 3, v17
	v_lshlrev_b64 v[25:26], 3, v[29:30]
	v_add_co_u32_e32 v30, vcc, s14, v25
	v_addc_co_u32_e32 v31, vcc, v20, v26, vcc
	global_load_dwordx4 v[25:28], v[33:34], off
	global_load_dwordx2 v[35:36], v[30:31], off
	s_waitcnt vmcnt(0)
	v_fma_f64 v[21:22], v[21:22], v[35:36], v[8:9]
	v_fma_f64 v[23:24], v[23:24], v[35:36], v[10:11]
	global_load_dwordx4 v[8:11], v[13:14], off
	v_add_u32_e32 v14, 1, v29
	v_lshlrev_b64 v[30:31], 3, v[14:15]
	v_add_u32_e32 v14, -12, v12
	v_add_co_u32_e32 v30, vcc, s14, v30
	v_addc_co_u32_e32 v31, vcc, v20, v31, vcc
	global_load_dwordx2 v[30:31], v[30:31], off
	v_lshlrev_b64 v[32:33], 3, v[14:15]
	v_add_u32_e32 v14, 2, v29
	s_waitcnt vmcnt(0)
	v_fma_f64 v[21:22], v[8:9], v[30:31], v[21:22]
	v_fma_f64 v[23:24], v[10:11], v[30:31], v[23:24]
	v_lshlrev_b64 v[8:9], 3, v[14:15]
	v_add_co_u32_e32 v30, vcc, s12, v32
	v_addc_co_u32_e32 v31, vcc, v19, v33, vcc
	v_add_co_u32_e32 v34, vcc, s14, v8
	v_addc_co_u32_e32 v35, vcc, v20, v9, vcc
	global_load_dwordx4 v[8:11], v[30:31], off
	global_load_dwordx2 v[36:37], v[34:35], off
	v_add_u32_e32 v14, -10, v12
	v_lshlrev_b64 v[32:33], 3, v[14:15]
	v_add_u32_e32 v14, 3, v29
	v_add_co_u32_e32 v30, vcc, s12, v32
	v_addc_co_u32_e32 v31, vcc, v19, v33, vcc
	s_waitcnt vmcnt(0)
	v_fma_f64 v[21:22], v[8:9], v[36:37], v[21:22]
	v_lshlrev_b64 v[8:9], 3, v[14:15]
	v_fma_f64 v[23:24], v[10:11], v[36:37], v[23:24]
	v_add_co_u32_e32 v34, vcc, s14, v8
	v_addc_co_u32_e32 v35, vcc, v20, v9, vcc
	global_load_dwordx4 v[8:11], v[30:31], off
	global_load_dwordx2 v[36:37], v[34:35], off
	v_add_u32_e32 v14, -8, v12
	v_lshlrev_b64 v[32:33], 3, v[14:15]
	v_add_u32_e32 v14, 4, v29
	v_add_co_u32_e32 v30, vcc, s12, v32
	v_addc_co_u32_e32 v31, vcc, v19, v33, vcc
	s_waitcnt vmcnt(0)
	v_fma_f64 v[21:22], v[8:9], v[36:37], v[21:22]
	v_lshlrev_b64 v[8:9], 3, v[14:15]
	v_fma_f64 v[23:24], v[10:11], v[36:37], v[23:24]
	;; [unrolled: 13-line block ×4, first 2 shown]
	v_add_co_u32_e32 v34, vcc, s14, v8
	v_addc_co_u32_e32 v35, vcc, v20, v9, vcc
	global_load_dwordx4 v[8:11], v[30:31], off
	global_load_dwordx2 v[36:37], v[34:35], off
	v_add_u32_e32 v14, -2, v12
	v_lshlrev_b64 v[32:33], 3, v[14:15]
	v_add_u32_e32 v14, 7, v29
	v_add_co_u32_e32 v13, vcc, s12, v32
	v_add_u32_e32 v12, 0x240, v12
	s_waitcnt vmcnt(0)
	v_fma_f64 v[21:22], v[8:9], v[36:37], v[21:22]
	v_lshlrev_b64 v[8:9], 3, v[14:15]
	v_addc_co_u32_e32 v14, vcc, v19, v33, vcc
	v_add_co_u32_e32 v30, vcc, s14, v8
	v_fma_f64 v[23:24], v[10:11], v[36:37], v[23:24]
	v_addc_co_u32_e32 v31, vcc, v20, v9, vcc
	global_load_dwordx4 v[8:11], v[13:14], off
	global_load_dwordx2 v[32:33], v[30:31], off
	v_add_u32_e32 v14, 8, v29
	v_lshlrev_b64 v[13:14], 3, v[14:15]
	v_add_co_u32_e32 v13, vcc, s14, v13
	v_addc_co_u32_e32 v14, vcc, v20, v14, vcc
	global_load_dwordx2 v[13:14], v[13:14], off
	v_cmp_ge_i32_e32 vcc, v16, v18
	s_or_b64 s[8:9], vcc, s[8:9]
	s_waitcnt vmcnt(1)
	v_fma_f64 v[8:9], v[8:9], v[32:33], v[21:22]
	v_fma_f64 v[10:11], v[10:11], v[32:33], v[23:24]
	s_waitcnt vmcnt(0)
	v_fma_f64 v[8:9], v[25:26], v[13:14], v[8:9]
	v_fma_f64 v[10:11], v[27:28], v[13:14], v[10:11]
	s_andn2_b64 exec, exec, s[8:9]
	s_cbranch_execnz .LBB114_9
; %bb.10:
	s_or_b64 exec, exec, s[8:9]
.LBB114_11:
	s_or_b64 exec, exec, s[6:7]
	s_cbranch_execz .LBB114_13
	s_branch .LBB114_18
.LBB114_12:
                                        ; implicit-def: $vgpr8_vgpr9
                                        ; implicit-def: $vgpr10_vgpr11
.LBB114_13:
	v_mov_b32_e32 v8, 0
	v_mov_b32_e32 v10, 0
	;; [unrolled: 1-line block ×4, first 2 shown]
	s_and_saveexec_b64 s[6:7], s[0:1]
	s_cbranch_execz .LBB114_17
; %bb.14:
	v_mad_u64_u32 v[12:13], s[0:1], v6, 18, 17
	v_mov_b32_e32 v8, 0
	v_mov_b32_e32 v10, 0
	;; [unrolled: 1-line block ×3, first 2 shown]
	s_mov_b64 s[0:1], 0
	v_mov_b32_e32 v16, s11
	v_mov_b32_e32 v15, 0
	;; [unrolled: 1-line block ×5, first 2 shown]
.LBB114_15:                             ; =>This Inner Loop Header: Depth=1
	v_ashrrev_i32_e32 v7, 31, v6
	v_lshlrev_b64 v[22:23], 2, v[6:7]
	v_subrev_u32_e32 v14, 17, v12
	v_add_co_u32_e32 v22, vcc, s10, v22
	v_addc_co_u32_e32 v23, vcc, v16, v23, vcc
	global_load_dword v7, v[22:23], off
	v_lshlrev_b64 v[24:25], 3, v[14:15]
	v_add_u32_e32 v20, -8, v12
	v_mov_b32_e32 v21, v15
	v_lshlrev_b64 v[20:21], 3, v[20:21]
	v_add_co_u32_e32 v24, vcc, s12, v24
	v_mov_b32_e32 v13, v15
	v_addc_co_u32_e32 v25, vcc, v17, v25, vcc
	v_lshlrev_b64 v[13:14], 3, v[12:13]
	v_add_co_u32_e32 v20, vcc, s12, v20
	v_addc_co_u32_e32 v21, vcc, v17, v21, vcc
	v_add_co_u32_e32 v26, vcc, s12, v13
	v_addc_co_u32_e32 v27, vcc, v17, v14, vcc
	v_mov_b32_e32 v14, v15
	v_add_u32_e32 v6, 32, v6
	s_waitcnt vmcnt(0)
	v_subrev_u32_e32 v7, s2, v7
	v_lshl_add_u32 v13, v7, 3, v7
	v_lshlrev_b64 v[22:23], 3, v[13:14]
	v_add_u32_e32 v14, 1, v13
	v_add_co_u32_e32 v22, vcc, s14, v22
	v_addc_co_u32_e32 v23, vcc, v19, v23, vcc
	global_load_dwordx2 v[30:31], v[20:21], off
	global_load_dwordx2 v[32:33], v[22:23], off
	v_lshlrev_b64 v[28:29], 3, v[14:15]
	global_load_dwordx4 v[20:23], v[24:25], off
	v_add_co_u32_e32 v28, vcc, s14, v28
	v_addc_co_u32_e32 v29, vcc, v19, v29, vcc
	v_add_u32_e32 v14, -7, v12
	s_waitcnt vmcnt(1)
	v_fma_f64 v[10:11], v[30:31], v[32:33], v[10:11]
	s_waitcnt vmcnt(0)
	v_fma_f64 v[7:8], v[20:21], v[32:33], v[8:9]
	global_load_dwordx2 v[20:21], v[28:29], off
	s_waitcnt vmcnt(0)
	v_fma_f64 v[7:8], v[22:23], v[20:21], v[7:8]
	v_lshlrev_b64 v[22:23], 3, v[14:15]
	v_add_u32_e32 v14, -15, v12
	v_add_co_u32_e32 v22, vcc, s12, v22
	v_lshlrev_b64 v[24:25], 3, v[14:15]
	v_addc_co_u32_e32 v23, vcc, v17, v23, vcc
	v_add_co_u32_e32 v24, vcc, s12, v24
	v_addc_co_u32_e32 v25, vcc, v17, v25, vcc
	global_load_dwordx2 v[28:29], v[22:23], off
	global_load_dwordx2 v[30:31], v[24:25], off
	v_add_u32_e32 v14, 2, v13
	s_waitcnt vmcnt(1)
	v_fma_f64 v[9:10], v[28:29], v[20:21], v[10:11]
	v_lshlrev_b64 v[20:21], 3, v[14:15]
	v_add_u32_e32 v14, -6, v12
	v_add_co_u32_e32 v20, vcc, s14, v20
	v_addc_co_u32_e32 v21, vcc, v19, v21, vcc
	global_load_dwordx2 v[20:21], v[20:21], off
	v_lshlrev_b64 v[22:23], 3, v[14:15]
	v_add_u32_e32 v14, -14, v12
	v_add_co_u32_e32 v22, vcc, s12, v22
	v_lshlrev_b64 v[24:25], 3, v[14:15]
	v_addc_co_u32_e32 v23, vcc, v17, v23, vcc
	v_add_co_u32_e32 v24, vcc, s12, v24
	v_addc_co_u32_e32 v25, vcc, v17, v25, vcc
	v_add_u32_e32 v14, 3, v13
	s_waitcnt vmcnt(0)
	v_fma_f64 v[7:8], v[30:31], v[20:21], v[7:8]
	global_load_dwordx2 v[28:29], v[22:23], off
	global_load_dwordx2 v[30:31], v[24:25], off
	s_waitcnt vmcnt(1)
	v_fma_f64 v[9:10], v[28:29], v[20:21], v[9:10]
	v_lshlrev_b64 v[20:21], 3, v[14:15]
	v_add_u32_e32 v14, -5, v12
	v_add_co_u32_e32 v20, vcc, s14, v20
	v_addc_co_u32_e32 v21, vcc, v19, v21, vcc
	global_load_dwordx2 v[20:21], v[20:21], off
	v_lshlrev_b64 v[22:23], 3, v[14:15]
	v_add_u32_e32 v14, -13, v12
	v_add_co_u32_e32 v22, vcc, s12, v22
	v_lshlrev_b64 v[24:25], 3, v[14:15]
	v_addc_co_u32_e32 v23, vcc, v17, v23, vcc
	v_add_co_u32_e32 v24, vcc, s12, v24
	v_addc_co_u32_e32 v25, vcc, v17, v25, vcc
	v_add_u32_e32 v14, 4, v13
	s_waitcnt vmcnt(0)
	v_fma_f64 v[7:8], v[30:31], v[20:21], v[7:8]
	global_load_dwordx2 v[28:29], v[22:23], off
	global_load_dwordx2 v[30:31], v[24:25], off
	;; [unrolled: 19-line block ×5, first 2 shown]
	s_waitcnt vmcnt(1)
	v_fma_f64 v[9:10], v[28:29], v[20:21], v[9:10]
	v_lshlrev_b64 v[20:21], 3, v[14:15]
	v_add_u32_e32 v14, -1, v12
	v_add_co_u32_e32 v20, vcc, s14, v20
	v_addc_co_u32_e32 v21, vcc, v19, v21, vcc
	global_load_dwordx2 v[20:21], v[20:21], off
	v_lshlrev_b64 v[22:23], 3, v[14:15]
	v_add_u32_e32 v14, -9, v12
	v_lshlrev_b64 v[24:25], 3, v[14:15]
	v_add_co_u32_e32 v22, vcc, s12, v22
	v_add_u32_e32 v14, 8, v13
	v_addc_co_u32_e32 v23, vcc, v17, v23, vcc
	v_add_co_u32_e32 v24, vcc, s12, v24
	v_lshlrev_b64 v[13:14], 3, v[14:15]
	v_addc_co_u32_e32 v25, vcc, v17, v25, vcc
	v_add_co_u32_e32 v13, vcc, s14, v13
	v_addc_co_u32_e32 v14, vcc, v19, v14, vcc
	v_cmp_ge_i32_e32 vcc, v6, v18
	s_or_b64 s[0:1], vcc, s[0:1]
	v_add_u32_e32 v12, 0x240, v12
	s_waitcnt vmcnt(0)
	v_fma_f64 v[7:8], v[30:31], v[20:21], v[7:8]
	global_load_dwordx2 v[28:29], v[22:23], off
	global_load_dwordx2 v[30:31], v[26:27], off
	;; [unrolled: 1-line block ×4, first 2 shown]
	s_waitcnt vmcnt(3)
	v_fma_f64 v[10:11], v[28:29], v[20:21], v[9:10]
	s_waitcnt vmcnt(0)
	v_fma_f64 v[8:9], v[32:33], v[34:35], v[7:8]
	v_fma_f64 v[10:11], v[30:31], v[34:35], v[10:11]
	s_andn2_b64 exec, exec, s[0:1]
	s_cbranch_execnz .LBB114_15
; %bb.16:
	s_or_b64 exec, exec, s[0:1]
.LBB114_17:
	s_or_b64 exec, exec, s[6:7]
.LBB114_18:
	v_mov_b32_dpp v6, v8 row_shr:1 row_mask:0xf bank_mask:0xf
	v_mov_b32_dpp v7, v9 row_shr:1 row_mask:0xf bank_mask:0xf
	v_add_f64 v[6:7], v[8:9], v[6:7]
	v_mov_b32_dpp v8, v10 row_shr:1 row_mask:0xf bank_mask:0xf
	v_mov_b32_dpp v9, v11 row_shr:1 row_mask:0xf bank_mask:0xf
	v_add_f64 v[8:9], v[10:11], v[8:9]
	v_cmp_eq_u32_e32 vcc, 31, v0
	v_mov_b32_dpp v10, v6 row_shr:2 row_mask:0xf bank_mask:0xf
	v_mov_b32_dpp v11, v7 row_shr:2 row_mask:0xf bank_mask:0xf
	v_add_f64 v[6:7], v[6:7], v[10:11]
	v_mov_b32_dpp v12, v8 row_shr:2 row_mask:0xf bank_mask:0xf
	v_mov_b32_dpp v13, v9 row_shr:2 row_mask:0xf bank_mask:0xf
	v_add_f64 v[8:9], v[8:9], v[12:13]
	v_mov_b32_dpp v10, v6 row_shr:4 row_mask:0xf bank_mask:0xe
	v_mov_b32_dpp v11, v7 row_shr:4 row_mask:0xf bank_mask:0xe
	v_add_f64 v[6:7], v[6:7], v[10:11]
	v_mov_b32_dpp v12, v8 row_shr:4 row_mask:0xf bank_mask:0xe
	v_mov_b32_dpp v13, v9 row_shr:4 row_mask:0xf bank_mask:0xe
	v_add_f64 v[8:9], v[8:9], v[12:13]
	v_mov_b32_dpp v10, v6 row_shr:8 row_mask:0xf bank_mask:0xc
	v_mov_b32_dpp v11, v7 row_shr:8 row_mask:0xf bank_mask:0xc
	v_add_f64 v[6:7], v[6:7], v[10:11]
	v_mov_b32_dpp v12, v8 row_shr:8 row_mask:0xf bank_mask:0xc
	v_mov_b32_dpp v13, v9 row_shr:8 row_mask:0xf bank_mask:0xc
	v_add_f64 v[10:11], v[8:9], v[12:13]
	v_mov_b32_dpp v8, v6 row_bcast:15 row_mask:0xa bank_mask:0xf
	v_mov_b32_dpp v9, v7 row_bcast:15 row_mask:0xa bank_mask:0xf
	;; [unrolled: 1-line block ×4, first 2 shown]
	s_and_b64 exec, exec, vcc
	s_cbranch_execz .LBB114_23
; %bb.19:
	v_add_f64 v[8:9], v[6:7], v[8:9]
	v_add_f64 v[6:7], v[10:11], v[12:13]
	v_cmp_eq_f64_e32 vcc, 0, v[3:4]
	s_load_dwordx2 s[0:1], s[4:5], 0x38
	s_and_saveexec_b64 s[2:3], vcc
	s_xor_b64 s[2:3], exec, s[2:3]
	s_cbranch_execz .LBB114_21
; %bb.20:
	v_mul_f64 v[3:4], v[1:2], v[8:9]
	v_lshlrev_b32_e32 v0, 1, v5
	v_mul_f64 v[5:6], v[1:2], v[6:7]
	v_ashrrev_i32_e32 v1, 31, v0
	v_lshlrev_b64 v[0:1], 3, v[0:1]
	s_waitcnt lgkmcnt(0)
	v_mov_b32_e32 v2, s1
	v_add_co_u32_e32 v0, vcc, s0, v0
	v_addc_co_u32_e32 v1, vcc, v2, v1, vcc
	global_store_dwordx4 v[0:1], v[3:6], off
                                        ; implicit-def: $vgpr5
                                        ; implicit-def: $vgpr1_vgpr2
                                        ; implicit-def: $vgpr8_vgpr9
                                        ; implicit-def: $vgpr3_vgpr4
                                        ; implicit-def: $vgpr6_vgpr7
.LBB114_21:
	s_andn2_saveexec_b64 s[2:3], s[2:3]
	s_cbranch_execz .LBB114_23
; %bb.22:
	v_lshlrev_b32_e32 v10, 1, v5
	v_ashrrev_i32_e32 v11, 31, v10
	v_lshlrev_b64 v[10:11], 3, v[10:11]
	s_waitcnt lgkmcnt(0)
	v_mov_b32_e32 v0, s1
	v_add_co_u32_e32 v14, vcc, s0, v10
	v_addc_co_u32_e32 v15, vcc, v0, v11, vcc
	global_load_dwordx4 v[10:13], v[14:15], off
	v_mul_f64 v[8:9], v[1:2], v[8:9]
	v_mul_f64 v[5:6], v[1:2], v[6:7]
	s_waitcnt vmcnt(0)
	v_fma_f64 v[0:1], v[3:4], v[10:11], v[8:9]
	v_fma_f64 v[2:3], v[3:4], v[12:13], v[5:6]
	global_store_dwordx4 v[14:15], v[0:3], off
.LBB114_23:
	s_endpgm
	.section	.rodata,"a",@progbits
	.p2align	6, 0x0
	.amdhsa_kernel _ZN9rocsparseL19gebsrmvn_2xn_kernelILj128ELj9ELj32EdEEvi20rocsparse_direction_NS_24const_host_device_scalarIT2_EEPKiS6_PKS3_S8_S4_PS3_21rocsparse_index_base_b
		.amdhsa_group_segment_fixed_size 0
		.amdhsa_private_segment_fixed_size 0
		.amdhsa_kernarg_size 72
		.amdhsa_user_sgpr_count 6
		.amdhsa_user_sgpr_private_segment_buffer 1
		.amdhsa_user_sgpr_dispatch_ptr 0
		.amdhsa_user_sgpr_queue_ptr 0
		.amdhsa_user_sgpr_kernarg_segment_ptr 1
		.amdhsa_user_sgpr_dispatch_id 0
		.amdhsa_user_sgpr_flat_scratch_init 0
		.amdhsa_user_sgpr_private_segment_size 0
		.amdhsa_uses_dynamic_stack 0
		.amdhsa_system_sgpr_private_segment_wavefront_offset 0
		.amdhsa_system_sgpr_workgroup_id_x 1
		.amdhsa_system_sgpr_workgroup_id_y 0
		.amdhsa_system_sgpr_workgroup_id_z 0
		.amdhsa_system_sgpr_workgroup_info 0
		.amdhsa_system_vgpr_workitem_id 0
		.amdhsa_next_free_vgpr 38
		.amdhsa_next_free_sgpr 16
		.amdhsa_reserve_vcc 1
		.amdhsa_reserve_flat_scratch 0
		.amdhsa_float_round_mode_32 0
		.amdhsa_float_round_mode_16_64 0
		.amdhsa_float_denorm_mode_32 3
		.amdhsa_float_denorm_mode_16_64 3
		.amdhsa_dx10_clamp 1
		.amdhsa_ieee_mode 1
		.amdhsa_fp16_overflow 0
		.amdhsa_exception_fp_ieee_invalid_op 0
		.amdhsa_exception_fp_denorm_src 0
		.amdhsa_exception_fp_ieee_div_zero 0
		.amdhsa_exception_fp_ieee_overflow 0
		.amdhsa_exception_fp_ieee_underflow 0
		.amdhsa_exception_fp_ieee_inexact 0
		.amdhsa_exception_int_div_zero 0
	.end_amdhsa_kernel
	.section	.text._ZN9rocsparseL19gebsrmvn_2xn_kernelILj128ELj9ELj32EdEEvi20rocsparse_direction_NS_24const_host_device_scalarIT2_EEPKiS6_PKS3_S8_S4_PS3_21rocsparse_index_base_b,"axG",@progbits,_ZN9rocsparseL19gebsrmvn_2xn_kernelILj128ELj9ELj32EdEEvi20rocsparse_direction_NS_24const_host_device_scalarIT2_EEPKiS6_PKS3_S8_S4_PS3_21rocsparse_index_base_b,comdat
.Lfunc_end114:
	.size	_ZN9rocsparseL19gebsrmvn_2xn_kernelILj128ELj9ELj32EdEEvi20rocsparse_direction_NS_24const_host_device_scalarIT2_EEPKiS6_PKS3_S8_S4_PS3_21rocsparse_index_base_b, .Lfunc_end114-_ZN9rocsparseL19gebsrmvn_2xn_kernelILj128ELj9ELj32EdEEvi20rocsparse_direction_NS_24const_host_device_scalarIT2_EEPKiS6_PKS3_S8_S4_PS3_21rocsparse_index_base_b
                                        ; -- End function
	.set _ZN9rocsparseL19gebsrmvn_2xn_kernelILj128ELj9ELj32EdEEvi20rocsparse_direction_NS_24const_host_device_scalarIT2_EEPKiS6_PKS3_S8_S4_PS3_21rocsparse_index_base_b.num_vgpr, 38
	.set _ZN9rocsparseL19gebsrmvn_2xn_kernelILj128ELj9ELj32EdEEvi20rocsparse_direction_NS_24const_host_device_scalarIT2_EEPKiS6_PKS3_S8_S4_PS3_21rocsparse_index_base_b.num_agpr, 0
	.set _ZN9rocsparseL19gebsrmvn_2xn_kernelILj128ELj9ELj32EdEEvi20rocsparse_direction_NS_24const_host_device_scalarIT2_EEPKiS6_PKS3_S8_S4_PS3_21rocsparse_index_base_b.numbered_sgpr, 16
	.set _ZN9rocsparseL19gebsrmvn_2xn_kernelILj128ELj9ELj32EdEEvi20rocsparse_direction_NS_24const_host_device_scalarIT2_EEPKiS6_PKS3_S8_S4_PS3_21rocsparse_index_base_b.num_named_barrier, 0
	.set _ZN9rocsparseL19gebsrmvn_2xn_kernelILj128ELj9ELj32EdEEvi20rocsparse_direction_NS_24const_host_device_scalarIT2_EEPKiS6_PKS3_S8_S4_PS3_21rocsparse_index_base_b.private_seg_size, 0
	.set _ZN9rocsparseL19gebsrmvn_2xn_kernelILj128ELj9ELj32EdEEvi20rocsparse_direction_NS_24const_host_device_scalarIT2_EEPKiS6_PKS3_S8_S4_PS3_21rocsparse_index_base_b.uses_vcc, 1
	.set _ZN9rocsparseL19gebsrmvn_2xn_kernelILj128ELj9ELj32EdEEvi20rocsparse_direction_NS_24const_host_device_scalarIT2_EEPKiS6_PKS3_S8_S4_PS3_21rocsparse_index_base_b.uses_flat_scratch, 0
	.set _ZN9rocsparseL19gebsrmvn_2xn_kernelILj128ELj9ELj32EdEEvi20rocsparse_direction_NS_24const_host_device_scalarIT2_EEPKiS6_PKS3_S8_S4_PS3_21rocsparse_index_base_b.has_dyn_sized_stack, 0
	.set _ZN9rocsparseL19gebsrmvn_2xn_kernelILj128ELj9ELj32EdEEvi20rocsparse_direction_NS_24const_host_device_scalarIT2_EEPKiS6_PKS3_S8_S4_PS3_21rocsparse_index_base_b.has_recursion, 0
	.set _ZN9rocsparseL19gebsrmvn_2xn_kernelILj128ELj9ELj32EdEEvi20rocsparse_direction_NS_24const_host_device_scalarIT2_EEPKiS6_PKS3_S8_S4_PS3_21rocsparse_index_base_b.has_indirect_call, 0
	.section	.AMDGPU.csdata,"",@progbits
; Kernel info:
; codeLenInByte = 2612
; TotalNumSgprs: 20
; NumVgprs: 38
; ScratchSize: 0
; MemoryBound: 0
; FloatMode: 240
; IeeeMode: 1
; LDSByteSize: 0 bytes/workgroup (compile time only)
; SGPRBlocks: 2
; VGPRBlocks: 9
; NumSGPRsForWavesPerEU: 20
; NumVGPRsForWavesPerEU: 38
; Occupancy: 6
; WaveLimiterHint : 1
; COMPUTE_PGM_RSRC2:SCRATCH_EN: 0
; COMPUTE_PGM_RSRC2:USER_SGPR: 6
; COMPUTE_PGM_RSRC2:TRAP_HANDLER: 0
; COMPUTE_PGM_RSRC2:TGID_X_EN: 1
; COMPUTE_PGM_RSRC2:TGID_Y_EN: 0
; COMPUTE_PGM_RSRC2:TGID_Z_EN: 0
; COMPUTE_PGM_RSRC2:TIDIG_COMP_CNT: 0
	.section	.text._ZN9rocsparseL19gebsrmvn_2xn_kernelILj128ELj9ELj64EdEEvi20rocsparse_direction_NS_24const_host_device_scalarIT2_EEPKiS6_PKS3_S8_S4_PS3_21rocsparse_index_base_b,"axG",@progbits,_ZN9rocsparseL19gebsrmvn_2xn_kernelILj128ELj9ELj64EdEEvi20rocsparse_direction_NS_24const_host_device_scalarIT2_EEPKiS6_PKS3_S8_S4_PS3_21rocsparse_index_base_b,comdat
	.globl	_ZN9rocsparseL19gebsrmvn_2xn_kernelILj128ELj9ELj64EdEEvi20rocsparse_direction_NS_24const_host_device_scalarIT2_EEPKiS6_PKS3_S8_S4_PS3_21rocsparse_index_base_b ; -- Begin function _ZN9rocsparseL19gebsrmvn_2xn_kernelILj128ELj9ELj64EdEEvi20rocsparse_direction_NS_24const_host_device_scalarIT2_EEPKiS6_PKS3_S8_S4_PS3_21rocsparse_index_base_b
	.p2align	8
	.type	_ZN9rocsparseL19gebsrmvn_2xn_kernelILj128ELj9ELj64EdEEvi20rocsparse_direction_NS_24const_host_device_scalarIT2_EEPKiS6_PKS3_S8_S4_PS3_21rocsparse_index_base_b,@function
_ZN9rocsparseL19gebsrmvn_2xn_kernelILj128ELj9ELj64EdEEvi20rocsparse_direction_NS_24const_host_device_scalarIT2_EEPKiS6_PKS3_S8_S4_PS3_21rocsparse_index_base_b: ; @_ZN9rocsparseL19gebsrmvn_2xn_kernelILj128ELj9ELj64EdEEvi20rocsparse_direction_NS_24const_host_device_scalarIT2_EEPKiS6_PKS3_S8_S4_PS3_21rocsparse_index_base_b
; %bb.0:
	s_load_dwordx2 s[2:3], s[4:5], 0x40
	s_load_dwordx2 s[10:11], s[4:5], 0x8
	;; [unrolled: 1-line block ×3, first 2 shown]
	s_waitcnt lgkmcnt(0)
	s_bitcmp1_b32 s3, 0
	s_cselect_b64 s[12:13], -1, 0
	v_mov_b32_e32 v1, s10
	s_xor_b64 s[8:9], s[12:13], -1
	s_and_b64 vcc, exec, s[12:13]
	v_mov_b32_e32 v2, s11
	s_cbranch_vccnz .LBB115_2
; %bb.1:
	v_mov_b32_e32 v1, s10
	v_mov_b32_e32 v2, s11
	flat_load_dwordx2 v[1:2], v[1:2]
.LBB115_2:
	v_mov_b32_e32 v4, s1
	s_andn2_b64 vcc, exec, s[8:9]
	v_mov_b32_e32 v3, s0
	s_cbranch_vccnz .LBB115_4
; %bb.3:
	v_mov_b32_e32 v4, s1
	v_mov_b32_e32 v3, s0
	flat_load_dwordx2 v[3:4], v[3:4]
.LBB115_4:
	s_waitcnt vmcnt(0) lgkmcnt(0)
	v_cmp_neq_f64_e32 vcc, 0, v[1:2]
	v_cmp_neq_f64_e64 s[0:1], 1.0, v[3:4]
	s_or_b64 s[0:1], vcc, s[0:1]
	s_and_saveexec_b64 s[8:9], s[0:1]
	s_cbranch_execz .LBB115_23
; %bb.5:
	s_load_dwordx2 s[0:1], s[4:5], 0x0
	v_lshrrev_b32_e32 v5, 6, v0
	v_lshl_or_b32 v5, s6, 1, v5
	s_waitcnt lgkmcnt(0)
	v_cmp_gt_i32_e32 vcc, s0, v5
	s_and_b64 exec, exec, vcc
	s_cbranch_execz .LBB115_23
; %bb.6:
	s_load_dwordx8 s[8:15], s[4:5], 0x10
	v_ashrrev_i32_e32 v6, 31, v5
	v_lshlrev_b64 v[6:7], 2, v[5:6]
	v_and_b32_e32 v0, 63, v0
	s_cmp_lg_u32 s1, 0
	s_waitcnt lgkmcnt(0)
	v_mov_b32_e32 v8, s9
	v_add_co_u32_e32 v6, vcc, s8, v6
	v_addc_co_u32_e32 v7, vcc, v8, v7, vcc
	global_load_dwordx2 v[6:7], v[6:7], off
	s_waitcnt vmcnt(0)
	v_subrev_u32_e32 v6, s2, v6
	v_subrev_u32_e32 v18, s2, v7
	v_add_u32_e32 v6, v6, v0
	v_cmp_lt_i32_e64 s[0:1], v6, v18
	s_cbranch_scc0 .LBB115_12
; %bb.7:
	v_mov_b32_e32 v8, 0
	v_mov_b32_e32 v10, 0
	;; [unrolled: 1-line block ×4, first 2 shown]
	s_and_saveexec_b64 s[6:7], s[0:1]
	s_cbranch_execz .LBB115_11
; %bb.8:
	v_mad_u64_u32 v[12:13], s[8:9], v6, 18, 16
	v_mov_b32_e32 v8, 0
	v_mov_b32_e32 v10, 0
	;; [unrolled: 1-line block ×3, first 2 shown]
	s_mov_b64 s[8:9], 0
	v_mov_b32_e32 v7, s11
	v_mov_b32_e32 v15, 0
	;; [unrolled: 1-line block ×6, first 2 shown]
.LBB115_9:                              ; =>This Inner Loop Header: Depth=1
	v_ashrrev_i32_e32 v17, 31, v16
	v_lshlrev_b64 v[21:22], 2, v[16:17]
	v_add_u32_e32 v14, -16, v12
	v_lshlrev_b64 v[23:24], 3, v[14:15]
	v_add_co_u32_e32 v27, vcc, s10, v21
	v_addc_co_u32_e32 v28, vcc, v7, v22, vcc
	v_add_co_u32_e32 v31, vcc, s12, v23
	v_addc_co_u32_e32 v32, vcc, v19, v24, vcc
	global_load_dword v17, v[27:28], off
	global_load_dwordx4 v[21:24], v[31:32], off
	v_mov_b32_e32 v13, v15
	v_lshlrev_b64 v[25:26], 3, v[12:13]
	v_add_u32_e32 v14, -14, v12
	v_lshlrev_b64 v[13:14], 3, v[14:15]
	v_add_co_u32_e32 v33, vcc, s12, v25
	v_mov_b32_e32 v30, v15
	v_addc_co_u32_e32 v34, vcc, v19, v26, vcc
	v_add_co_u32_e32 v13, vcc, s12, v13
	v_addc_co_u32_e32 v14, vcc, v19, v14, vcc
	v_add_u32_e32 v16, 64, v16
	s_waitcnt vmcnt(1)
	v_subrev_u32_e32 v17, s2, v17
	v_lshl_add_u32 v29, v17, 3, v17
	v_lshlrev_b64 v[25:26], 3, v[29:30]
	v_add_co_u32_e32 v30, vcc, s14, v25
	v_addc_co_u32_e32 v31, vcc, v20, v26, vcc
	global_load_dwordx4 v[25:28], v[33:34], off
	global_load_dwordx2 v[35:36], v[30:31], off
	s_waitcnt vmcnt(0)
	v_fma_f64 v[21:22], v[21:22], v[35:36], v[8:9]
	v_fma_f64 v[23:24], v[23:24], v[35:36], v[10:11]
	global_load_dwordx4 v[8:11], v[13:14], off
	v_add_u32_e32 v14, 1, v29
	v_lshlrev_b64 v[30:31], 3, v[14:15]
	v_add_u32_e32 v14, -12, v12
	v_add_co_u32_e32 v30, vcc, s14, v30
	v_addc_co_u32_e32 v31, vcc, v20, v31, vcc
	global_load_dwordx2 v[30:31], v[30:31], off
	v_lshlrev_b64 v[32:33], 3, v[14:15]
	v_add_u32_e32 v14, 2, v29
	s_waitcnt vmcnt(0)
	v_fma_f64 v[21:22], v[8:9], v[30:31], v[21:22]
	v_fma_f64 v[23:24], v[10:11], v[30:31], v[23:24]
	v_lshlrev_b64 v[8:9], 3, v[14:15]
	v_add_co_u32_e32 v30, vcc, s12, v32
	v_addc_co_u32_e32 v31, vcc, v19, v33, vcc
	v_add_co_u32_e32 v34, vcc, s14, v8
	v_addc_co_u32_e32 v35, vcc, v20, v9, vcc
	global_load_dwordx4 v[8:11], v[30:31], off
	global_load_dwordx2 v[36:37], v[34:35], off
	v_add_u32_e32 v14, -10, v12
	v_lshlrev_b64 v[32:33], 3, v[14:15]
	v_add_u32_e32 v14, 3, v29
	v_add_co_u32_e32 v30, vcc, s12, v32
	v_addc_co_u32_e32 v31, vcc, v19, v33, vcc
	s_waitcnt vmcnt(0)
	v_fma_f64 v[21:22], v[8:9], v[36:37], v[21:22]
	v_lshlrev_b64 v[8:9], 3, v[14:15]
	v_fma_f64 v[23:24], v[10:11], v[36:37], v[23:24]
	v_add_co_u32_e32 v34, vcc, s14, v8
	v_addc_co_u32_e32 v35, vcc, v20, v9, vcc
	global_load_dwordx4 v[8:11], v[30:31], off
	global_load_dwordx2 v[36:37], v[34:35], off
	v_add_u32_e32 v14, -8, v12
	v_lshlrev_b64 v[32:33], 3, v[14:15]
	v_add_u32_e32 v14, 4, v29
	v_add_co_u32_e32 v30, vcc, s12, v32
	v_addc_co_u32_e32 v31, vcc, v19, v33, vcc
	s_waitcnt vmcnt(0)
	v_fma_f64 v[21:22], v[8:9], v[36:37], v[21:22]
	v_lshlrev_b64 v[8:9], 3, v[14:15]
	v_fma_f64 v[23:24], v[10:11], v[36:37], v[23:24]
	;; [unrolled: 13-line block ×4, first 2 shown]
	v_add_co_u32_e32 v34, vcc, s14, v8
	v_addc_co_u32_e32 v35, vcc, v20, v9, vcc
	global_load_dwordx4 v[8:11], v[30:31], off
	global_load_dwordx2 v[36:37], v[34:35], off
	v_add_u32_e32 v14, -2, v12
	v_lshlrev_b64 v[32:33], 3, v[14:15]
	v_add_u32_e32 v14, 7, v29
	v_add_co_u32_e32 v13, vcc, s12, v32
	v_add_u32_e32 v12, 0x480, v12
	s_waitcnt vmcnt(0)
	v_fma_f64 v[21:22], v[8:9], v[36:37], v[21:22]
	v_lshlrev_b64 v[8:9], 3, v[14:15]
	v_addc_co_u32_e32 v14, vcc, v19, v33, vcc
	v_add_co_u32_e32 v30, vcc, s14, v8
	v_fma_f64 v[23:24], v[10:11], v[36:37], v[23:24]
	v_addc_co_u32_e32 v31, vcc, v20, v9, vcc
	global_load_dwordx4 v[8:11], v[13:14], off
	global_load_dwordx2 v[32:33], v[30:31], off
	v_add_u32_e32 v14, 8, v29
	v_lshlrev_b64 v[13:14], 3, v[14:15]
	v_add_co_u32_e32 v13, vcc, s14, v13
	v_addc_co_u32_e32 v14, vcc, v20, v14, vcc
	global_load_dwordx2 v[13:14], v[13:14], off
	v_cmp_ge_i32_e32 vcc, v16, v18
	s_or_b64 s[8:9], vcc, s[8:9]
	s_waitcnt vmcnt(1)
	v_fma_f64 v[8:9], v[8:9], v[32:33], v[21:22]
	v_fma_f64 v[10:11], v[10:11], v[32:33], v[23:24]
	s_waitcnt vmcnt(0)
	v_fma_f64 v[8:9], v[25:26], v[13:14], v[8:9]
	v_fma_f64 v[10:11], v[27:28], v[13:14], v[10:11]
	s_andn2_b64 exec, exec, s[8:9]
	s_cbranch_execnz .LBB115_9
; %bb.10:
	s_or_b64 exec, exec, s[8:9]
.LBB115_11:
	s_or_b64 exec, exec, s[6:7]
	s_cbranch_execz .LBB115_13
	s_branch .LBB115_18
.LBB115_12:
                                        ; implicit-def: $vgpr8_vgpr9
                                        ; implicit-def: $vgpr10_vgpr11
.LBB115_13:
	v_mov_b32_e32 v8, 0
	v_mov_b32_e32 v10, 0
	;; [unrolled: 1-line block ×4, first 2 shown]
	s_and_saveexec_b64 s[6:7], s[0:1]
	s_cbranch_execz .LBB115_17
; %bb.14:
	v_mad_u64_u32 v[12:13], s[0:1], v6, 18, 17
	v_mov_b32_e32 v8, 0
	v_mov_b32_e32 v10, 0
	;; [unrolled: 1-line block ×3, first 2 shown]
	s_mov_b64 s[0:1], 0
	v_mov_b32_e32 v16, s11
	v_mov_b32_e32 v15, 0
	;; [unrolled: 1-line block ×5, first 2 shown]
.LBB115_15:                             ; =>This Inner Loop Header: Depth=1
	v_ashrrev_i32_e32 v7, 31, v6
	v_lshlrev_b64 v[22:23], 2, v[6:7]
	v_subrev_u32_e32 v14, 17, v12
	v_add_co_u32_e32 v22, vcc, s10, v22
	v_addc_co_u32_e32 v23, vcc, v16, v23, vcc
	global_load_dword v7, v[22:23], off
	v_lshlrev_b64 v[24:25], 3, v[14:15]
	v_add_u32_e32 v20, -8, v12
	v_mov_b32_e32 v21, v15
	v_lshlrev_b64 v[20:21], 3, v[20:21]
	v_add_co_u32_e32 v24, vcc, s12, v24
	v_mov_b32_e32 v13, v15
	v_addc_co_u32_e32 v25, vcc, v17, v25, vcc
	v_lshlrev_b64 v[13:14], 3, v[12:13]
	v_add_co_u32_e32 v20, vcc, s12, v20
	v_addc_co_u32_e32 v21, vcc, v17, v21, vcc
	v_add_co_u32_e32 v26, vcc, s12, v13
	v_addc_co_u32_e32 v27, vcc, v17, v14, vcc
	v_mov_b32_e32 v14, v15
	v_add_u32_e32 v6, 64, v6
	s_waitcnt vmcnt(0)
	v_subrev_u32_e32 v7, s2, v7
	v_lshl_add_u32 v13, v7, 3, v7
	v_lshlrev_b64 v[22:23], 3, v[13:14]
	v_add_u32_e32 v14, 1, v13
	v_add_co_u32_e32 v22, vcc, s14, v22
	v_addc_co_u32_e32 v23, vcc, v19, v23, vcc
	global_load_dwordx2 v[30:31], v[20:21], off
	global_load_dwordx2 v[32:33], v[22:23], off
	v_lshlrev_b64 v[28:29], 3, v[14:15]
	global_load_dwordx4 v[20:23], v[24:25], off
	v_add_co_u32_e32 v28, vcc, s14, v28
	v_addc_co_u32_e32 v29, vcc, v19, v29, vcc
	v_add_u32_e32 v14, -7, v12
	s_waitcnt vmcnt(1)
	v_fma_f64 v[10:11], v[30:31], v[32:33], v[10:11]
	s_waitcnt vmcnt(0)
	v_fma_f64 v[7:8], v[20:21], v[32:33], v[8:9]
	global_load_dwordx2 v[20:21], v[28:29], off
	s_waitcnt vmcnt(0)
	v_fma_f64 v[7:8], v[22:23], v[20:21], v[7:8]
	v_lshlrev_b64 v[22:23], 3, v[14:15]
	v_add_u32_e32 v14, -15, v12
	v_add_co_u32_e32 v22, vcc, s12, v22
	v_lshlrev_b64 v[24:25], 3, v[14:15]
	v_addc_co_u32_e32 v23, vcc, v17, v23, vcc
	v_add_co_u32_e32 v24, vcc, s12, v24
	v_addc_co_u32_e32 v25, vcc, v17, v25, vcc
	global_load_dwordx2 v[28:29], v[22:23], off
	global_load_dwordx2 v[30:31], v[24:25], off
	v_add_u32_e32 v14, 2, v13
	s_waitcnt vmcnt(1)
	v_fma_f64 v[9:10], v[28:29], v[20:21], v[10:11]
	v_lshlrev_b64 v[20:21], 3, v[14:15]
	v_add_u32_e32 v14, -6, v12
	v_add_co_u32_e32 v20, vcc, s14, v20
	v_addc_co_u32_e32 v21, vcc, v19, v21, vcc
	global_load_dwordx2 v[20:21], v[20:21], off
	v_lshlrev_b64 v[22:23], 3, v[14:15]
	v_add_u32_e32 v14, -14, v12
	v_add_co_u32_e32 v22, vcc, s12, v22
	v_lshlrev_b64 v[24:25], 3, v[14:15]
	v_addc_co_u32_e32 v23, vcc, v17, v23, vcc
	v_add_co_u32_e32 v24, vcc, s12, v24
	v_addc_co_u32_e32 v25, vcc, v17, v25, vcc
	v_add_u32_e32 v14, 3, v13
	s_waitcnt vmcnt(0)
	v_fma_f64 v[7:8], v[30:31], v[20:21], v[7:8]
	global_load_dwordx2 v[28:29], v[22:23], off
	global_load_dwordx2 v[30:31], v[24:25], off
	s_waitcnt vmcnt(1)
	v_fma_f64 v[9:10], v[28:29], v[20:21], v[9:10]
	v_lshlrev_b64 v[20:21], 3, v[14:15]
	v_add_u32_e32 v14, -5, v12
	v_add_co_u32_e32 v20, vcc, s14, v20
	v_addc_co_u32_e32 v21, vcc, v19, v21, vcc
	global_load_dwordx2 v[20:21], v[20:21], off
	v_lshlrev_b64 v[22:23], 3, v[14:15]
	v_add_u32_e32 v14, -13, v12
	v_add_co_u32_e32 v22, vcc, s12, v22
	v_lshlrev_b64 v[24:25], 3, v[14:15]
	v_addc_co_u32_e32 v23, vcc, v17, v23, vcc
	v_add_co_u32_e32 v24, vcc, s12, v24
	v_addc_co_u32_e32 v25, vcc, v17, v25, vcc
	v_add_u32_e32 v14, 4, v13
	s_waitcnt vmcnt(0)
	v_fma_f64 v[7:8], v[30:31], v[20:21], v[7:8]
	global_load_dwordx2 v[28:29], v[22:23], off
	global_load_dwordx2 v[30:31], v[24:25], off
	;; [unrolled: 19-line block ×5, first 2 shown]
	s_waitcnt vmcnt(1)
	v_fma_f64 v[9:10], v[28:29], v[20:21], v[9:10]
	v_lshlrev_b64 v[20:21], 3, v[14:15]
	v_add_u32_e32 v14, -1, v12
	v_add_co_u32_e32 v20, vcc, s14, v20
	v_addc_co_u32_e32 v21, vcc, v19, v21, vcc
	global_load_dwordx2 v[20:21], v[20:21], off
	v_lshlrev_b64 v[22:23], 3, v[14:15]
	v_add_u32_e32 v14, -9, v12
	v_lshlrev_b64 v[24:25], 3, v[14:15]
	v_add_co_u32_e32 v22, vcc, s12, v22
	v_add_u32_e32 v14, 8, v13
	v_addc_co_u32_e32 v23, vcc, v17, v23, vcc
	v_add_co_u32_e32 v24, vcc, s12, v24
	v_lshlrev_b64 v[13:14], 3, v[14:15]
	v_addc_co_u32_e32 v25, vcc, v17, v25, vcc
	v_add_co_u32_e32 v13, vcc, s14, v13
	v_addc_co_u32_e32 v14, vcc, v19, v14, vcc
	v_cmp_ge_i32_e32 vcc, v6, v18
	s_or_b64 s[0:1], vcc, s[0:1]
	v_add_u32_e32 v12, 0x480, v12
	s_waitcnt vmcnt(0)
	v_fma_f64 v[7:8], v[30:31], v[20:21], v[7:8]
	global_load_dwordx2 v[28:29], v[22:23], off
	global_load_dwordx2 v[30:31], v[26:27], off
	;; [unrolled: 1-line block ×4, first 2 shown]
	s_waitcnt vmcnt(3)
	v_fma_f64 v[10:11], v[28:29], v[20:21], v[9:10]
	s_waitcnt vmcnt(0)
	v_fma_f64 v[8:9], v[32:33], v[34:35], v[7:8]
	v_fma_f64 v[10:11], v[30:31], v[34:35], v[10:11]
	s_andn2_b64 exec, exec, s[0:1]
	s_cbranch_execnz .LBB115_15
; %bb.16:
	s_or_b64 exec, exec, s[0:1]
.LBB115_17:
	s_or_b64 exec, exec, s[6:7]
.LBB115_18:
	v_mov_b32_dpp v6, v8 row_shr:1 row_mask:0xf bank_mask:0xf
	v_mov_b32_dpp v7, v9 row_shr:1 row_mask:0xf bank_mask:0xf
	v_add_f64 v[6:7], v[8:9], v[6:7]
	v_mov_b32_dpp v8, v10 row_shr:1 row_mask:0xf bank_mask:0xf
	v_mov_b32_dpp v9, v11 row_shr:1 row_mask:0xf bank_mask:0xf
	v_add_f64 v[8:9], v[10:11], v[8:9]
	v_cmp_eq_u32_e32 vcc, 63, v0
	v_mov_b32_dpp v10, v6 row_shr:2 row_mask:0xf bank_mask:0xf
	v_mov_b32_dpp v11, v7 row_shr:2 row_mask:0xf bank_mask:0xf
	v_add_f64 v[6:7], v[6:7], v[10:11]
	v_mov_b32_dpp v12, v8 row_shr:2 row_mask:0xf bank_mask:0xf
	v_mov_b32_dpp v13, v9 row_shr:2 row_mask:0xf bank_mask:0xf
	v_add_f64 v[8:9], v[8:9], v[12:13]
	;; [unrolled: 3-line block ×6, first 2 shown]
	v_mov_b32_dpp v10, v6 row_bcast:15 row_mask:0xa bank_mask:0xf
	v_mov_b32_dpp v11, v7 row_bcast:15 row_mask:0xa bank_mask:0xf
	v_add_f64 v[6:7], v[6:7], v[10:11]
	v_mov_b32_dpp v12, v8 row_bcast:15 row_mask:0xa bank_mask:0xf
	v_mov_b32_dpp v13, v9 row_bcast:15 row_mask:0xa bank_mask:0xf
	v_add_f64 v[10:11], v[8:9], v[12:13]
	v_mov_b32_dpp v8, v6 row_bcast:31 row_mask:0xc bank_mask:0xf
	v_mov_b32_dpp v9, v7 row_bcast:31 row_mask:0xc bank_mask:0xf
	;; [unrolled: 1-line block ×4, first 2 shown]
	s_and_b64 exec, exec, vcc
	s_cbranch_execz .LBB115_23
; %bb.19:
	v_add_f64 v[8:9], v[6:7], v[8:9]
	v_add_f64 v[6:7], v[10:11], v[12:13]
	v_cmp_eq_f64_e32 vcc, 0, v[3:4]
	s_load_dwordx2 s[0:1], s[4:5], 0x38
	s_and_saveexec_b64 s[2:3], vcc
	s_xor_b64 s[2:3], exec, s[2:3]
	s_cbranch_execz .LBB115_21
; %bb.20:
	v_mul_f64 v[3:4], v[1:2], v[8:9]
	v_lshlrev_b32_e32 v0, 1, v5
	v_mul_f64 v[5:6], v[1:2], v[6:7]
	v_ashrrev_i32_e32 v1, 31, v0
	v_lshlrev_b64 v[0:1], 3, v[0:1]
	s_waitcnt lgkmcnt(0)
	v_mov_b32_e32 v2, s1
	v_add_co_u32_e32 v0, vcc, s0, v0
	v_addc_co_u32_e32 v1, vcc, v2, v1, vcc
	global_store_dwordx4 v[0:1], v[3:6], off
                                        ; implicit-def: $vgpr5
                                        ; implicit-def: $vgpr1_vgpr2
                                        ; implicit-def: $vgpr8_vgpr9
                                        ; implicit-def: $vgpr3_vgpr4
                                        ; implicit-def: $vgpr6_vgpr7
.LBB115_21:
	s_andn2_saveexec_b64 s[2:3], s[2:3]
	s_cbranch_execz .LBB115_23
; %bb.22:
	v_lshlrev_b32_e32 v10, 1, v5
	v_ashrrev_i32_e32 v11, 31, v10
	v_lshlrev_b64 v[10:11], 3, v[10:11]
	s_waitcnt lgkmcnt(0)
	v_mov_b32_e32 v0, s1
	v_add_co_u32_e32 v14, vcc, s0, v10
	v_addc_co_u32_e32 v15, vcc, v0, v11, vcc
	global_load_dwordx4 v[10:13], v[14:15], off
	v_mul_f64 v[8:9], v[1:2], v[8:9]
	v_mul_f64 v[5:6], v[1:2], v[6:7]
	s_waitcnt vmcnt(0)
	v_fma_f64 v[0:1], v[3:4], v[10:11], v[8:9]
	v_fma_f64 v[2:3], v[3:4], v[12:13], v[5:6]
	global_store_dwordx4 v[14:15], v[0:3], off
.LBB115_23:
	s_endpgm
	.section	.rodata,"a",@progbits
	.p2align	6, 0x0
	.amdhsa_kernel _ZN9rocsparseL19gebsrmvn_2xn_kernelILj128ELj9ELj64EdEEvi20rocsparse_direction_NS_24const_host_device_scalarIT2_EEPKiS6_PKS3_S8_S4_PS3_21rocsparse_index_base_b
		.amdhsa_group_segment_fixed_size 0
		.amdhsa_private_segment_fixed_size 0
		.amdhsa_kernarg_size 72
		.amdhsa_user_sgpr_count 6
		.amdhsa_user_sgpr_private_segment_buffer 1
		.amdhsa_user_sgpr_dispatch_ptr 0
		.amdhsa_user_sgpr_queue_ptr 0
		.amdhsa_user_sgpr_kernarg_segment_ptr 1
		.amdhsa_user_sgpr_dispatch_id 0
		.amdhsa_user_sgpr_flat_scratch_init 0
		.amdhsa_user_sgpr_private_segment_size 0
		.amdhsa_uses_dynamic_stack 0
		.amdhsa_system_sgpr_private_segment_wavefront_offset 0
		.amdhsa_system_sgpr_workgroup_id_x 1
		.amdhsa_system_sgpr_workgroup_id_y 0
		.amdhsa_system_sgpr_workgroup_id_z 0
		.amdhsa_system_sgpr_workgroup_info 0
		.amdhsa_system_vgpr_workitem_id 0
		.amdhsa_next_free_vgpr 38
		.amdhsa_next_free_sgpr 16
		.amdhsa_reserve_vcc 1
		.amdhsa_reserve_flat_scratch 0
		.amdhsa_float_round_mode_32 0
		.amdhsa_float_round_mode_16_64 0
		.amdhsa_float_denorm_mode_32 3
		.amdhsa_float_denorm_mode_16_64 3
		.amdhsa_dx10_clamp 1
		.amdhsa_ieee_mode 1
		.amdhsa_fp16_overflow 0
		.amdhsa_exception_fp_ieee_invalid_op 0
		.amdhsa_exception_fp_denorm_src 0
		.amdhsa_exception_fp_ieee_div_zero 0
		.amdhsa_exception_fp_ieee_overflow 0
		.amdhsa_exception_fp_ieee_underflow 0
		.amdhsa_exception_fp_ieee_inexact 0
		.amdhsa_exception_int_div_zero 0
	.end_amdhsa_kernel
	.section	.text._ZN9rocsparseL19gebsrmvn_2xn_kernelILj128ELj9ELj64EdEEvi20rocsparse_direction_NS_24const_host_device_scalarIT2_EEPKiS6_PKS3_S8_S4_PS3_21rocsparse_index_base_b,"axG",@progbits,_ZN9rocsparseL19gebsrmvn_2xn_kernelILj128ELj9ELj64EdEEvi20rocsparse_direction_NS_24const_host_device_scalarIT2_EEPKiS6_PKS3_S8_S4_PS3_21rocsparse_index_base_b,comdat
.Lfunc_end115:
	.size	_ZN9rocsparseL19gebsrmvn_2xn_kernelILj128ELj9ELj64EdEEvi20rocsparse_direction_NS_24const_host_device_scalarIT2_EEPKiS6_PKS3_S8_S4_PS3_21rocsparse_index_base_b, .Lfunc_end115-_ZN9rocsparseL19gebsrmvn_2xn_kernelILj128ELj9ELj64EdEEvi20rocsparse_direction_NS_24const_host_device_scalarIT2_EEPKiS6_PKS3_S8_S4_PS3_21rocsparse_index_base_b
                                        ; -- End function
	.set _ZN9rocsparseL19gebsrmvn_2xn_kernelILj128ELj9ELj64EdEEvi20rocsparse_direction_NS_24const_host_device_scalarIT2_EEPKiS6_PKS3_S8_S4_PS3_21rocsparse_index_base_b.num_vgpr, 38
	.set _ZN9rocsparseL19gebsrmvn_2xn_kernelILj128ELj9ELj64EdEEvi20rocsparse_direction_NS_24const_host_device_scalarIT2_EEPKiS6_PKS3_S8_S4_PS3_21rocsparse_index_base_b.num_agpr, 0
	.set _ZN9rocsparseL19gebsrmvn_2xn_kernelILj128ELj9ELj64EdEEvi20rocsparse_direction_NS_24const_host_device_scalarIT2_EEPKiS6_PKS3_S8_S4_PS3_21rocsparse_index_base_b.numbered_sgpr, 16
	.set _ZN9rocsparseL19gebsrmvn_2xn_kernelILj128ELj9ELj64EdEEvi20rocsparse_direction_NS_24const_host_device_scalarIT2_EEPKiS6_PKS3_S8_S4_PS3_21rocsparse_index_base_b.num_named_barrier, 0
	.set _ZN9rocsparseL19gebsrmvn_2xn_kernelILj128ELj9ELj64EdEEvi20rocsparse_direction_NS_24const_host_device_scalarIT2_EEPKiS6_PKS3_S8_S4_PS3_21rocsparse_index_base_b.private_seg_size, 0
	.set _ZN9rocsparseL19gebsrmvn_2xn_kernelILj128ELj9ELj64EdEEvi20rocsparse_direction_NS_24const_host_device_scalarIT2_EEPKiS6_PKS3_S8_S4_PS3_21rocsparse_index_base_b.uses_vcc, 1
	.set _ZN9rocsparseL19gebsrmvn_2xn_kernelILj128ELj9ELj64EdEEvi20rocsparse_direction_NS_24const_host_device_scalarIT2_EEPKiS6_PKS3_S8_S4_PS3_21rocsparse_index_base_b.uses_flat_scratch, 0
	.set _ZN9rocsparseL19gebsrmvn_2xn_kernelILj128ELj9ELj64EdEEvi20rocsparse_direction_NS_24const_host_device_scalarIT2_EEPKiS6_PKS3_S8_S4_PS3_21rocsparse_index_base_b.has_dyn_sized_stack, 0
	.set _ZN9rocsparseL19gebsrmvn_2xn_kernelILj128ELj9ELj64EdEEvi20rocsparse_direction_NS_24const_host_device_scalarIT2_EEPKiS6_PKS3_S8_S4_PS3_21rocsparse_index_base_b.has_recursion, 0
	.set _ZN9rocsparseL19gebsrmvn_2xn_kernelILj128ELj9ELj64EdEEvi20rocsparse_direction_NS_24const_host_device_scalarIT2_EEPKiS6_PKS3_S8_S4_PS3_21rocsparse_index_base_b.has_indirect_call, 0
	.section	.AMDGPU.csdata,"",@progbits
; Kernel info:
; codeLenInByte = 2660
; TotalNumSgprs: 20
; NumVgprs: 38
; ScratchSize: 0
; MemoryBound: 0
; FloatMode: 240
; IeeeMode: 1
; LDSByteSize: 0 bytes/workgroup (compile time only)
; SGPRBlocks: 2
; VGPRBlocks: 9
; NumSGPRsForWavesPerEU: 20
; NumVGPRsForWavesPerEU: 38
; Occupancy: 6
; WaveLimiterHint : 1
; COMPUTE_PGM_RSRC2:SCRATCH_EN: 0
; COMPUTE_PGM_RSRC2:USER_SGPR: 6
; COMPUTE_PGM_RSRC2:TRAP_HANDLER: 0
; COMPUTE_PGM_RSRC2:TGID_X_EN: 1
; COMPUTE_PGM_RSRC2:TGID_Y_EN: 0
; COMPUTE_PGM_RSRC2:TGID_Z_EN: 0
; COMPUTE_PGM_RSRC2:TIDIG_COMP_CNT: 0
	.section	.text._ZN9rocsparseL19gebsrmvn_2xn_kernelILj128ELj10ELj4EdEEvi20rocsparse_direction_NS_24const_host_device_scalarIT2_EEPKiS6_PKS3_S8_S4_PS3_21rocsparse_index_base_b,"axG",@progbits,_ZN9rocsparseL19gebsrmvn_2xn_kernelILj128ELj10ELj4EdEEvi20rocsparse_direction_NS_24const_host_device_scalarIT2_EEPKiS6_PKS3_S8_S4_PS3_21rocsparse_index_base_b,comdat
	.globl	_ZN9rocsparseL19gebsrmvn_2xn_kernelILj128ELj10ELj4EdEEvi20rocsparse_direction_NS_24const_host_device_scalarIT2_EEPKiS6_PKS3_S8_S4_PS3_21rocsparse_index_base_b ; -- Begin function _ZN9rocsparseL19gebsrmvn_2xn_kernelILj128ELj10ELj4EdEEvi20rocsparse_direction_NS_24const_host_device_scalarIT2_EEPKiS6_PKS3_S8_S4_PS3_21rocsparse_index_base_b
	.p2align	8
	.type	_ZN9rocsparseL19gebsrmvn_2xn_kernelILj128ELj10ELj4EdEEvi20rocsparse_direction_NS_24const_host_device_scalarIT2_EEPKiS6_PKS3_S8_S4_PS3_21rocsparse_index_base_b,@function
_ZN9rocsparseL19gebsrmvn_2xn_kernelILj128ELj10ELj4EdEEvi20rocsparse_direction_NS_24const_host_device_scalarIT2_EEPKiS6_PKS3_S8_S4_PS3_21rocsparse_index_base_b: ; @_ZN9rocsparseL19gebsrmvn_2xn_kernelILj128ELj10ELj4EdEEvi20rocsparse_direction_NS_24const_host_device_scalarIT2_EEPKiS6_PKS3_S8_S4_PS3_21rocsparse_index_base_b
; %bb.0:
	s_load_dwordx2 s[2:3], s[4:5], 0x40
	s_load_dwordx2 s[10:11], s[4:5], 0x8
	;; [unrolled: 1-line block ×3, first 2 shown]
	s_waitcnt lgkmcnt(0)
	s_bitcmp1_b32 s3, 0
	s_cselect_b64 s[12:13], -1, 0
	v_mov_b32_e32 v1, s10
	s_xor_b64 s[8:9], s[12:13], -1
	s_and_b64 vcc, exec, s[12:13]
	v_mov_b32_e32 v2, s11
	s_cbranch_vccnz .LBB116_2
; %bb.1:
	v_mov_b32_e32 v1, s10
	v_mov_b32_e32 v2, s11
	flat_load_dwordx2 v[1:2], v[1:2]
.LBB116_2:
	v_mov_b32_e32 v4, s1
	s_andn2_b64 vcc, exec, s[8:9]
	v_mov_b32_e32 v3, s0
	s_cbranch_vccnz .LBB116_4
; %bb.3:
	v_mov_b32_e32 v4, s1
	v_mov_b32_e32 v3, s0
	flat_load_dwordx2 v[3:4], v[3:4]
.LBB116_4:
	s_waitcnt vmcnt(0) lgkmcnt(0)
	v_cmp_neq_f64_e32 vcc, 0, v[1:2]
	v_cmp_neq_f64_e64 s[0:1], 1.0, v[3:4]
	s_or_b64 s[0:1], vcc, s[0:1]
	s_and_saveexec_b64 s[8:9], s[0:1]
	s_cbranch_execz .LBB116_23
; %bb.5:
	s_load_dwordx2 s[0:1], s[4:5], 0x0
	v_lshrrev_b32_e32 v5, 2, v0
	v_lshl_or_b32 v5, s6, 5, v5
	s_waitcnt lgkmcnt(0)
	v_cmp_gt_i32_e32 vcc, s0, v5
	s_and_b64 exec, exec, vcc
	s_cbranch_execz .LBB116_23
; %bb.6:
	s_load_dwordx8 s[8:15], s[4:5], 0x10
	v_ashrrev_i32_e32 v6, 31, v5
	v_lshlrev_b64 v[6:7], 2, v[5:6]
	v_and_b32_e32 v0, 3, v0
	s_cmp_lg_u32 s1, 0
	s_waitcnt lgkmcnt(0)
	v_mov_b32_e32 v8, s9
	v_add_co_u32_e32 v6, vcc, s8, v6
	v_addc_co_u32_e32 v7, vcc, v8, v7, vcc
	global_load_dwordx2 v[6:7], v[6:7], off
	s_waitcnt vmcnt(0)
	v_subrev_u32_e32 v6, s2, v6
	v_subrev_u32_e32 v18, s2, v7
	v_add_u32_e32 v6, v6, v0
	v_cmp_lt_i32_e64 s[0:1], v6, v18
	s_cbranch_scc0 .LBB116_12
; %bb.7:
	v_mov_b32_e32 v8, 0
	v_mov_b32_e32 v10, 0
	;; [unrolled: 1-line block ×4, first 2 shown]
	s_and_saveexec_b64 s[6:7], s[0:1]
	s_cbranch_execz .LBB116_11
; %bb.8:
	v_mad_u64_u32 v[12:13], s[8:9], v6, 20, 18
	v_mov_b32_e32 v8, 0
	v_mov_b32_e32 v10, 0
	;; [unrolled: 1-line block ×3, first 2 shown]
	s_mov_b64 s[8:9], 0
	v_mov_b32_e32 v7, s11
	v_mov_b32_e32 v15, 0
	;; [unrolled: 1-line block ×6, first 2 shown]
.LBB116_9:                              ; =>This Inner Loop Header: Depth=1
	v_ashrrev_i32_e32 v17, 31, v16
	v_lshlrev_b64 v[21:22], 2, v[16:17]
	v_subrev_u32_e32 v14, 18, v12
	v_lshlrev_b64 v[23:24], 3, v[14:15]
	v_add_co_u32_e32 v29, vcc, s10, v21
	v_mov_b32_e32 v13, v15
	v_addc_co_u32_e32 v30, vcc, v7, v22, vcc
	v_lshlrev_b64 v[25:26], 3, v[12:13]
	v_add_co_u32_e32 v31, vcc, s12, v23
	v_addc_co_u32_e32 v32, vcc, v19, v24, vcc
	v_add_co_u32_e32 v45, vcc, s12, v25
	v_addc_co_u32_e32 v46, vcc, v19, v26, vcc
	global_load_dword v17, v[29:30], off
	global_load_dwordx4 v[21:24], v[31:32], off
	global_load_dwordx4 v[25:28], v[31:32], off offset:16
	v_add_u32_e32 v14, -14, v12
	v_lshlrev_b64 v[13:14], 3, v[14:15]
	v_mov_b32_e32 v42, v15
	v_add_co_u32_e32 v13, vcc, s12, v13
	v_addc_co_u32_e32 v14, vcc, v19, v14, vcc
	global_load_dwordx4 v[29:32], v[13:14], off
	v_add_u32_e32 v16, 4, v16
	s_waitcnt vmcnt(3)
	v_subrev_u32_e32 v13, s2, v17
	v_mul_lo_u32 v41, v13, 10
	v_lshlrev_b64 v[33:34], 3, v[41:42]
	v_add_u32_e32 v14, 2, v41
	v_add_co_u32_e32 v33, vcc, s14, v33
	v_addc_co_u32_e32 v34, vcc, v20, v34, vcc
	global_load_dwordx4 v[33:36], v[33:34], off
	v_lshlrev_b64 v[37:38], 3, v[14:15]
	v_add_u32_e32 v14, -12, v12
	v_add_co_u32_e32 v37, vcc, s14, v37
	v_addc_co_u32_e32 v38, vcc, v20, v38, vcc
	global_load_dwordx4 v[37:40], v[37:38], off
	v_lshlrev_b64 v[42:43], 3, v[14:15]
	v_add_u32_e32 v14, -10, v12
	v_add_co_u32_e32 v42, vcc, s12, v42
	v_addc_co_u32_e32 v43, vcc, v19, v43, vcc
	v_lshlrev_b64 v[47:48], 3, v[14:15]
	v_add_u32_e32 v14, 4, v41
	v_lshlrev_b64 v[49:50], 3, v[14:15]
	v_add_u32_e32 v14, -8, v12
	s_waitcnt vmcnt(1)
	v_fma_f64 v[21:22], v[21:22], v[33:34], v[8:9]
	v_fma_f64 v[23:24], v[23:24], v[33:34], v[10:11]
	global_load_dwordx4 v[8:11], v[42:43], off
	v_add_co_u32_e32 v33, vcc, s12, v47
	v_addc_co_u32_e32 v34, vcc, v19, v48, vcc
	v_fma_f64 v[47:48], v[25:26], v[35:36], v[21:22]
	v_add_co_u32_e32 v25, vcc, s14, v49
	v_addc_co_u32_e32 v26, vcc, v20, v50, vcc
	v_fma_f64 v[35:36], v[27:28], v[35:36], v[23:24]
	global_load_dwordx4 v[21:24], v[33:34], off
	v_lshlrev_b64 v[42:43], 3, v[14:15]
	global_load_dwordx4 v[25:28], v[25:26], off
	v_add_co_u32_e32 v42, vcc, s12, v42
	v_addc_co_u32_e32 v43, vcc, v19, v43, vcc
	s_waitcnt vmcnt(3)
	v_fma_f64 v[47:48], v[29:30], v[37:38], v[47:48]
	v_fma_f64 v[35:36], v[31:32], v[37:38], v[35:36]
	global_load_dwordx4 v[29:32], v[42:43], off
	v_add_u32_e32 v14, -6, v12
	v_lshlrev_b64 v[33:34], 3, v[14:15]
	v_add_u32_e32 v14, 6, v41
	v_lshlrev_b64 v[49:50], 3, v[14:15]
	v_add_co_u32_e32 v33, vcc, s12, v33
	v_addc_co_u32_e32 v34, vcc, v19, v34, vcc
	v_add_u32_e32 v14, -4, v12
	v_lshlrev_b64 v[37:38], 3, v[14:15]
	v_add_u32_e32 v14, -2, v12
	v_add_u32_e32 v12, 0x50, v12
	s_waitcnt vmcnt(3)
	v_fma_f64 v[42:43], v[8:9], v[39:40], v[47:48]
	v_fma_f64 v[47:48], v[10:11], v[39:40], v[35:36]
	global_load_dwordx4 v[8:11], v[33:34], off
	v_add_co_u32_e32 v33, vcc, s14, v49
	v_addc_co_u32_e32 v34, vcc, v20, v50, vcc
	global_load_dwordx4 v[33:36], v[33:34], off
	v_lshlrev_b64 v[39:40], 3, v[14:15]
	v_add_co_u32_e32 v37, vcc, s12, v37
	v_addc_co_u32_e32 v38, vcc, v19, v38, vcc
	v_add_co_u32_e32 v49, vcc, s12, v39
	v_addc_co_u32_e32 v50, vcc, v19, v40, vcc
	global_load_dwordx4 v[37:40], v[37:38], off
	v_add_u32_e32 v14, 8, v41
	v_lshlrev_b64 v[13:14], 3, v[14:15]
	s_waitcnt vmcnt(4)
	v_fma_f64 v[51:52], v[21:22], v[25:26], v[42:43]
	v_add_co_u32_e32 v13, vcc, s14, v13
	v_addc_co_u32_e32 v14, vcc, v20, v14, vcc
	v_fma_f64 v[25:26], v[23:24], v[25:26], v[47:48]
	global_load_dwordx4 v[21:24], v[49:50], off
	global_load_dwordx4 v[41:44], v[13:14], off
	s_waitcnt vmcnt(5)
	v_fma_f64 v[13:14], v[29:30], v[27:28], v[51:52]
	v_cmp_ge_i32_e32 vcc, v16, v18
	s_or_b64 s[8:9], vcc, s[8:9]
	v_fma_f64 v[29:30], v[31:32], v[27:28], v[25:26]
	global_load_dwordx4 v[25:28], v[45:46], off
	s_waitcnt vmcnt(4)
	v_fma_f64 v[8:9], v[8:9], v[33:34], v[13:14]
	v_fma_f64 v[10:11], v[10:11], v[33:34], v[29:30]
	s_waitcnt vmcnt(3)
	v_fma_f64 v[8:9], v[37:38], v[35:36], v[8:9]
	v_fma_f64 v[10:11], v[39:40], v[35:36], v[10:11]
	;; [unrolled: 3-line block ×4, first 2 shown]
	s_andn2_b64 exec, exec, s[8:9]
	s_cbranch_execnz .LBB116_9
; %bb.10:
	s_or_b64 exec, exec, s[8:9]
.LBB116_11:
	s_or_b64 exec, exec, s[6:7]
	s_cbranch_execz .LBB116_13
	s_branch .LBB116_18
.LBB116_12:
                                        ; implicit-def: $vgpr8_vgpr9
                                        ; implicit-def: $vgpr10_vgpr11
.LBB116_13:
	v_mov_b32_e32 v8, 0
	v_mov_b32_e32 v10, 0
	v_mov_b32_e32 v9, 0
	v_mov_b32_e32 v11, 0
	s_and_saveexec_b64 s[6:7], s[0:1]
	s_cbranch_execz .LBB116_17
; %bb.14:
	v_mad_u64_u32 v[12:13], s[0:1], v6, 20, 19
	v_mov_b32_e32 v8, 0
	v_mov_b32_e32 v10, 0
	;; [unrolled: 1-line block ×3, first 2 shown]
	s_mov_b64 s[0:1], 0
	v_mov_b32_e32 v16, s11
	v_mov_b32_e32 v15, 0
	;; [unrolled: 1-line block ×5, first 2 shown]
.LBB116_15:                             ; =>This Inner Loop Header: Depth=1
	v_ashrrev_i32_e32 v7, 31, v6
	v_lshlrev_b64 v[22:23], 2, v[6:7]
	v_subrev_u32_e32 v14, 19, v12
	v_lshlrev_b64 v[24:25], 3, v[14:15]
	v_add_co_u32_e32 v28, vcc, s10, v22
	v_addc_co_u32_e32 v29, vcc, v16, v23, vcc
	v_add_u32_e32 v20, -9, v12
	v_mov_b32_e32 v21, v15
	v_add_co_u32_e32 v30, vcc, s12, v24
	v_lshlrev_b64 v[34:35], 3, v[20:21]
	v_addc_co_u32_e32 v31, vcc, v17, v25, vcc
	global_load_dword v7, v[28:29], off
	global_load_dwordx4 v[20:23], v[30:31], off
	global_load_dwordx4 v[24:27], v[30:31], off offset:16
	v_mov_b32_e32 v33, v15
	v_mov_b32_e32 v13, v15
	v_lshlrev_b64 v[36:37], 3, v[12:13]
	v_add_u32_e32 v14, -8, v12
	v_add_u32_e32 v6, 4, v6
	s_waitcnt vmcnt(2)
	v_subrev_u32_e32 v7, s2, v7
	v_mul_lo_u32 v32, v7, 10
	v_lshlrev_b64 v[28:29], 3, v[32:33]
	v_add_co_u32_e32 v28, vcc, s14, v28
	v_addc_co_u32_e32 v29, vcc, v19, v29, vcc
	global_load_dwordx4 v[28:31], v[28:29], off
	s_waitcnt vmcnt(0)
	v_fma_f64 v[7:8], v[20:21], v[28:29], v[8:9]
	v_fma_f64 v[20:21], v[22:23], v[30:31], v[7:8]
	v_add_co_u32_e32 v22, vcc, s12, v34
	v_addc_co_u32_e32 v23, vcc, v17, v35, vcc
	v_lshlrev_b64 v[7:8], 3, v[14:15]
	v_add_co_u32_e32 v33, vcc, s12, v36
	v_addc_co_u32_e32 v34, vcc, v17, v37, vcc
	v_add_co_u32_e32 v7, vcc, s12, v7
	v_addc_co_u32_e32 v8, vcc, v17, v8, vcc
	global_load_dwordx2 v[37:38], v[22:23], off
	global_load_dwordx2 v[39:40], v[7:8], off
	v_add_u32_e32 v14, 2, v32
	v_lshlrev_b64 v[13:14], 3, v[14:15]
	v_add_co_u32_e32 v35, vcc, s14, v13
	v_addc_co_u32_e32 v36, vcc, v19, v14, vcc
	v_add_u32_e32 v14, -7, v12
	v_lshlrev_b64 v[22:23], 3, v[14:15]
	v_add_u32_e32 v14, -6, v12
	v_add_co_u32_e32 v22, vcc, s12, v22
	v_addc_co_u32_e32 v23, vcc, v17, v23, vcc
	s_waitcnt vmcnt(1)
	v_fma_f64 v[7:8], v[37:38], v[28:29], v[10:11]
	s_waitcnt vmcnt(0)
	v_fma_f64 v[28:29], v[39:40], v[30:31], v[7:8]
	global_load_dwordx4 v[7:10], v[35:36], off
	v_lshlrev_b64 v[30:31], 3, v[14:15]
	v_add_u32_e32 v14, -15, v12
	v_add_co_u32_e32 v30, vcc, s12, v30
	v_addc_co_u32_e32 v31, vcc, v17, v31, vcc
	global_load_dwordx2 v[37:38], v[22:23], off
	global_load_dwordx2 v[39:40], v[30:31], off
	v_lshlrev_b64 v[35:36], 3, v[14:15]
	v_add_u32_e32 v14, 4, v32
	s_waitcnt vmcnt(2)
	v_fma_f64 v[20:21], v[24:25], v[7:8], v[20:21]
	v_lshlrev_b64 v[24:25], 3, v[14:15]
	v_add_u32_e32 v14, -5, v12
	v_lshlrev_b64 v[13:14], 3, v[14:15]
	s_waitcnt vmcnt(1)
	v_fma_f64 v[7:8], v[37:38], v[7:8], v[28:29]
	v_fma_f64 v[20:21], v[26:27], v[9:10], v[20:21]
	v_add_co_u32_e32 v26, vcc, s12, v35
	v_addc_co_u32_e32 v27, vcc, v17, v36, vcc
	v_add_co_u32_e32 v24, vcc, s14, v24
	v_addc_co_u32_e32 v25, vcc, v19, v25, vcc
	v_add_co_u32_e32 v35, vcc, s12, v13
	v_addc_co_u32_e32 v36, vcc, v17, v14, vcc
	v_add_u32_e32 v14, -14, v12
	global_load_dwordx2 v[22:23], v[26:27], off
	v_lshlrev_b64 v[26:27], 3, v[14:15]
	v_add_u32_e32 v14, -4, v12
	s_waitcnt vmcnt(1)
	v_fma_f64 v[28:29], v[39:40], v[9:10], v[7:8]
	v_lshlrev_b64 v[7:8], 3, v[14:15]
	v_add_co_u32_e32 v26, vcc, s12, v26
	v_add_u32_e32 v14, -13, v12
	v_addc_co_u32_e32 v27, vcc, v17, v27, vcc
	v_lshlrev_b64 v[9:10], 3, v[14:15]
	v_add_co_u32_e32 v30, vcc, s12, v7
	v_add_u32_e32 v14, 6, v32
	v_addc_co_u32_e32 v31, vcc, v17, v8, vcc
	v_add_co_u32_e32 v37, vcc, s12, v9
	v_lshlrev_b64 v[7:8], 3, v[14:15]
	v_addc_co_u32_e32 v38, vcc, v17, v10, vcc
	v_add_co_u32_e32 v39, vcc, s14, v7
	v_add_u32_e32 v14, -3, v12
	v_addc_co_u32_e32 v40, vcc, v19, v8, vcc
	v_lshlrev_b64 v[7:8], 3, v[14:15]
	v_add_co_u32_e32 v41, vcc, s12, v7
	v_addc_co_u32_e32 v42, vcc, v17, v8, vcc
	global_load_dwordx4 v[7:10], v[24:25], off
	s_waitcnt vmcnt(0)
	v_fma_f64 v[20:21], v[22:23], v[7:8], v[20:21]
	global_load_dwordx2 v[13:14], v[35:36], off
	global_load_dwordx2 v[22:23], v[26:27], off
	;; [unrolled: 1-line block ×4, first 2 shown]
	s_waitcnt vmcnt(3)
	v_fma_f64 v[7:8], v[13:14], v[7:8], v[28:29]
	v_add_u32_e32 v14, -12, v12
	s_waitcnt vmcnt(2)
	v_fma_f64 v[20:21], v[22:23], v[9:10], v[20:21]
	v_lshlrev_b64 v[22:23], 3, v[14:15]
	v_add_u32_e32 v14, -2, v12
	v_add_co_u32_e32 v22, vcc, s12, v22
	v_addc_co_u32_e32 v23, vcc, v17, v23, vcc
	s_waitcnt vmcnt(1)
	v_fma_f64 v[24:25], v[24:25], v[9:10], v[7:8]
	v_lshlrev_b64 v[7:8], 3, v[14:15]
	v_add_u32_e32 v14, -11, v12
	v_lshlrev_b64 v[9:10], 3, v[14:15]
	v_add_co_u32_e32 v26, vcc, s12, v7
	v_add_u32_e32 v14, 8, v32
	v_addc_co_u32_e32 v27, vcc, v17, v8, vcc
	v_lshlrev_b64 v[7:8], 3, v[14:15]
	v_add_co_u32_e32 v28, vcc, s12, v9
	v_addc_co_u32_e32 v29, vcc, v17, v10, vcc
	v_add_u32_e32 v14, -1, v12
	v_add_co_u32_e32 v30, vcc, s14, v7
	v_addc_co_u32_e32 v31, vcc, v19, v8, vcc
	v_lshlrev_b64 v[7:8], 3, v[14:15]
	v_add_u32_e32 v14, -10, v12
	v_add_co_u32_e32 v35, vcc, s12, v7
	v_addc_co_u32_e32 v36, vcc, v17, v8, vcc
	v_lshlrev_b64 v[7:8], 3, v[14:15]
	v_add_u32_e32 v12, 0x50, v12
	v_add_co_u32_e32 v13, vcc, s12, v7
	v_addc_co_u32_e32 v14, vcc, v17, v8, vcc
	global_load_dwordx4 v[7:10], v[39:40], off
	v_cmp_ge_i32_e32 vcc, v6, v18
	s_or_b64 s[0:1], vcc, s[0:1]
	s_waitcnt vmcnt(0)
	v_fma_f64 v[20:21], v[43:44], v[7:8], v[20:21]
	global_load_dwordx2 v[37:38], v[41:42], off
	global_load_dwordx2 v[39:40], v[22:23], off
	global_load_dwordx2 v[43:44], v[26:27], off
	global_load_dwordx2 v[45:46], v[28:29], off
	s_waitcnt vmcnt(3)
	v_fma_f64 v[7:8], v[37:38], v[7:8], v[24:25]
	s_waitcnt vmcnt(2)
	v_fma_f64 v[24:25], v[39:40], v[9:10], v[20:21]
	global_load_dwordx4 v[20:23], v[30:31], off
	global_load_dwordx2 v[26:27], v[35:36], off
	global_load_dwordx2 v[28:29], v[13:14], off
	;; [unrolled: 1-line block ×3, first 2 shown]
	s_waitcnt vmcnt(5)
	v_fma_f64 v[7:8], v[43:44], v[9:10], v[7:8]
	s_waitcnt vmcnt(3)
	v_fma_f64 v[9:10], v[45:46], v[20:21], v[24:25]
	;; [unrolled: 2-line block ×5, first 2 shown]
	s_andn2_b64 exec, exec, s[0:1]
	s_cbranch_execnz .LBB116_15
; %bb.16:
	s_or_b64 exec, exec, s[0:1]
.LBB116_17:
	s_or_b64 exec, exec, s[6:7]
.LBB116_18:
	v_mov_b32_dpp v6, v8 row_shr:1 row_mask:0xf bank_mask:0xf
	v_mov_b32_dpp v7, v9 row_shr:1 row_mask:0xf bank_mask:0xf
	v_add_f64 v[6:7], v[8:9], v[6:7]
	v_mov_b32_dpp v8, v10 row_shr:1 row_mask:0xf bank_mask:0xf
	v_mov_b32_dpp v9, v11 row_shr:1 row_mask:0xf bank_mask:0xf
	v_add_f64 v[10:11], v[10:11], v[8:9]
	v_cmp_eq_u32_e32 vcc, 3, v0
	v_mov_b32_dpp v8, v6 row_shr:2 row_mask:0xf bank_mask:0xf
	v_mov_b32_dpp v9, v7 row_shr:2 row_mask:0xf bank_mask:0xf
	;; [unrolled: 1-line block ×4, first 2 shown]
	s_and_b64 exec, exec, vcc
	s_cbranch_execz .LBB116_23
; %bb.19:
	v_add_f64 v[8:9], v[6:7], v[8:9]
	v_add_f64 v[6:7], v[10:11], v[12:13]
	v_cmp_eq_f64_e32 vcc, 0, v[3:4]
	s_load_dwordx2 s[0:1], s[4:5], 0x38
	s_and_saveexec_b64 s[2:3], vcc
	s_xor_b64 s[2:3], exec, s[2:3]
	s_cbranch_execz .LBB116_21
; %bb.20:
	v_mul_f64 v[3:4], v[1:2], v[8:9]
	v_lshlrev_b32_e32 v0, 1, v5
	v_mul_f64 v[5:6], v[1:2], v[6:7]
	v_ashrrev_i32_e32 v1, 31, v0
	v_lshlrev_b64 v[0:1], 3, v[0:1]
	s_waitcnt lgkmcnt(0)
	v_mov_b32_e32 v2, s1
	v_add_co_u32_e32 v0, vcc, s0, v0
	v_addc_co_u32_e32 v1, vcc, v2, v1, vcc
	global_store_dwordx4 v[0:1], v[3:6], off
                                        ; implicit-def: $vgpr5
                                        ; implicit-def: $vgpr1_vgpr2
                                        ; implicit-def: $vgpr8_vgpr9
                                        ; implicit-def: $vgpr3_vgpr4
                                        ; implicit-def: $vgpr6_vgpr7
.LBB116_21:
	s_andn2_saveexec_b64 s[2:3], s[2:3]
	s_cbranch_execz .LBB116_23
; %bb.22:
	v_lshlrev_b32_e32 v10, 1, v5
	v_ashrrev_i32_e32 v11, 31, v10
	v_lshlrev_b64 v[10:11], 3, v[10:11]
	s_waitcnt lgkmcnt(0)
	v_mov_b32_e32 v0, s1
	v_add_co_u32_e32 v14, vcc, s0, v10
	v_addc_co_u32_e32 v15, vcc, v0, v11, vcc
	global_load_dwordx4 v[10:13], v[14:15], off
	v_mul_f64 v[8:9], v[1:2], v[8:9]
	v_mul_f64 v[5:6], v[1:2], v[6:7]
	s_waitcnt vmcnt(0)
	v_fma_f64 v[0:1], v[3:4], v[10:11], v[8:9]
	v_fma_f64 v[2:3], v[3:4], v[12:13], v[5:6]
	global_store_dwordx4 v[14:15], v[0:3], off
.LBB116_23:
	s_endpgm
	.section	.rodata,"a",@progbits
	.p2align	6, 0x0
	.amdhsa_kernel _ZN9rocsparseL19gebsrmvn_2xn_kernelILj128ELj10ELj4EdEEvi20rocsparse_direction_NS_24const_host_device_scalarIT2_EEPKiS6_PKS3_S8_S4_PS3_21rocsparse_index_base_b
		.amdhsa_group_segment_fixed_size 0
		.amdhsa_private_segment_fixed_size 0
		.amdhsa_kernarg_size 72
		.amdhsa_user_sgpr_count 6
		.amdhsa_user_sgpr_private_segment_buffer 1
		.amdhsa_user_sgpr_dispatch_ptr 0
		.amdhsa_user_sgpr_queue_ptr 0
		.amdhsa_user_sgpr_kernarg_segment_ptr 1
		.amdhsa_user_sgpr_dispatch_id 0
		.amdhsa_user_sgpr_flat_scratch_init 0
		.amdhsa_user_sgpr_private_segment_size 0
		.amdhsa_uses_dynamic_stack 0
		.amdhsa_system_sgpr_private_segment_wavefront_offset 0
		.amdhsa_system_sgpr_workgroup_id_x 1
		.amdhsa_system_sgpr_workgroup_id_y 0
		.amdhsa_system_sgpr_workgroup_id_z 0
		.amdhsa_system_sgpr_workgroup_info 0
		.amdhsa_system_vgpr_workitem_id 0
		.amdhsa_next_free_vgpr 53
		.amdhsa_next_free_sgpr 16
		.amdhsa_reserve_vcc 1
		.amdhsa_reserve_flat_scratch 0
		.amdhsa_float_round_mode_32 0
		.amdhsa_float_round_mode_16_64 0
		.amdhsa_float_denorm_mode_32 3
		.amdhsa_float_denorm_mode_16_64 3
		.amdhsa_dx10_clamp 1
		.amdhsa_ieee_mode 1
		.amdhsa_fp16_overflow 0
		.amdhsa_exception_fp_ieee_invalid_op 0
		.amdhsa_exception_fp_denorm_src 0
		.amdhsa_exception_fp_ieee_div_zero 0
		.amdhsa_exception_fp_ieee_overflow 0
		.amdhsa_exception_fp_ieee_underflow 0
		.amdhsa_exception_fp_ieee_inexact 0
		.amdhsa_exception_int_div_zero 0
	.end_amdhsa_kernel
	.section	.text._ZN9rocsparseL19gebsrmvn_2xn_kernelILj128ELj10ELj4EdEEvi20rocsparse_direction_NS_24const_host_device_scalarIT2_EEPKiS6_PKS3_S8_S4_PS3_21rocsparse_index_base_b,"axG",@progbits,_ZN9rocsparseL19gebsrmvn_2xn_kernelILj128ELj10ELj4EdEEvi20rocsparse_direction_NS_24const_host_device_scalarIT2_EEPKiS6_PKS3_S8_S4_PS3_21rocsparse_index_base_b,comdat
.Lfunc_end116:
	.size	_ZN9rocsparseL19gebsrmvn_2xn_kernelILj128ELj10ELj4EdEEvi20rocsparse_direction_NS_24const_host_device_scalarIT2_EEPKiS6_PKS3_S8_S4_PS3_21rocsparse_index_base_b, .Lfunc_end116-_ZN9rocsparseL19gebsrmvn_2xn_kernelILj128ELj10ELj4EdEEvi20rocsparse_direction_NS_24const_host_device_scalarIT2_EEPKiS6_PKS3_S8_S4_PS3_21rocsparse_index_base_b
                                        ; -- End function
	.set _ZN9rocsparseL19gebsrmvn_2xn_kernelILj128ELj10ELj4EdEEvi20rocsparse_direction_NS_24const_host_device_scalarIT2_EEPKiS6_PKS3_S8_S4_PS3_21rocsparse_index_base_b.num_vgpr, 53
	.set _ZN9rocsparseL19gebsrmvn_2xn_kernelILj128ELj10ELj4EdEEvi20rocsparse_direction_NS_24const_host_device_scalarIT2_EEPKiS6_PKS3_S8_S4_PS3_21rocsparse_index_base_b.num_agpr, 0
	.set _ZN9rocsparseL19gebsrmvn_2xn_kernelILj128ELj10ELj4EdEEvi20rocsparse_direction_NS_24const_host_device_scalarIT2_EEPKiS6_PKS3_S8_S4_PS3_21rocsparse_index_base_b.numbered_sgpr, 16
	.set _ZN9rocsparseL19gebsrmvn_2xn_kernelILj128ELj10ELj4EdEEvi20rocsparse_direction_NS_24const_host_device_scalarIT2_EEPKiS6_PKS3_S8_S4_PS3_21rocsparse_index_base_b.num_named_barrier, 0
	.set _ZN9rocsparseL19gebsrmvn_2xn_kernelILj128ELj10ELj4EdEEvi20rocsparse_direction_NS_24const_host_device_scalarIT2_EEPKiS6_PKS3_S8_S4_PS3_21rocsparse_index_base_b.private_seg_size, 0
	.set _ZN9rocsparseL19gebsrmvn_2xn_kernelILj128ELj10ELj4EdEEvi20rocsparse_direction_NS_24const_host_device_scalarIT2_EEPKiS6_PKS3_S8_S4_PS3_21rocsparse_index_base_b.uses_vcc, 1
	.set _ZN9rocsparseL19gebsrmvn_2xn_kernelILj128ELj10ELj4EdEEvi20rocsparse_direction_NS_24const_host_device_scalarIT2_EEPKiS6_PKS3_S8_S4_PS3_21rocsparse_index_base_b.uses_flat_scratch, 0
	.set _ZN9rocsparseL19gebsrmvn_2xn_kernelILj128ELj10ELj4EdEEvi20rocsparse_direction_NS_24const_host_device_scalarIT2_EEPKiS6_PKS3_S8_S4_PS3_21rocsparse_index_base_b.has_dyn_sized_stack, 0
	.set _ZN9rocsparseL19gebsrmvn_2xn_kernelILj128ELj10ELj4EdEEvi20rocsparse_direction_NS_24const_host_device_scalarIT2_EEPKiS6_PKS3_S8_S4_PS3_21rocsparse_index_base_b.has_recursion, 0
	.set _ZN9rocsparseL19gebsrmvn_2xn_kernelILj128ELj10ELj4EdEEvi20rocsparse_direction_NS_24const_host_device_scalarIT2_EEPKiS6_PKS3_S8_S4_PS3_21rocsparse_index_base_b.has_indirect_call, 0
	.section	.AMDGPU.csdata,"",@progbits
; Kernel info:
; codeLenInByte = 2296
; TotalNumSgprs: 20
; NumVgprs: 53
; ScratchSize: 0
; MemoryBound: 0
; FloatMode: 240
; IeeeMode: 1
; LDSByteSize: 0 bytes/workgroup (compile time only)
; SGPRBlocks: 2
; VGPRBlocks: 13
; NumSGPRsForWavesPerEU: 20
; NumVGPRsForWavesPerEU: 53
; Occupancy: 4
; WaveLimiterHint : 1
; COMPUTE_PGM_RSRC2:SCRATCH_EN: 0
; COMPUTE_PGM_RSRC2:USER_SGPR: 6
; COMPUTE_PGM_RSRC2:TRAP_HANDLER: 0
; COMPUTE_PGM_RSRC2:TGID_X_EN: 1
; COMPUTE_PGM_RSRC2:TGID_Y_EN: 0
; COMPUTE_PGM_RSRC2:TGID_Z_EN: 0
; COMPUTE_PGM_RSRC2:TIDIG_COMP_CNT: 0
	.section	.text._ZN9rocsparseL19gebsrmvn_2xn_kernelILj128ELj10ELj8EdEEvi20rocsparse_direction_NS_24const_host_device_scalarIT2_EEPKiS6_PKS3_S8_S4_PS3_21rocsparse_index_base_b,"axG",@progbits,_ZN9rocsparseL19gebsrmvn_2xn_kernelILj128ELj10ELj8EdEEvi20rocsparse_direction_NS_24const_host_device_scalarIT2_EEPKiS6_PKS3_S8_S4_PS3_21rocsparse_index_base_b,comdat
	.globl	_ZN9rocsparseL19gebsrmvn_2xn_kernelILj128ELj10ELj8EdEEvi20rocsparse_direction_NS_24const_host_device_scalarIT2_EEPKiS6_PKS3_S8_S4_PS3_21rocsparse_index_base_b ; -- Begin function _ZN9rocsparseL19gebsrmvn_2xn_kernelILj128ELj10ELj8EdEEvi20rocsparse_direction_NS_24const_host_device_scalarIT2_EEPKiS6_PKS3_S8_S4_PS3_21rocsparse_index_base_b
	.p2align	8
	.type	_ZN9rocsparseL19gebsrmvn_2xn_kernelILj128ELj10ELj8EdEEvi20rocsparse_direction_NS_24const_host_device_scalarIT2_EEPKiS6_PKS3_S8_S4_PS3_21rocsparse_index_base_b,@function
_ZN9rocsparseL19gebsrmvn_2xn_kernelILj128ELj10ELj8EdEEvi20rocsparse_direction_NS_24const_host_device_scalarIT2_EEPKiS6_PKS3_S8_S4_PS3_21rocsparse_index_base_b: ; @_ZN9rocsparseL19gebsrmvn_2xn_kernelILj128ELj10ELj8EdEEvi20rocsparse_direction_NS_24const_host_device_scalarIT2_EEPKiS6_PKS3_S8_S4_PS3_21rocsparse_index_base_b
; %bb.0:
	s_load_dwordx2 s[2:3], s[4:5], 0x40
	s_load_dwordx2 s[10:11], s[4:5], 0x8
	;; [unrolled: 1-line block ×3, first 2 shown]
	s_waitcnt lgkmcnt(0)
	s_bitcmp1_b32 s3, 0
	s_cselect_b64 s[12:13], -1, 0
	v_mov_b32_e32 v1, s10
	s_xor_b64 s[8:9], s[12:13], -1
	s_and_b64 vcc, exec, s[12:13]
	v_mov_b32_e32 v2, s11
	s_cbranch_vccnz .LBB117_2
; %bb.1:
	v_mov_b32_e32 v1, s10
	v_mov_b32_e32 v2, s11
	flat_load_dwordx2 v[1:2], v[1:2]
.LBB117_2:
	v_mov_b32_e32 v4, s1
	s_andn2_b64 vcc, exec, s[8:9]
	v_mov_b32_e32 v3, s0
	s_cbranch_vccnz .LBB117_4
; %bb.3:
	v_mov_b32_e32 v4, s1
	v_mov_b32_e32 v3, s0
	flat_load_dwordx2 v[3:4], v[3:4]
.LBB117_4:
	s_waitcnt vmcnt(0) lgkmcnt(0)
	v_cmp_neq_f64_e32 vcc, 0, v[1:2]
	v_cmp_neq_f64_e64 s[0:1], 1.0, v[3:4]
	s_or_b64 s[0:1], vcc, s[0:1]
	s_and_saveexec_b64 s[8:9], s[0:1]
	s_cbranch_execz .LBB117_23
; %bb.5:
	s_load_dwordx2 s[0:1], s[4:5], 0x0
	v_lshrrev_b32_e32 v5, 3, v0
	v_lshl_or_b32 v5, s6, 4, v5
	s_waitcnt lgkmcnt(0)
	v_cmp_gt_i32_e32 vcc, s0, v5
	s_and_b64 exec, exec, vcc
	s_cbranch_execz .LBB117_23
; %bb.6:
	s_load_dwordx8 s[8:15], s[4:5], 0x10
	v_ashrrev_i32_e32 v6, 31, v5
	v_lshlrev_b64 v[6:7], 2, v[5:6]
	v_and_b32_e32 v0, 7, v0
	s_cmp_lg_u32 s1, 0
	s_waitcnt lgkmcnt(0)
	v_mov_b32_e32 v8, s9
	v_add_co_u32_e32 v6, vcc, s8, v6
	v_addc_co_u32_e32 v7, vcc, v8, v7, vcc
	global_load_dwordx2 v[6:7], v[6:7], off
	s_waitcnt vmcnt(0)
	v_subrev_u32_e32 v6, s2, v6
	v_subrev_u32_e32 v18, s2, v7
	v_add_u32_e32 v6, v6, v0
	v_cmp_lt_i32_e64 s[0:1], v6, v18
	s_cbranch_scc0 .LBB117_12
; %bb.7:
	v_mov_b32_e32 v10, 0
	v_mov_b32_e32 v8, 0
	;; [unrolled: 1-line block ×4, first 2 shown]
	s_and_saveexec_b64 s[6:7], s[0:1]
	s_cbranch_execz .LBB117_11
; %bb.8:
	v_mad_u64_u32 v[12:13], s[8:9], v6, 20, 18
	v_mov_b32_e32 v10, 0
	v_mov_b32_e32 v8, 0
	;; [unrolled: 1-line block ×3, first 2 shown]
	s_mov_b64 s[8:9], 0
	v_mov_b32_e32 v7, s11
	v_mov_b32_e32 v15, 0
	;; [unrolled: 1-line block ×6, first 2 shown]
.LBB117_9:                              ; =>This Inner Loop Header: Depth=1
	v_ashrrev_i32_e32 v17, 31, v16
	v_lshlrev_b64 v[21:22], 2, v[16:17]
	v_subrev_u32_e32 v14, 18, v12
	v_lshlrev_b64 v[23:24], 3, v[14:15]
	v_add_co_u32_e32 v29, vcc, s10, v21
	v_mov_b32_e32 v13, v15
	v_addc_co_u32_e32 v30, vcc, v7, v22, vcc
	v_lshlrev_b64 v[25:26], 3, v[12:13]
	v_add_co_u32_e32 v31, vcc, s12, v23
	v_addc_co_u32_e32 v32, vcc, v19, v24, vcc
	v_add_co_u32_e32 v45, vcc, s12, v25
	v_addc_co_u32_e32 v46, vcc, v19, v26, vcc
	global_load_dword v17, v[29:30], off
	global_load_dwordx4 v[21:24], v[31:32], off
	global_load_dwordx4 v[25:28], v[31:32], off offset:16
	v_add_u32_e32 v14, -14, v12
	v_lshlrev_b64 v[13:14], 3, v[14:15]
	v_mov_b32_e32 v42, v15
	v_add_co_u32_e32 v13, vcc, s12, v13
	v_addc_co_u32_e32 v14, vcc, v19, v14, vcc
	global_load_dwordx4 v[29:32], v[13:14], off
	v_add_u32_e32 v16, 8, v16
	s_waitcnt vmcnt(3)
	v_subrev_u32_e32 v13, s2, v17
	v_mul_lo_u32 v41, v13, 10
	v_lshlrev_b64 v[33:34], 3, v[41:42]
	v_add_u32_e32 v14, 2, v41
	v_add_co_u32_e32 v33, vcc, s14, v33
	v_addc_co_u32_e32 v34, vcc, v20, v34, vcc
	global_load_dwordx4 v[33:36], v[33:34], off
	v_lshlrev_b64 v[37:38], 3, v[14:15]
	v_add_u32_e32 v14, -12, v12
	v_add_co_u32_e32 v37, vcc, s14, v37
	v_addc_co_u32_e32 v38, vcc, v20, v38, vcc
	global_load_dwordx4 v[37:40], v[37:38], off
	v_lshlrev_b64 v[42:43], 3, v[14:15]
	v_add_u32_e32 v14, -10, v12
	v_add_co_u32_e32 v42, vcc, s12, v42
	v_addc_co_u32_e32 v43, vcc, v19, v43, vcc
	v_lshlrev_b64 v[47:48], 3, v[14:15]
	v_add_u32_e32 v14, 4, v41
	v_lshlrev_b64 v[49:50], 3, v[14:15]
	v_add_u32_e32 v14, -8, v12
	s_waitcnt vmcnt(1)
	v_fma_f64 v[21:22], v[21:22], v[33:34], v[10:11]
	v_fma_f64 v[23:24], v[23:24], v[33:34], v[8:9]
	global_load_dwordx4 v[8:11], v[42:43], off
	v_add_co_u32_e32 v33, vcc, s12, v47
	v_addc_co_u32_e32 v34, vcc, v19, v48, vcc
	v_fma_f64 v[47:48], v[25:26], v[35:36], v[21:22]
	v_add_co_u32_e32 v25, vcc, s14, v49
	v_addc_co_u32_e32 v26, vcc, v20, v50, vcc
	v_fma_f64 v[35:36], v[27:28], v[35:36], v[23:24]
	global_load_dwordx4 v[21:24], v[33:34], off
	v_lshlrev_b64 v[42:43], 3, v[14:15]
	global_load_dwordx4 v[25:28], v[25:26], off
	v_add_co_u32_e32 v42, vcc, s12, v42
	v_addc_co_u32_e32 v43, vcc, v19, v43, vcc
	s_waitcnt vmcnt(3)
	v_fma_f64 v[47:48], v[29:30], v[37:38], v[47:48]
	v_fma_f64 v[35:36], v[31:32], v[37:38], v[35:36]
	global_load_dwordx4 v[29:32], v[42:43], off
	v_add_u32_e32 v14, -6, v12
	v_lshlrev_b64 v[33:34], 3, v[14:15]
	v_add_u32_e32 v14, 6, v41
	v_lshlrev_b64 v[49:50], 3, v[14:15]
	v_add_co_u32_e32 v33, vcc, s12, v33
	v_addc_co_u32_e32 v34, vcc, v19, v34, vcc
	v_add_u32_e32 v14, -4, v12
	v_lshlrev_b64 v[37:38], 3, v[14:15]
	v_add_u32_e32 v14, -2, v12
	v_add_u32_e32 v12, 0xa0, v12
	s_waitcnt vmcnt(3)
	v_fma_f64 v[42:43], v[8:9], v[39:40], v[47:48]
	v_fma_f64 v[47:48], v[10:11], v[39:40], v[35:36]
	global_load_dwordx4 v[8:11], v[33:34], off
	v_add_co_u32_e32 v33, vcc, s14, v49
	v_addc_co_u32_e32 v34, vcc, v20, v50, vcc
	global_load_dwordx4 v[33:36], v[33:34], off
	v_lshlrev_b64 v[39:40], 3, v[14:15]
	v_add_co_u32_e32 v37, vcc, s12, v37
	v_addc_co_u32_e32 v38, vcc, v19, v38, vcc
	v_add_co_u32_e32 v49, vcc, s12, v39
	v_addc_co_u32_e32 v50, vcc, v19, v40, vcc
	global_load_dwordx4 v[37:40], v[37:38], off
	v_add_u32_e32 v14, 8, v41
	v_lshlrev_b64 v[13:14], 3, v[14:15]
	s_waitcnt vmcnt(4)
	v_fma_f64 v[51:52], v[21:22], v[25:26], v[42:43]
	v_add_co_u32_e32 v13, vcc, s14, v13
	v_addc_co_u32_e32 v14, vcc, v20, v14, vcc
	v_fma_f64 v[25:26], v[23:24], v[25:26], v[47:48]
	global_load_dwordx4 v[21:24], v[49:50], off
	global_load_dwordx4 v[41:44], v[13:14], off
	s_waitcnt vmcnt(5)
	v_fma_f64 v[13:14], v[29:30], v[27:28], v[51:52]
	v_cmp_ge_i32_e32 vcc, v16, v18
	s_or_b64 s[8:9], vcc, s[8:9]
	v_fma_f64 v[29:30], v[31:32], v[27:28], v[25:26]
	global_load_dwordx4 v[25:28], v[45:46], off
	s_waitcnt vmcnt(4)
	v_fma_f64 v[8:9], v[8:9], v[33:34], v[13:14]
	v_fma_f64 v[10:11], v[10:11], v[33:34], v[29:30]
	s_waitcnt vmcnt(3)
	v_fma_f64 v[8:9], v[37:38], v[35:36], v[8:9]
	v_fma_f64 v[10:11], v[39:40], v[35:36], v[10:11]
	;; [unrolled: 3-line block ×4, first 2 shown]
	s_andn2_b64 exec, exec, s[8:9]
	s_cbranch_execnz .LBB117_9
; %bb.10:
	s_or_b64 exec, exec, s[8:9]
.LBB117_11:
	s_or_b64 exec, exec, s[6:7]
	s_cbranch_execz .LBB117_13
	s_branch .LBB117_18
.LBB117_12:
                                        ; implicit-def: $vgpr10_vgpr11
                                        ; implicit-def: $vgpr8_vgpr9
.LBB117_13:
	v_mov_b32_e32 v10, 0
	v_mov_b32_e32 v8, 0
	;; [unrolled: 1-line block ×4, first 2 shown]
	s_and_saveexec_b64 s[6:7], s[0:1]
	s_cbranch_execz .LBB117_17
; %bb.14:
	v_mad_u64_u32 v[12:13], s[0:1], v6, 20, 19
	v_mov_b32_e32 v10, 0
	v_mov_b32_e32 v8, 0
	;; [unrolled: 1-line block ×3, first 2 shown]
	s_mov_b64 s[0:1], 0
	v_mov_b32_e32 v16, s11
	v_mov_b32_e32 v15, 0
	;; [unrolled: 1-line block ×5, first 2 shown]
.LBB117_15:                             ; =>This Inner Loop Header: Depth=1
	v_ashrrev_i32_e32 v7, 31, v6
	v_lshlrev_b64 v[22:23], 2, v[6:7]
	v_subrev_u32_e32 v14, 19, v12
	v_lshlrev_b64 v[24:25], 3, v[14:15]
	v_add_co_u32_e32 v28, vcc, s10, v22
	v_addc_co_u32_e32 v29, vcc, v16, v23, vcc
	v_add_u32_e32 v20, -9, v12
	v_mov_b32_e32 v21, v15
	v_add_co_u32_e32 v30, vcc, s12, v24
	v_lshlrev_b64 v[34:35], 3, v[20:21]
	v_addc_co_u32_e32 v31, vcc, v17, v25, vcc
	global_load_dword v7, v[28:29], off
	global_load_dwordx4 v[20:23], v[30:31], off
	global_load_dwordx4 v[24:27], v[30:31], off offset:16
	v_mov_b32_e32 v33, v15
	v_mov_b32_e32 v13, v15
	v_lshlrev_b64 v[36:37], 3, v[12:13]
	v_add_u32_e32 v14, -8, v12
	v_add_u32_e32 v6, 8, v6
	s_waitcnt vmcnt(2)
	v_subrev_u32_e32 v7, s2, v7
	v_mul_lo_u32 v32, v7, 10
	v_lshlrev_b64 v[28:29], 3, v[32:33]
	v_add_co_u32_e32 v28, vcc, s14, v28
	v_addc_co_u32_e32 v29, vcc, v19, v29, vcc
	global_load_dwordx4 v[28:31], v[28:29], off
	s_waitcnt vmcnt(0)
	v_fma_f64 v[10:11], v[20:21], v[28:29], v[10:11]
	v_fma_f64 v[20:21], v[22:23], v[30:31], v[10:11]
	v_add_co_u32_e32 v22, vcc, s12, v34
	v_addc_co_u32_e32 v23, vcc, v17, v35, vcc
	v_lshlrev_b64 v[10:11], 3, v[14:15]
	v_add_co_u32_e32 v33, vcc, s12, v36
	v_addc_co_u32_e32 v34, vcc, v17, v37, vcc
	v_add_co_u32_e32 v10, vcc, s12, v10
	v_addc_co_u32_e32 v11, vcc, v17, v11, vcc
	global_load_dwordx2 v[37:38], v[22:23], off
	global_load_dwordx2 v[39:40], v[10:11], off
	v_add_u32_e32 v14, 2, v32
	v_lshlrev_b64 v[13:14], 3, v[14:15]
	v_add_co_u32_e32 v35, vcc, s14, v13
	v_addc_co_u32_e32 v36, vcc, v19, v14, vcc
	v_add_u32_e32 v14, -7, v12
	v_lshlrev_b64 v[22:23], 3, v[14:15]
	v_add_u32_e32 v14, -6, v12
	v_add_co_u32_e32 v22, vcc, s12, v22
	v_addc_co_u32_e32 v23, vcc, v17, v23, vcc
	s_waitcnt vmcnt(1)
	v_fma_f64 v[7:8], v[37:38], v[28:29], v[8:9]
	s_waitcnt vmcnt(0)
	v_fma_f64 v[28:29], v[39:40], v[30:31], v[7:8]
	global_load_dwordx4 v[7:10], v[35:36], off
	v_lshlrev_b64 v[30:31], 3, v[14:15]
	v_add_u32_e32 v14, -15, v12
	v_add_co_u32_e32 v30, vcc, s12, v30
	v_addc_co_u32_e32 v31, vcc, v17, v31, vcc
	global_load_dwordx2 v[37:38], v[22:23], off
	global_load_dwordx2 v[39:40], v[30:31], off
	v_lshlrev_b64 v[35:36], 3, v[14:15]
	v_add_u32_e32 v14, 4, v32
	s_waitcnt vmcnt(2)
	v_fma_f64 v[20:21], v[24:25], v[7:8], v[20:21]
	v_lshlrev_b64 v[24:25], 3, v[14:15]
	v_add_u32_e32 v14, -5, v12
	v_lshlrev_b64 v[13:14], 3, v[14:15]
	s_waitcnt vmcnt(1)
	v_fma_f64 v[7:8], v[37:38], v[7:8], v[28:29]
	v_fma_f64 v[20:21], v[26:27], v[9:10], v[20:21]
	v_add_co_u32_e32 v26, vcc, s12, v35
	v_addc_co_u32_e32 v27, vcc, v17, v36, vcc
	v_add_co_u32_e32 v24, vcc, s14, v24
	v_addc_co_u32_e32 v25, vcc, v19, v25, vcc
	;; [unrolled: 2-line block ×3, first 2 shown]
	v_add_u32_e32 v14, -14, v12
	global_load_dwordx2 v[22:23], v[26:27], off
	v_lshlrev_b64 v[26:27], 3, v[14:15]
	v_add_u32_e32 v14, -4, v12
	s_waitcnt vmcnt(1)
	v_fma_f64 v[28:29], v[39:40], v[9:10], v[7:8]
	v_lshlrev_b64 v[7:8], 3, v[14:15]
	v_add_co_u32_e32 v26, vcc, s12, v26
	v_add_u32_e32 v14, -13, v12
	v_addc_co_u32_e32 v27, vcc, v17, v27, vcc
	v_lshlrev_b64 v[9:10], 3, v[14:15]
	v_add_co_u32_e32 v30, vcc, s12, v7
	v_add_u32_e32 v14, 6, v32
	v_addc_co_u32_e32 v31, vcc, v17, v8, vcc
	v_add_co_u32_e32 v37, vcc, s12, v9
	v_lshlrev_b64 v[7:8], 3, v[14:15]
	v_addc_co_u32_e32 v38, vcc, v17, v10, vcc
	v_add_co_u32_e32 v39, vcc, s14, v7
	v_add_u32_e32 v14, -3, v12
	v_addc_co_u32_e32 v40, vcc, v19, v8, vcc
	v_lshlrev_b64 v[7:8], 3, v[14:15]
	v_add_co_u32_e32 v41, vcc, s12, v7
	v_addc_co_u32_e32 v42, vcc, v17, v8, vcc
	global_load_dwordx4 v[7:10], v[24:25], off
	s_waitcnt vmcnt(0)
	v_fma_f64 v[20:21], v[22:23], v[7:8], v[20:21]
	global_load_dwordx2 v[13:14], v[35:36], off
	global_load_dwordx2 v[22:23], v[26:27], off
	;; [unrolled: 1-line block ×4, first 2 shown]
	s_waitcnt vmcnt(3)
	v_fma_f64 v[7:8], v[13:14], v[7:8], v[28:29]
	v_add_u32_e32 v14, -12, v12
	s_waitcnt vmcnt(2)
	v_fma_f64 v[20:21], v[22:23], v[9:10], v[20:21]
	v_lshlrev_b64 v[22:23], 3, v[14:15]
	v_add_u32_e32 v14, -2, v12
	v_add_co_u32_e32 v22, vcc, s12, v22
	v_addc_co_u32_e32 v23, vcc, v17, v23, vcc
	s_waitcnt vmcnt(1)
	v_fma_f64 v[24:25], v[24:25], v[9:10], v[7:8]
	v_lshlrev_b64 v[7:8], 3, v[14:15]
	v_add_u32_e32 v14, -11, v12
	v_lshlrev_b64 v[9:10], 3, v[14:15]
	v_add_co_u32_e32 v26, vcc, s12, v7
	v_add_u32_e32 v14, 8, v32
	v_addc_co_u32_e32 v27, vcc, v17, v8, vcc
	v_lshlrev_b64 v[7:8], 3, v[14:15]
	v_add_co_u32_e32 v28, vcc, s12, v9
	v_addc_co_u32_e32 v29, vcc, v17, v10, vcc
	v_add_u32_e32 v14, -1, v12
	v_add_co_u32_e32 v30, vcc, s14, v7
	v_addc_co_u32_e32 v31, vcc, v19, v8, vcc
	v_lshlrev_b64 v[7:8], 3, v[14:15]
	v_add_u32_e32 v14, -10, v12
	v_add_co_u32_e32 v35, vcc, s12, v7
	v_addc_co_u32_e32 v36, vcc, v17, v8, vcc
	v_lshlrev_b64 v[7:8], 3, v[14:15]
	v_add_u32_e32 v12, 0xa0, v12
	v_add_co_u32_e32 v13, vcc, s12, v7
	v_addc_co_u32_e32 v14, vcc, v17, v8, vcc
	global_load_dwordx4 v[7:10], v[39:40], off
	v_cmp_ge_i32_e32 vcc, v6, v18
	s_or_b64 s[0:1], vcc, s[0:1]
	s_waitcnt vmcnt(0)
	v_fma_f64 v[20:21], v[43:44], v[7:8], v[20:21]
	global_load_dwordx2 v[37:38], v[41:42], off
	global_load_dwordx2 v[39:40], v[22:23], off
	;; [unrolled: 1-line block ×4, first 2 shown]
	s_waitcnt vmcnt(3)
	v_fma_f64 v[7:8], v[37:38], v[7:8], v[24:25]
	s_waitcnt vmcnt(2)
	v_fma_f64 v[24:25], v[39:40], v[9:10], v[20:21]
	global_load_dwordx4 v[20:23], v[30:31], off
	global_load_dwordx2 v[26:27], v[35:36], off
	global_load_dwordx2 v[28:29], v[13:14], off
	global_load_dwordx2 v[37:38], v[33:34], off
	s_waitcnt vmcnt(5)
	v_fma_f64 v[7:8], v[43:44], v[9:10], v[7:8]
	s_waitcnt vmcnt(3)
	v_fma_f64 v[9:10], v[45:46], v[20:21], v[24:25]
	;; [unrolled: 2-line block ×5, first 2 shown]
	s_andn2_b64 exec, exec, s[0:1]
	s_cbranch_execnz .LBB117_15
; %bb.16:
	s_or_b64 exec, exec, s[0:1]
.LBB117_17:
	s_or_b64 exec, exec, s[6:7]
.LBB117_18:
	v_mov_b32_dpp v6, v10 row_shr:1 row_mask:0xf bank_mask:0xf
	v_mov_b32_dpp v7, v11 row_shr:1 row_mask:0xf bank_mask:0xf
	v_add_f64 v[6:7], v[10:11], v[6:7]
	v_mov_b32_dpp v10, v8 row_shr:1 row_mask:0xf bank_mask:0xf
	v_mov_b32_dpp v11, v9 row_shr:1 row_mask:0xf bank_mask:0xf
	v_add_f64 v[8:9], v[8:9], v[10:11]
	v_cmp_eq_u32_e32 vcc, 7, v0
	v_mov_b32_dpp v10, v6 row_shr:2 row_mask:0xf bank_mask:0xf
	v_mov_b32_dpp v11, v7 row_shr:2 row_mask:0xf bank_mask:0xf
	v_add_f64 v[6:7], v[6:7], v[10:11]
	v_mov_b32_dpp v12, v8 row_shr:2 row_mask:0xf bank_mask:0xf
	v_mov_b32_dpp v13, v9 row_shr:2 row_mask:0xf bank_mask:0xf
	v_add_f64 v[10:11], v[8:9], v[12:13]
	v_mov_b32_dpp v8, v6 row_shr:4 row_mask:0xf bank_mask:0xe
	v_mov_b32_dpp v9, v7 row_shr:4 row_mask:0xf bank_mask:0xe
	;; [unrolled: 1-line block ×4, first 2 shown]
	s_and_b64 exec, exec, vcc
	s_cbranch_execz .LBB117_23
; %bb.19:
	v_add_f64 v[8:9], v[6:7], v[8:9]
	v_add_f64 v[6:7], v[10:11], v[12:13]
	v_cmp_eq_f64_e32 vcc, 0, v[3:4]
	s_load_dwordx2 s[0:1], s[4:5], 0x38
	s_and_saveexec_b64 s[2:3], vcc
	s_xor_b64 s[2:3], exec, s[2:3]
	s_cbranch_execz .LBB117_21
; %bb.20:
	v_mul_f64 v[3:4], v[1:2], v[8:9]
	v_lshlrev_b32_e32 v0, 1, v5
	v_mul_f64 v[5:6], v[1:2], v[6:7]
	v_ashrrev_i32_e32 v1, 31, v0
	v_lshlrev_b64 v[0:1], 3, v[0:1]
	s_waitcnt lgkmcnt(0)
	v_mov_b32_e32 v2, s1
	v_add_co_u32_e32 v0, vcc, s0, v0
	v_addc_co_u32_e32 v1, vcc, v2, v1, vcc
	global_store_dwordx4 v[0:1], v[3:6], off
                                        ; implicit-def: $vgpr5
                                        ; implicit-def: $vgpr1_vgpr2
                                        ; implicit-def: $vgpr8_vgpr9
                                        ; implicit-def: $vgpr3_vgpr4
                                        ; implicit-def: $vgpr6_vgpr7
.LBB117_21:
	s_andn2_saveexec_b64 s[2:3], s[2:3]
	s_cbranch_execz .LBB117_23
; %bb.22:
	v_lshlrev_b32_e32 v10, 1, v5
	v_ashrrev_i32_e32 v11, 31, v10
	v_lshlrev_b64 v[10:11], 3, v[10:11]
	s_waitcnt lgkmcnt(0)
	v_mov_b32_e32 v0, s1
	v_add_co_u32_e32 v14, vcc, s0, v10
	v_addc_co_u32_e32 v15, vcc, v0, v11, vcc
	global_load_dwordx4 v[10:13], v[14:15], off
	v_mul_f64 v[8:9], v[1:2], v[8:9]
	v_mul_f64 v[5:6], v[1:2], v[6:7]
	s_waitcnt vmcnt(0)
	v_fma_f64 v[0:1], v[3:4], v[10:11], v[8:9]
	v_fma_f64 v[2:3], v[3:4], v[12:13], v[5:6]
	global_store_dwordx4 v[14:15], v[0:3], off
.LBB117_23:
	s_endpgm
	.section	.rodata,"a",@progbits
	.p2align	6, 0x0
	.amdhsa_kernel _ZN9rocsparseL19gebsrmvn_2xn_kernelILj128ELj10ELj8EdEEvi20rocsparse_direction_NS_24const_host_device_scalarIT2_EEPKiS6_PKS3_S8_S4_PS3_21rocsparse_index_base_b
		.amdhsa_group_segment_fixed_size 0
		.amdhsa_private_segment_fixed_size 0
		.amdhsa_kernarg_size 72
		.amdhsa_user_sgpr_count 6
		.amdhsa_user_sgpr_private_segment_buffer 1
		.amdhsa_user_sgpr_dispatch_ptr 0
		.amdhsa_user_sgpr_queue_ptr 0
		.amdhsa_user_sgpr_kernarg_segment_ptr 1
		.amdhsa_user_sgpr_dispatch_id 0
		.amdhsa_user_sgpr_flat_scratch_init 0
		.amdhsa_user_sgpr_private_segment_size 0
		.amdhsa_uses_dynamic_stack 0
		.amdhsa_system_sgpr_private_segment_wavefront_offset 0
		.amdhsa_system_sgpr_workgroup_id_x 1
		.amdhsa_system_sgpr_workgroup_id_y 0
		.amdhsa_system_sgpr_workgroup_id_z 0
		.amdhsa_system_sgpr_workgroup_info 0
		.amdhsa_system_vgpr_workitem_id 0
		.amdhsa_next_free_vgpr 53
		.amdhsa_next_free_sgpr 16
		.amdhsa_reserve_vcc 1
		.amdhsa_reserve_flat_scratch 0
		.amdhsa_float_round_mode_32 0
		.amdhsa_float_round_mode_16_64 0
		.amdhsa_float_denorm_mode_32 3
		.amdhsa_float_denorm_mode_16_64 3
		.amdhsa_dx10_clamp 1
		.amdhsa_ieee_mode 1
		.amdhsa_fp16_overflow 0
		.amdhsa_exception_fp_ieee_invalid_op 0
		.amdhsa_exception_fp_denorm_src 0
		.amdhsa_exception_fp_ieee_div_zero 0
		.amdhsa_exception_fp_ieee_overflow 0
		.amdhsa_exception_fp_ieee_underflow 0
		.amdhsa_exception_fp_ieee_inexact 0
		.amdhsa_exception_int_div_zero 0
	.end_amdhsa_kernel
	.section	.text._ZN9rocsparseL19gebsrmvn_2xn_kernelILj128ELj10ELj8EdEEvi20rocsparse_direction_NS_24const_host_device_scalarIT2_EEPKiS6_PKS3_S8_S4_PS3_21rocsparse_index_base_b,"axG",@progbits,_ZN9rocsparseL19gebsrmvn_2xn_kernelILj128ELj10ELj8EdEEvi20rocsparse_direction_NS_24const_host_device_scalarIT2_EEPKiS6_PKS3_S8_S4_PS3_21rocsparse_index_base_b,comdat
.Lfunc_end117:
	.size	_ZN9rocsparseL19gebsrmvn_2xn_kernelILj128ELj10ELj8EdEEvi20rocsparse_direction_NS_24const_host_device_scalarIT2_EEPKiS6_PKS3_S8_S4_PS3_21rocsparse_index_base_b, .Lfunc_end117-_ZN9rocsparseL19gebsrmvn_2xn_kernelILj128ELj10ELj8EdEEvi20rocsparse_direction_NS_24const_host_device_scalarIT2_EEPKiS6_PKS3_S8_S4_PS3_21rocsparse_index_base_b
                                        ; -- End function
	.set _ZN9rocsparseL19gebsrmvn_2xn_kernelILj128ELj10ELj8EdEEvi20rocsparse_direction_NS_24const_host_device_scalarIT2_EEPKiS6_PKS3_S8_S4_PS3_21rocsparse_index_base_b.num_vgpr, 53
	.set _ZN9rocsparseL19gebsrmvn_2xn_kernelILj128ELj10ELj8EdEEvi20rocsparse_direction_NS_24const_host_device_scalarIT2_EEPKiS6_PKS3_S8_S4_PS3_21rocsparse_index_base_b.num_agpr, 0
	.set _ZN9rocsparseL19gebsrmvn_2xn_kernelILj128ELj10ELj8EdEEvi20rocsparse_direction_NS_24const_host_device_scalarIT2_EEPKiS6_PKS3_S8_S4_PS3_21rocsparse_index_base_b.numbered_sgpr, 16
	.set _ZN9rocsparseL19gebsrmvn_2xn_kernelILj128ELj10ELj8EdEEvi20rocsparse_direction_NS_24const_host_device_scalarIT2_EEPKiS6_PKS3_S8_S4_PS3_21rocsparse_index_base_b.num_named_barrier, 0
	.set _ZN9rocsparseL19gebsrmvn_2xn_kernelILj128ELj10ELj8EdEEvi20rocsparse_direction_NS_24const_host_device_scalarIT2_EEPKiS6_PKS3_S8_S4_PS3_21rocsparse_index_base_b.private_seg_size, 0
	.set _ZN9rocsparseL19gebsrmvn_2xn_kernelILj128ELj10ELj8EdEEvi20rocsparse_direction_NS_24const_host_device_scalarIT2_EEPKiS6_PKS3_S8_S4_PS3_21rocsparse_index_base_b.uses_vcc, 1
	.set _ZN9rocsparseL19gebsrmvn_2xn_kernelILj128ELj10ELj8EdEEvi20rocsparse_direction_NS_24const_host_device_scalarIT2_EEPKiS6_PKS3_S8_S4_PS3_21rocsparse_index_base_b.uses_flat_scratch, 0
	.set _ZN9rocsparseL19gebsrmvn_2xn_kernelILj128ELj10ELj8EdEEvi20rocsparse_direction_NS_24const_host_device_scalarIT2_EEPKiS6_PKS3_S8_S4_PS3_21rocsparse_index_base_b.has_dyn_sized_stack, 0
	.set _ZN9rocsparseL19gebsrmvn_2xn_kernelILj128ELj10ELj8EdEEvi20rocsparse_direction_NS_24const_host_device_scalarIT2_EEPKiS6_PKS3_S8_S4_PS3_21rocsparse_index_base_b.has_recursion, 0
	.set _ZN9rocsparseL19gebsrmvn_2xn_kernelILj128ELj10ELj8EdEEvi20rocsparse_direction_NS_24const_host_device_scalarIT2_EEPKiS6_PKS3_S8_S4_PS3_21rocsparse_index_base_b.has_indirect_call, 0
	.section	.AMDGPU.csdata,"",@progbits
; Kernel info:
; codeLenInByte = 2344
; TotalNumSgprs: 20
; NumVgprs: 53
; ScratchSize: 0
; MemoryBound: 0
; FloatMode: 240
; IeeeMode: 1
; LDSByteSize: 0 bytes/workgroup (compile time only)
; SGPRBlocks: 2
; VGPRBlocks: 13
; NumSGPRsForWavesPerEU: 20
; NumVGPRsForWavesPerEU: 53
; Occupancy: 4
; WaveLimiterHint : 1
; COMPUTE_PGM_RSRC2:SCRATCH_EN: 0
; COMPUTE_PGM_RSRC2:USER_SGPR: 6
; COMPUTE_PGM_RSRC2:TRAP_HANDLER: 0
; COMPUTE_PGM_RSRC2:TGID_X_EN: 1
; COMPUTE_PGM_RSRC2:TGID_Y_EN: 0
; COMPUTE_PGM_RSRC2:TGID_Z_EN: 0
; COMPUTE_PGM_RSRC2:TIDIG_COMP_CNT: 0
	.section	.text._ZN9rocsparseL19gebsrmvn_2xn_kernelILj128ELj10ELj16EdEEvi20rocsparse_direction_NS_24const_host_device_scalarIT2_EEPKiS6_PKS3_S8_S4_PS3_21rocsparse_index_base_b,"axG",@progbits,_ZN9rocsparseL19gebsrmvn_2xn_kernelILj128ELj10ELj16EdEEvi20rocsparse_direction_NS_24const_host_device_scalarIT2_EEPKiS6_PKS3_S8_S4_PS3_21rocsparse_index_base_b,comdat
	.globl	_ZN9rocsparseL19gebsrmvn_2xn_kernelILj128ELj10ELj16EdEEvi20rocsparse_direction_NS_24const_host_device_scalarIT2_EEPKiS6_PKS3_S8_S4_PS3_21rocsparse_index_base_b ; -- Begin function _ZN9rocsparseL19gebsrmvn_2xn_kernelILj128ELj10ELj16EdEEvi20rocsparse_direction_NS_24const_host_device_scalarIT2_EEPKiS6_PKS3_S8_S4_PS3_21rocsparse_index_base_b
	.p2align	8
	.type	_ZN9rocsparseL19gebsrmvn_2xn_kernelILj128ELj10ELj16EdEEvi20rocsparse_direction_NS_24const_host_device_scalarIT2_EEPKiS6_PKS3_S8_S4_PS3_21rocsparse_index_base_b,@function
_ZN9rocsparseL19gebsrmvn_2xn_kernelILj128ELj10ELj16EdEEvi20rocsparse_direction_NS_24const_host_device_scalarIT2_EEPKiS6_PKS3_S8_S4_PS3_21rocsparse_index_base_b: ; @_ZN9rocsparseL19gebsrmvn_2xn_kernelILj128ELj10ELj16EdEEvi20rocsparse_direction_NS_24const_host_device_scalarIT2_EEPKiS6_PKS3_S8_S4_PS3_21rocsparse_index_base_b
; %bb.0:
	s_load_dwordx2 s[2:3], s[4:5], 0x40
	s_load_dwordx2 s[10:11], s[4:5], 0x8
	;; [unrolled: 1-line block ×3, first 2 shown]
	s_waitcnt lgkmcnt(0)
	s_bitcmp1_b32 s3, 0
	s_cselect_b64 s[12:13], -1, 0
	v_mov_b32_e32 v1, s10
	s_xor_b64 s[8:9], s[12:13], -1
	s_and_b64 vcc, exec, s[12:13]
	v_mov_b32_e32 v2, s11
	s_cbranch_vccnz .LBB118_2
; %bb.1:
	v_mov_b32_e32 v1, s10
	v_mov_b32_e32 v2, s11
	flat_load_dwordx2 v[1:2], v[1:2]
.LBB118_2:
	v_mov_b32_e32 v4, s1
	s_andn2_b64 vcc, exec, s[8:9]
	v_mov_b32_e32 v3, s0
	s_cbranch_vccnz .LBB118_4
; %bb.3:
	v_mov_b32_e32 v4, s1
	v_mov_b32_e32 v3, s0
	flat_load_dwordx2 v[3:4], v[3:4]
.LBB118_4:
	s_waitcnt vmcnt(0) lgkmcnt(0)
	v_cmp_neq_f64_e32 vcc, 0, v[1:2]
	v_cmp_neq_f64_e64 s[0:1], 1.0, v[3:4]
	s_or_b64 s[0:1], vcc, s[0:1]
	s_and_saveexec_b64 s[8:9], s[0:1]
	s_cbranch_execz .LBB118_23
; %bb.5:
	s_load_dwordx2 s[0:1], s[4:5], 0x0
	v_lshrrev_b32_e32 v5, 4, v0
	v_lshl_or_b32 v5, s6, 3, v5
	s_waitcnt lgkmcnt(0)
	v_cmp_gt_i32_e32 vcc, s0, v5
	s_and_b64 exec, exec, vcc
	s_cbranch_execz .LBB118_23
; %bb.6:
	s_load_dwordx8 s[8:15], s[4:5], 0x10
	v_ashrrev_i32_e32 v6, 31, v5
	v_lshlrev_b64 v[6:7], 2, v[5:6]
	v_and_b32_e32 v0, 15, v0
	s_cmp_lg_u32 s1, 0
	s_waitcnt lgkmcnt(0)
	v_mov_b32_e32 v8, s9
	v_add_co_u32_e32 v6, vcc, s8, v6
	v_addc_co_u32_e32 v7, vcc, v8, v7, vcc
	global_load_dwordx2 v[6:7], v[6:7], off
	s_waitcnt vmcnt(0)
	v_subrev_u32_e32 v6, s2, v6
	v_subrev_u32_e32 v18, s2, v7
	v_add_u32_e32 v6, v6, v0
	v_cmp_lt_i32_e64 s[0:1], v6, v18
	s_cbranch_scc0 .LBB118_12
; %bb.7:
	v_mov_b32_e32 v10, 0
	v_mov_b32_e32 v8, 0
	;; [unrolled: 1-line block ×4, first 2 shown]
	s_and_saveexec_b64 s[6:7], s[0:1]
	s_cbranch_execz .LBB118_11
; %bb.8:
	v_mad_u64_u32 v[12:13], s[8:9], v6, 20, 18
	v_mov_b32_e32 v10, 0
	v_mov_b32_e32 v8, 0
	;; [unrolled: 1-line block ×3, first 2 shown]
	s_mov_b64 s[8:9], 0
	v_mov_b32_e32 v7, s11
	v_mov_b32_e32 v15, 0
	;; [unrolled: 1-line block ×6, first 2 shown]
.LBB118_9:                              ; =>This Inner Loop Header: Depth=1
	v_ashrrev_i32_e32 v17, 31, v16
	v_lshlrev_b64 v[21:22], 2, v[16:17]
	v_subrev_u32_e32 v14, 18, v12
	v_lshlrev_b64 v[23:24], 3, v[14:15]
	v_add_co_u32_e32 v29, vcc, s10, v21
	v_mov_b32_e32 v13, v15
	v_addc_co_u32_e32 v30, vcc, v7, v22, vcc
	v_lshlrev_b64 v[25:26], 3, v[12:13]
	v_add_co_u32_e32 v31, vcc, s12, v23
	v_addc_co_u32_e32 v32, vcc, v19, v24, vcc
	v_add_co_u32_e32 v45, vcc, s12, v25
	v_addc_co_u32_e32 v46, vcc, v19, v26, vcc
	global_load_dword v17, v[29:30], off
	global_load_dwordx4 v[21:24], v[31:32], off
	global_load_dwordx4 v[25:28], v[31:32], off offset:16
	v_add_u32_e32 v14, -14, v12
	v_lshlrev_b64 v[13:14], 3, v[14:15]
	v_mov_b32_e32 v42, v15
	v_add_co_u32_e32 v13, vcc, s12, v13
	v_addc_co_u32_e32 v14, vcc, v19, v14, vcc
	global_load_dwordx4 v[29:32], v[13:14], off
	v_add_u32_e32 v16, 16, v16
	s_waitcnt vmcnt(3)
	v_subrev_u32_e32 v13, s2, v17
	v_mul_lo_u32 v41, v13, 10
	v_lshlrev_b64 v[33:34], 3, v[41:42]
	v_add_u32_e32 v14, 2, v41
	v_add_co_u32_e32 v33, vcc, s14, v33
	v_addc_co_u32_e32 v34, vcc, v20, v34, vcc
	global_load_dwordx4 v[33:36], v[33:34], off
	v_lshlrev_b64 v[37:38], 3, v[14:15]
	v_add_u32_e32 v14, -12, v12
	v_add_co_u32_e32 v37, vcc, s14, v37
	v_addc_co_u32_e32 v38, vcc, v20, v38, vcc
	global_load_dwordx4 v[37:40], v[37:38], off
	v_lshlrev_b64 v[42:43], 3, v[14:15]
	v_add_u32_e32 v14, -10, v12
	v_add_co_u32_e32 v42, vcc, s12, v42
	v_addc_co_u32_e32 v43, vcc, v19, v43, vcc
	v_lshlrev_b64 v[47:48], 3, v[14:15]
	v_add_u32_e32 v14, 4, v41
	v_lshlrev_b64 v[49:50], 3, v[14:15]
	v_add_u32_e32 v14, -8, v12
	s_waitcnt vmcnt(1)
	v_fma_f64 v[21:22], v[21:22], v[33:34], v[10:11]
	v_fma_f64 v[23:24], v[23:24], v[33:34], v[8:9]
	global_load_dwordx4 v[8:11], v[42:43], off
	v_add_co_u32_e32 v33, vcc, s12, v47
	v_addc_co_u32_e32 v34, vcc, v19, v48, vcc
	v_fma_f64 v[47:48], v[25:26], v[35:36], v[21:22]
	v_add_co_u32_e32 v25, vcc, s14, v49
	v_addc_co_u32_e32 v26, vcc, v20, v50, vcc
	v_fma_f64 v[35:36], v[27:28], v[35:36], v[23:24]
	global_load_dwordx4 v[21:24], v[33:34], off
	v_lshlrev_b64 v[42:43], 3, v[14:15]
	global_load_dwordx4 v[25:28], v[25:26], off
	v_add_co_u32_e32 v42, vcc, s12, v42
	v_addc_co_u32_e32 v43, vcc, v19, v43, vcc
	s_waitcnt vmcnt(3)
	v_fma_f64 v[47:48], v[29:30], v[37:38], v[47:48]
	v_fma_f64 v[35:36], v[31:32], v[37:38], v[35:36]
	global_load_dwordx4 v[29:32], v[42:43], off
	v_add_u32_e32 v14, -6, v12
	v_lshlrev_b64 v[33:34], 3, v[14:15]
	v_add_u32_e32 v14, 6, v41
	v_lshlrev_b64 v[49:50], 3, v[14:15]
	v_add_co_u32_e32 v33, vcc, s12, v33
	v_addc_co_u32_e32 v34, vcc, v19, v34, vcc
	v_add_u32_e32 v14, -4, v12
	v_lshlrev_b64 v[37:38], 3, v[14:15]
	v_add_u32_e32 v14, -2, v12
	v_add_u32_e32 v12, 0x140, v12
	s_waitcnt vmcnt(3)
	v_fma_f64 v[42:43], v[8:9], v[39:40], v[47:48]
	v_fma_f64 v[47:48], v[10:11], v[39:40], v[35:36]
	global_load_dwordx4 v[8:11], v[33:34], off
	v_add_co_u32_e32 v33, vcc, s14, v49
	v_addc_co_u32_e32 v34, vcc, v20, v50, vcc
	global_load_dwordx4 v[33:36], v[33:34], off
	v_lshlrev_b64 v[39:40], 3, v[14:15]
	v_add_co_u32_e32 v37, vcc, s12, v37
	v_addc_co_u32_e32 v38, vcc, v19, v38, vcc
	v_add_co_u32_e32 v49, vcc, s12, v39
	v_addc_co_u32_e32 v50, vcc, v19, v40, vcc
	global_load_dwordx4 v[37:40], v[37:38], off
	v_add_u32_e32 v14, 8, v41
	v_lshlrev_b64 v[13:14], 3, v[14:15]
	s_waitcnt vmcnt(4)
	v_fma_f64 v[51:52], v[21:22], v[25:26], v[42:43]
	v_add_co_u32_e32 v13, vcc, s14, v13
	v_addc_co_u32_e32 v14, vcc, v20, v14, vcc
	v_fma_f64 v[25:26], v[23:24], v[25:26], v[47:48]
	global_load_dwordx4 v[21:24], v[49:50], off
	global_load_dwordx4 v[41:44], v[13:14], off
	s_waitcnt vmcnt(5)
	v_fma_f64 v[13:14], v[29:30], v[27:28], v[51:52]
	v_cmp_ge_i32_e32 vcc, v16, v18
	s_or_b64 s[8:9], vcc, s[8:9]
	v_fma_f64 v[29:30], v[31:32], v[27:28], v[25:26]
	global_load_dwordx4 v[25:28], v[45:46], off
	s_waitcnt vmcnt(4)
	v_fma_f64 v[8:9], v[8:9], v[33:34], v[13:14]
	v_fma_f64 v[10:11], v[10:11], v[33:34], v[29:30]
	s_waitcnt vmcnt(3)
	v_fma_f64 v[8:9], v[37:38], v[35:36], v[8:9]
	v_fma_f64 v[10:11], v[39:40], v[35:36], v[10:11]
	;; [unrolled: 3-line block ×4, first 2 shown]
	s_andn2_b64 exec, exec, s[8:9]
	s_cbranch_execnz .LBB118_9
; %bb.10:
	s_or_b64 exec, exec, s[8:9]
.LBB118_11:
	s_or_b64 exec, exec, s[6:7]
	s_cbranch_execz .LBB118_13
	s_branch .LBB118_18
.LBB118_12:
                                        ; implicit-def: $vgpr10_vgpr11
                                        ; implicit-def: $vgpr8_vgpr9
.LBB118_13:
	v_mov_b32_e32 v10, 0
	v_mov_b32_e32 v8, 0
	v_mov_b32_e32 v11, 0
	v_mov_b32_e32 v9, 0
	s_and_saveexec_b64 s[6:7], s[0:1]
	s_cbranch_execz .LBB118_17
; %bb.14:
	v_mad_u64_u32 v[12:13], s[0:1], v6, 20, 19
	v_mov_b32_e32 v10, 0
	v_mov_b32_e32 v8, 0
	;; [unrolled: 1-line block ×3, first 2 shown]
	s_mov_b64 s[0:1], 0
	v_mov_b32_e32 v16, s11
	v_mov_b32_e32 v15, 0
	;; [unrolled: 1-line block ×5, first 2 shown]
.LBB118_15:                             ; =>This Inner Loop Header: Depth=1
	v_ashrrev_i32_e32 v7, 31, v6
	v_lshlrev_b64 v[22:23], 2, v[6:7]
	v_subrev_u32_e32 v14, 19, v12
	v_lshlrev_b64 v[24:25], 3, v[14:15]
	v_add_co_u32_e32 v28, vcc, s10, v22
	v_addc_co_u32_e32 v29, vcc, v16, v23, vcc
	v_add_u32_e32 v20, -9, v12
	v_mov_b32_e32 v21, v15
	v_add_co_u32_e32 v30, vcc, s12, v24
	v_lshlrev_b64 v[34:35], 3, v[20:21]
	v_addc_co_u32_e32 v31, vcc, v17, v25, vcc
	global_load_dword v7, v[28:29], off
	global_load_dwordx4 v[20:23], v[30:31], off
	global_load_dwordx4 v[24:27], v[30:31], off offset:16
	v_mov_b32_e32 v33, v15
	v_mov_b32_e32 v13, v15
	v_lshlrev_b64 v[36:37], 3, v[12:13]
	v_add_u32_e32 v14, -8, v12
	v_add_u32_e32 v6, 16, v6
	s_waitcnt vmcnt(2)
	v_subrev_u32_e32 v7, s2, v7
	v_mul_lo_u32 v32, v7, 10
	v_lshlrev_b64 v[28:29], 3, v[32:33]
	v_add_co_u32_e32 v28, vcc, s14, v28
	v_addc_co_u32_e32 v29, vcc, v19, v29, vcc
	global_load_dwordx4 v[28:31], v[28:29], off
	s_waitcnt vmcnt(0)
	v_fma_f64 v[10:11], v[20:21], v[28:29], v[10:11]
	v_fma_f64 v[20:21], v[22:23], v[30:31], v[10:11]
	v_add_co_u32_e32 v22, vcc, s12, v34
	v_addc_co_u32_e32 v23, vcc, v17, v35, vcc
	v_lshlrev_b64 v[10:11], 3, v[14:15]
	v_add_co_u32_e32 v33, vcc, s12, v36
	v_addc_co_u32_e32 v34, vcc, v17, v37, vcc
	v_add_co_u32_e32 v10, vcc, s12, v10
	v_addc_co_u32_e32 v11, vcc, v17, v11, vcc
	global_load_dwordx2 v[37:38], v[22:23], off
	global_load_dwordx2 v[39:40], v[10:11], off
	v_add_u32_e32 v14, 2, v32
	v_lshlrev_b64 v[13:14], 3, v[14:15]
	v_add_co_u32_e32 v35, vcc, s14, v13
	v_addc_co_u32_e32 v36, vcc, v19, v14, vcc
	v_add_u32_e32 v14, -7, v12
	v_lshlrev_b64 v[22:23], 3, v[14:15]
	v_add_u32_e32 v14, -6, v12
	v_add_co_u32_e32 v22, vcc, s12, v22
	v_addc_co_u32_e32 v23, vcc, v17, v23, vcc
	s_waitcnt vmcnt(1)
	v_fma_f64 v[7:8], v[37:38], v[28:29], v[8:9]
	s_waitcnt vmcnt(0)
	v_fma_f64 v[28:29], v[39:40], v[30:31], v[7:8]
	global_load_dwordx4 v[7:10], v[35:36], off
	v_lshlrev_b64 v[30:31], 3, v[14:15]
	v_add_u32_e32 v14, -15, v12
	v_add_co_u32_e32 v30, vcc, s12, v30
	v_addc_co_u32_e32 v31, vcc, v17, v31, vcc
	global_load_dwordx2 v[37:38], v[22:23], off
	global_load_dwordx2 v[39:40], v[30:31], off
	v_lshlrev_b64 v[35:36], 3, v[14:15]
	v_add_u32_e32 v14, 4, v32
	s_waitcnt vmcnt(2)
	v_fma_f64 v[20:21], v[24:25], v[7:8], v[20:21]
	v_lshlrev_b64 v[24:25], 3, v[14:15]
	v_add_u32_e32 v14, -5, v12
	v_lshlrev_b64 v[13:14], 3, v[14:15]
	s_waitcnt vmcnt(1)
	v_fma_f64 v[7:8], v[37:38], v[7:8], v[28:29]
	v_fma_f64 v[20:21], v[26:27], v[9:10], v[20:21]
	v_add_co_u32_e32 v26, vcc, s12, v35
	v_addc_co_u32_e32 v27, vcc, v17, v36, vcc
	v_add_co_u32_e32 v24, vcc, s14, v24
	v_addc_co_u32_e32 v25, vcc, v19, v25, vcc
	;; [unrolled: 2-line block ×3, first 2 shown]
	v_add_u32_e32 v14, -14, v12
	global_load_dwordx2 v[22:23], v[26:27], off
	v_lshlrev_b64 v[26:27], 3, v[14:15]
	v_add_u32_e32 v14, -4, v12
	s_waitcnt vmcnt(1)
	v_fma_f64 v[28:29], v[39:40], v[9:10], v[7:8]
	v_lshlrev_b64 v[7:8], 3, v[14:15]
	v_add_co_u32_e32 v26, vcc, s12, v26
	v_add_u32_e32 v14, -13, v12
	v_addc_co_u32_e32 v27, vcc, v17, v27, vcc
	v_lshlrev_b64 v[9:10], 3, v[14:15]
	v_add_co_u32_e32 v30, vcc, s12, v7
	v_add_u32_e32 v14, 6, v32
	v_addc_co_u32_e32 v31, vcc, v17, v8, vcc
	v_add_co_u32_e32 v37, vcc, s12, v9
	v_lshlrev_b64 v[7:8], 3, v[14:15]
	v_addc_co_u32_e32 v38, vcc, v17, v10, vcc
	v_add_co_u32_e32 v39, vcc, s14, v7
	v_add_u32_e32 v14, -3, v12
	v_addc_co_u32_e32 v40, vcc, v19, v8, vcc
	v_lshlrev_b64 v[7:8], 3, v[14:15]
	v_add_co_u32_e32 v41, vcc, s12, v7
	v_addc_co_u32_e32 v42, vcc, v17, v8, vcc
	global_load_dwordx4 v[7:10], v[24:25], off
	s_waitcnt vmcnt(0)
	v_fma_f64 v[20:21], v[22:23], v[7:8], v[20:21]
	global_load_dwordx2 v[13:14], v[35:36], off
	global_load_dwordx2 v[22:23], v[26:27], off
	;; [unrolled: 1-line block ×4, first 2 shown]
	s_waitcnt vmcnt(3)
	v_fma_f64 v[7:8], v[13:14], v[7:8], v[28:29]
	v_add_u32_e32 v14, -12, v12
	s_waitcnt vmcnt(2)
	v_fma_f64 v[20:21], v[22:23], v[9:10], v[20:21]
	v_lshlrev_b64 v[22:23], 3, v[14:15]
	v_add_u32_e32 v14, -2, v12
	v_add_co_u32_e32 v22, vcc, s12, v22
	v_addc_co_u32_e32 v23, vcc, v17, v23, vcc
	s_waitcnt vmcnt(1)
	v_fma_f64 v[24:25], v[24:25], v[9:10], v[7:8]
	v_lshlrev_b64 v[7:8], 3, v[14:15]
	v_add_u32_e32 v14, -11, v12
	v_lshlrev_b64 v[9:10], 3, v[14:15]
	v_add_co_u32_e32 v26, vcc, s12, v7
	v_add_u32_e32 v14, 8, v32
	v_addc_co_u32_e32 v27, vcc, v17, v8, vcc
	v_lshlrev_b64 v[7:8], 3, v[14:15]
	v_add_co_u32_e32 v28, vcc, s12, v9
	v_addc_co_u32_e32 v29, vcc, v17, v10, vcc
	v_add_u32_e32 v14, -1, v12
	v_add_co_u32_e32 v30, vcc, s14, v7
	v_addc_co_u32_e32 v31, vcc, v19, v8, vcc
	v_lshlrev_b64 v[7:8], 3, v[14:15]
	v_add_u32_e32 v14, -10, v12
	v_add_co_u32_e32 v35, vcc, s12, v7
	v_addc_co_u32_e32 v36, vcc, v17, v8, vcc
	v_lshlrev_b64 v[7:8], 3, v[14:15]
	v_add_u32_e32 v12, 0x140, v12
	v_add_co_u32_e32 v13, vcc, s12, v7
	v_addc_co_u32_e32 v14, vcc, v17, v8, vcc
	global_load_dwordx4 v[7:10], v[39:40], off
	v_cmp_ge_i32_e32 vcc, v6, v18
	s_or_b64 s[0:1], vcc, s[0:1]
	s_waitcnt vmcnt(0)
	v_fma_f64 v[20:21], v[43:44], v[7:8], v[20:21]
	global_load_dwordx2 v[37:38], v[41:42], off
	global_load_dwordx2 v[39:40], v[22:23], off
	;; [unrolled: 1-line block ×4, first 2 shown]
	s_waitcnt vmcnt(3)
	v_fma_f64 v[7:8], v[37:38], v[7:8], v[24:25]
	s_waitcnt vmcnt(2)
	v_fma_f64 v[24:25], v[39:40], v[9:10], v[20:21]
	global_load_dwordx4 v[20:23], v[30:31], off
	global_load_dwordx2 v[26:27], v[35:36], off
	global_load_dwordx2 v[28:29], v[13:14], off
	;; [unrolled: 1-line block ×3, first 2 shown]
	s_waitcnt vmcnt(5)
	v_fma_f64 v[7:8], v[43:44], v[9:10], v[7:8]
	s_waitcnt vmcnt(3)
	v_fma_f64 v[9:10], v[45:46], v[20:21], v[24:25]
	;; [unrolled: 2-line block ×5, first 2 shown]
	s_andn2_b64 exec, exec, s[0:1]
	s_cbranch_execnz .LBB118_15
; %bb.16:
	s_or_b64 exec, exec, s[0:1]
.LBB118_17:
	s_or_b64 exec, exec, s[6:7]
.LBB118_18:
	v_mov_b32_dpp v6, v10 row_shr:1 row_mask:0xf bank_mask:0xf
	v_mov_b32_dpp v7, v11 row_shr:1 row_mask:0xf bank_mask:0xf
	v_add_f64 v[6:7], v[10:11], v[6:7]
	v_mov_b32_dpp v10, v8 row_shr:1 row_mask:0xf bank_mask:0xf
	v_mov_b32_dpp v11, v9 row_shr:1 row_mask:0xf bank_mask:0xf
	v_add_f64 v[8:9], v[8:9], v[10:11]
	v_cmp_eq_u32_e32 vcc, 15, v0
	v_mov_b32_dpp v10, v6 row_shr:2 row_mask:0xf bank_mask:0xf
	v_mov_b32_dpp v11, v7 row_shr:2 row_mask:0xf bank_mask:0xf
	v_add_f64 v[6:7], v[6:7], v[10:11]
	v_mov_b32_dpp v12, v8 row_shr:2 row_mask:0xf bank_mask:0xf
	v_mov_b32_dpp v13, v9 row_shr:2 row_mask:0xf bank_mask:0xf
	v_add_f64 v[8:9], v[8:9], v[12:13]
	v_mov_b32_dpp v10, v6 row_shr:4 row_mask:0xf bank_mask:0xe
	v_mov_b32_dpp v11, v7 row_shr:4 row_mask:0xf bank_mask:0xe
	v_add_f64 v[6:7], v[6:7], v[10:11]
	v_mov_b32_dpp v12, v8 row_shr:4 row_mask:0xf bank_mask:0xe
	v_mov_b32_dpp v13, v9 row_shr:4 row_mask:0xf bank_mask:0xe
	v_add_f64 v[10:11], v[8:9], v[12:13]
	v_mov_b32_dpp v8, v6 row_shr:8 row_mask:0xf bank_mask:0xc
	v_mov_b32_dpp v9, v7 row_shr:8 row_mask:0xf bank_mask:0xc
	;; [unrolled: 1-line block ×4, first 2 shown]
	s_and_b64 exec, exec, vcc
	s_cbranch_execz .LBB118_23
; %bb.19:
	v_add_f64 v[8:9], v[6:7], v[8:9]
	v_add_f64 v[6:7], v[10:11], v[12:13]
	v_cmp_eq_f64_e32 vcc, 0, v[3:4]
	s_load_dwordx2 s[0:1], s[4:5], 0x38
	s_and_saveexec_b64 s[2:3], vcc
	s_xor_b64 s[2:3], exec, s[2:3]
	s_cbranch_execz .LBB118_21
; %bb.20:
	v_mul_f64 v[3:4], v[1:2], v[8:9]
	v_lshlrev_b32_e32 v0, 1, v5
	v_mul_f64 v[5:6], v[1:2], v[6:7]
	v_ashrrev_i32_e32 v1, 31, v0
	v_lshlrev_b64 v[0:1], 3, v[0:1]
	s_waitcnt lgkmcnt(0)
	v_mov_b32_e32 v2, s1
	v_add_co_u32_e32 v0, vcc, s0, v0
	v_addc_co_u32_e32 v1, vcc, v2, v1, vcc
	global_store_dwordx4 v[0:1], v[3:6], off
                                        ; implicit-def: $vgpr5
                                        ; implicit-def: $vgpr1_vgpr2
                                        ; implicit-def: $vgpr8_vgpr9
                                        ; implicit-def: $vgpr3_vgpr4
                                        ; implicit-def: $vgpr6_vgpr7
.LBB118_21:
	s_andn2_saveexec_b64 s[2:3], s[2:3]
	s_cbranch_execz .LBB118_23
; %bb.22:
	v_lshlrev_b32_e32 v10, 1, v5
	v_ashrrev_i32_e32 v11, 31, v10
	v_lshlrev_b64 v[10:11], 3, v[10:11]
	s_waitcnt lgkmcnt(0)
	v_mov_b32_e32 v0, s1
	v_add_co_u32_e32 v14, vcc, s0, v10
	v_addc_co_u32_e32 v15, vcc, v0, v11, vcc
	global_load_dwordx4 v[10:13], v[14:15], off
	v_mul_f64 v[8:9], v[1:2], v[8:9]
	v_mul_f64 v[5:6], v[1:2], v[6:7]
	s_waitcnt vmcnt(0)
	v_fma_f64 v[0:1], v[3:4], v[10:11], v[8:9]
	v_fma_f64 v[2:3], v[3:4], v[12:13], v[5:6]
	global_store_dwordx4 v[14:15], v[0:3], off
.LBB118_23:
	s_endpgm
	.section	.rodata,"a",@progbits
	.p2align	6, 0x0
	.amdhsa_kernel _ZN9rocsparseL19gebsrmvn_2xn_kernelILj128ELj10ELj16EdEEvi20rocsparse_direction_NS_24const_host_device_scalarIT2_EEPKiS6_PKS3_S8_S4_PS3_21rocsparse_index_base_b
		.amdhsa_group_segment_fixed_size 0
		.amdhsa_private_segment_fixed_size 0
		.amdhsa_kernarg_size 72
		.amdhsa_user_sgpr_count 6
		.amdhsa_user_sgpr_private_segment_buffer 1
		.amdhsa_user_sgpr_dispatch_ptr 0
		.amdhsa_user_sgpr_queue_ptr 0
		.amdhsa_user_sgpr_kernarg_segment_ptr 1
		.amdhsa_user_sgpr_dispatch_id 0
		.amdhsa_user_sgpr_flat_scratch_init 0
		.amdhsa_user_sgpr_private_segment_size 0
		.amdhsa_uses_dynamic_stack 0
		.amdhsa_system_sgpr_private_segment_wavefront_offset 0
		.amdhsa_system_sgpr_workgroup_id_x 1
		.amdhsa_system_sgpr_workgroup_id_y 0
		.amdhsa_system_sgpr_workgroup_id_z 0
		.amdhsa_system_sgpr_workgroup_info 0
		.amdhsa_system_vgpr_workitem_id 0
		.amdhsa_next_free_vgpr 53
		.amdhsa_next_free_sgpr 16
		.amdhsa_reserve_vcc 1
		.amdhsa_reserve_flat_scratch 0
		.amdhsa_float_round_mode_32 0
		.amdhsa_float_round_mode_16_64 0
		.amdhsa_float_denorm_mode_32 3
		.amdhsa_float_denorm_mode_16_64 3
		.amdhsa_dx10_clamp 1
		.amdhsa_ieee_mode 1
		.amdhsa_fp16_overflow 0
		.amdhsa_exception_fp_ieee_invalid_op 0
		.amdhsa_exception_fp_denorm_src 0
		.amdhsa_exception_fp_ieee_div_zero 0
		.amdhsa_exception_fp_ieee_overflow 0
		.amdhsa_exception_fp_ieee_underflow 0
		.amdhsa_exception_fp_ieee_inexact 0
		.amdhsa_exception_int_div_zero 0
	.end_amdhsa_kernel
	.section	.text._ZN9rocsparseL19gebsrmvn_2xn_kernelILj128ELj10ELj16EdEEvi20rocsparse_direction_NS_24const_host_device_scalarIT2_EEPKiS6_PKS3_S8_S4_PS3_21rocsparse_index_base_b,"axG",@progbits,_ZN9rocsparseL19gebsrmvn_2xn_kernelILj128ELj10ELj16EdEEvi20rocsparse_direction_NS_24const_host_device_scalarIT2_EEPKiS6_PKS3_S8_S4_PS3_21rocsparse_index_base_b,comdat
.Lfunc_end118:
	.size	_ZN9rocsparseL19gebsrmvn_2xn_kernelILj128ELj10ELj16EdEEvi20rocsparse_direction_NS_24const_host_device_scalarIT2_EEPKiS6_PKS3_S8_S4_PS3_21rocsparse_index_base_b, .Lfunc_end118-_ZN9rocsparseL19gebsrmvn_2xn_kernelILj128ELj10ELj16EdEEvi20rocsparse_direction_NS_24const_host_device_scalarIT2_EEPKiS6_PKS3_S8_S4_PS3_21rocsparse_index_base_b
                                        ; -- End function
	.set _ZN9rocsparseL19gebsrmvn_2xn_kernelILj128ELj10ELj16EdEEvi20rocsparse_direction_NS_24const_host_device_scalarIT2_EEPKiS6_PKS3_S8_S4_PS3_21rocsparse_index_base_b.num_vgpr, 53
	.set _ZN9rocsparseL19gebsrmvn_2xn_kernelILj128ELj10ELj16EdEEvi20rocsparse_direction_NS_24const_host_device_scalarIT2_EEPKiS6_PKS3_S8_S4_PS3_21rocsparse_index_base_b.num_agpr, 0
	.set _ZN9rocsparseL19gebsrmvn_2xn_kernelILj128ELj10ELj16EdEEvi20rocsparse_direction_NS_24const_host_device_scalarIT2_EEPKiS6_PKS3_S8_S4_PS3_21rocsparse_index_base_b.numbered_sgpr, 16
	.set _ZN9rocsparseL19gebsrmvn_2xn_kernelILj128ELj10ELj16EdEEvi20rocsparse_direction_NS_24const_host_device_scalarIT2_EEPKiS6_PKS3_S8_S4_PS3_21rocsparse_index_base_b.num_named_barrier, 0
	.set _ZN9rocsparseL19gebsrmvn_2xn_kernelILj128ELj10ELj16EdEEvi20rocsparse_direction_NS_24const_host_device_scalarIT2_EEPKiS6_PKS3_S8_S4_PS3_21rocsparse_index_base_b.private_seg_size, 0
	.set _ZN9rocsparseL19gebsrmvn_2xn_kernelILj128ELj10ELj16EdEEvi20rocsparse_direction_NS_24const_host_device_scalarIT2_EEPKiS6_PKS3_S8_S4_PS3_21rocsparse_index_base_b.uses_vcc, 1
	.set _ZN9rocsparseL19gebsrmvn_2xn_kernelILj128ELj10ELj16EdEEvi20rocsparse_direction_NS_24const_host_device_scalarIT2_EEPKiS6_PKS3_S8_S4_PS3_21rocsparse_index_base_b.uses_flat_scratch, 0
	.set _ZN9rocsparseL19gebsrmvn_2xn_kernelILj128ELj10ELj16EdEEvi20rocsparse_direction_NS_24const_host_device_scalarIT2_EEPKiS6_PKS3_S8_S4_PS3_21rocsparse_index_base_b.has_dyn_sized_stack, 0
	.set _ZN9rocsparseL19gebsrmvn_2xn_kernelILj128ELj10ELj16EdEEvi20rocsparse_direction_NS_24const_host_device_scalarIT2_EEPKiS6_PKS3_S8_S4_PS3_21rocsparse_index_base_b.has_recursion, 0
	.set _ZN9rocsparseL19gebsrmvn_2xn_kernelILj128ELj10ELj16EdEEvi20rocsparse_direction_NS_24const_host_device_scalarIT2_EEPKiS6_PKS3_S8_S4_PS3_21rocsparse_index_base_b.has_indirect_call, 0
	.section	.AMDGPU.csdata,"",@progbits
; Kernel info:
; codeLenInByte = 2392
; TotalNumSgprs: 20
; NumVgprs: 53
; ScratchSize: 0
; MemoryBound: 0
; FloatMode: 240
; IeeeMode: 1
; LDSByteSize: 0 bytes/workgroup (compile time only)
; SGPRBlocks: 2
; VGPRBlocks: 13
; NumSGPRsForWavesPerEU: 20
; NumVGPRsForWavesPerEU: 53
; Occupancy: 4
; WaveLimiterHint : 1
; COMPUTE_PGM_RSRC2:SCRATCH_EN: 0
; COMPUTE_PGM_RSRC2:USER_SGPR: 6
; COMPUTE_PGM_RSRC2:TRAP_HANDLER: 0
; COMPUTE_PGM_RSRC2:TGID_X_EN: 1
; COMPUTE_PGM_RSRC2:TGID_Y_EN: 0
; COMPUTE_PGM_RSRC2:TGID_Z_EN: 0
; COMPUTE_PGM_RSRC2:TIDIG_COMP_CNT: 0
	.section	.text._ZN9rocsparseL19gebsrmvn_2xn_kernelILj128ELj10ELj32EdEEvi20rocsparse_direction_NS_24const_host_device_scalarIT2_EEPKiS6_PKS3_S8_S4_PS3_21rocsparse_index_base_b,"axG",@progbits,_ZN9rocsparseL19gebsrmvn_2xn_kernelILj128ELj10ELj32EdEEvi20rocsparse_direction_NS_24const_host_device_scalarIT2_EEPKiS6_PKS3_S8_S4_PS3_21rocsparse_index_base_b,comdat
	.globl	_ZN9rocsparseL19gebsrmvn_2xn_kernelILj128ELj10ELj32EdEEvi20rocsparse_direction_NS_24const_host_device_scalarIT2_EEPKiS6_PKS3_S8_S4_PS3_21rocsparse_index_base_b ; -- Begin function _ZN9rocsparseL19gebsrmvn_2xn_kernelILj128ELj10ELj32EdEEvi20rocsparse_direction_NS_24const_host_device_scalarIT2_EEPKiS6_PKS3_S8_S4_PS3_21rocsparse_index_base_b
	.p2align	8
	.type	_ZN9rocsparseL19gebsrmvn_2xn_kernelILj128ELj10ELj32EdEEvi20rocsparse_direction_NS_24const_host_device_scalarIT2_EEPKiS6_PKS3_S8_S4_PS3_21rocsparse_index_base_b,@function
_ZN9rocsparseL19gebsrmvn_2xn_kernelILj128ELj10ELj32EdEEvi20rocsparse_direction_NS_24const_host_device_scalarIT2_EEPKiS6_PKS3_S8_S4_PS3_21rocsparse_index_base_b: ; @_ZN9rocsparseL19gebsrmvn_2xn_kernelILj128ELj10ELj32EdEEvi20rocsparse_direction_NS_24const_host_device_scalarIT2_EEPKiS6_PKS3_S8_S4_PS3_21rocsparse_index_base_b
; %bb.0:
	s_load_dwordx2 s[2:3], s[4:5], 0x40
	s_load_dwordx2 s[10:11], s[4:5], 0x8
	s_load_dwordx2 s[0:1], s[4:5], 0x30
	s_waitcnt lgkmcnt(0)
	s_bitcmp1_b32 s3, 0
	s_cselect_b64 s[12:13], -1, 0
	v_mov_b32_e32 v1, s10
	s_xor_b64 s[8:9], s[12:13], -1
	s_and_b64 vcc, exec, s[12:13]
	v_mov_b32_e32 v2, s11
	s_cbranch_vccnz .LBB119_2
; %bb.1:
	v_mov_b32_e32 v1, s10
	v_mov_b32_e32 v2, s11
	flat_load_dwordx2 v[1:2], v[1:2]
.LBB119_2:
	v_mov_b32_e32 v4, s1
	s_andn2_b64 vcc, exec, s[8:9]
	v_mov_b32_e32 v3, s0
	s_cbranch_vccnz .LBB119_4
; %bb.3:
	v_mov_b32_e32 v4, s1
	v_mov_b32_e32 v3, s0
	flat_load_dwordx2 v[3:4], v[3:4]
.LBB119_4:
	s_waitcnt vmcnt(0) lgkmcnt(0)
	v_cmp_neq_f64_e32 vcc, 0, v[1:2]
	v_cmp_neq_f64_e64 s[0:1], 1.0, v[3:4]
	s_or_b64 s[0:1], vcc, s[0:1]
	s_and_saveexec_b64 s[8:9], s[0:1]
	s_cbranch_execz .LBB119_23
; %bb.5:
	s_load_dwordx2 s[0:1], s[4:5], 0x0
	v_lshrrev_b32_e32 v5, 5, v0
	v_lshl_or_b32 v5, s6, 2, v5
	s_waitcnt lgkmcnt(0)
	v_cmp_gt_i32_e32 vcc, s0, v5
	s_and_b64 exec, exec, vcc
	s_cbranch_execz .LBB119_23
; %bb.6:
	s_load_dwordx8 s[8:15], s[4:5], 0x10
	v_ashrrev_i32_e32 v6, 31, v5
	v_lshlrev_b64 v[6:7], 2, v[5:6]
	v_and_b32_e32 v0, 31, v0
	s_cmp_lg_u32 s1, 0
	s_waitcnt lgkmcnt(0)
	v_mov_b32_e32 v8, s9
	v_add_co_u32_e32 v6, vcc, s8, v6
	v_addc_co_u32_e32 v7, vcc, v8, v7, vcc
	global_load_dwordx2 v[6:7], v[6:7], off
	s_waitcnt vmcnt(0)
	v_subrev_u32_e32 v6, s2, v6
	v_subrev_u32_e32 v18, s2, v7
	v_add_u32_e32 v6, v6, v0
	v_cmp_lt_i32_e64 s[0:1], v6, v18
	s_cbranch_scc0 .LBB119_12
; %bb.7:
	v_mov_b32_e32 v10, 0
	v_mov_b32_e32 v8, 0
	v_mov_b32_e32 v11, 0
	v_mov_b32_e32 v9, 0
	s_and_saveexec_b64 s[6:7], s[0:1]
	s_cbranch_execz .LBB119_11
; %bb.8:
	v_mad_u64_u32 v[12:13], s[8:9], v6, 20, 18
	v_mov_b32_e32 v10, 0
	v_mov_b32_e32 v8, 0
	;; [unrolled: 1-line block ×3, first 2 shown]
	s_mov_b64 s[8:9], 0
	v_mov_b32_e32 v7, s11
	v_mov_b32_e32 v15, 0
	;; [unrolled: 1-line block ×6, first 2 shown]
.LBB119_9:                              ; =>This Inner Loop Header: Depth=1
	v_ashrrev_i32_e32 v17, 31, v16
	v_lshlrev_b64 v[21:22], 2, v[16:17]
	v_subrev_u32_e32 v14, 18, v12
	v_lshlrev_b64 v[23:24], 3, v[14:15]
	v_add_co_u32_e32 v29, vcc, s10, v21
	v_mov_b32_e32 v13, v15
	v_addc_co_u32_e32 v30, vcc, v7, v22, vcc
	v_lshlrev_b64 v[25:26], 3, v[12:13]
	v_add_co_u32_e32 v31, vcc, s12, v23
	v_addc_co_u32_e32 v32, vcc, v19, v24, vcc
	v_add_co_u32_e32 v45, vcc, s12, v25
	v_addc_co_u32_e32 v46, vcc, v19, v26, vcc
	global_load_dword v17, v[29:30], off
	global_load_dwordx4 v[21:24], v[31:32], off
	global_load_dwordx4 v[25:28], v[31:32], off offset:16
	v_add_u32_e32 v14, -14, v12
	v_lshlrev_b64 v[13:14], 3, v[14:15]
	v_mov_b32_e32 v42, v15
	v_add_co_u32_e32 v13, vcc, s12, v13
	v_addc_co_u32_e32 v14, vcc, v19, v14, vcc
	global_load_dwordx4 v[29:32], v[13:14], off
	v_add_u32_e32 v16, 32, v16
	s_waitcnt vmcnt(3)
	v_subrev_u32_e32 v13, s2, v17
	v_mul_lo_u32 v41, v13, 10
	v_lshlrev_b64 v[33:34], 3, v[41:42]
	v_add_u32_e32 v14, 2, v41
	v_add_co_u32_e32 v33, vcc, s14, v33
	v_addc_co_u32_e32 v34, vcc, v20, v34, vcc
	global_load_dwordx4 v[33:36], v[33:34], off
	v_lshlrev_b64 v[37:38], 3, v[14:15]
	v_add_u32_e32 v14, -12, v12
	v_add_co_u32_e32 v37, vcc, s14, v37
	v_addc_co_u32_e32 v38, vcc, v20, v38, vcc
	global_load_dwordx4 v[37:40], v[37:38], off
	v_lshlrev_b64 v[42:43], 3, v[14:15]
	v_add_u32_e32 v14, -10, v12
	v_add_co_u32_e32 v42, vcc, s12, v42
	v_addc_co_u32_e32 v43, vcc, v19, v43, vcc
	v_lshlrev_b64 v[47:48], 3, v[14:15]
	v_add_u32_e32 v14, 4, v41
	v_lshlrev_b64 v[49:50], 3, v[14:15]
	v_add_u32_e32 v14, -8, v12
	s_waitcnt vmcnt(1)
	v_fma_f64 v[21:22], v[21:22], v[33:34], v[10:11]
	v_fma_f64 v[23:24], v[23:24], v[33:34], v[8:9]
	global_load_dwordx4 v[8:11], v[42:43], off
	v_add_co_u32_e32 v33, vcc, s12, v47
	v_addc_co_u32_e32 v34, vcc, v19, v48, vcc
	v_fma_f64 v[47:48], v[25:26], v[35:36], v[21:22]
	v_add_co_u32_e32 v25, vcc, s14, v49
	v_addc_co_u32_e32 v26, vcc, v20, v50, vcc
	v_fma_f64 v[35:36], v[27:28], v[35:36], v[23:24]
	global_load_dwordx4 v[21:24], v[33:34], off
	v_lshlrev_b64 v[42:43], 3, v[14:15]
	global_load_dwordx4 v[25:28], v[25:26], off
	v_add_co_u32_e32 v42, vcc, s12, v42
	v_addc_co_u32_e32 v43, vcc, v19, v43, vcc
	s_waitcnt vmcnt(3)
	v_fma_f64 v[47:48], v[29:30], v[37:38], v[47:48]
	v_fma_f64 v[35:36], v[31:32], v[37:38], v[35:36]
	global_load_dwordx4 v[29:32], v[42:43], off
	v_add_u32_e32 v14, -6, v12
	v_lshlrev_b64 v[33:34], 3, v[14:15]
	v_add_u32_e32 v14, 6, v41
	v_lshlrev_b64 v[49:50], 3, v[14:15]
	v_add_co_u32_e32 v33, vcc, s12, v33
	v_addc_co_u32_e32 v34, vcc, v19, v34, vcc
	v_add_u32_e32 v14, -4, v12
	v_lshlrev_b64 v[37:38], 3, v[14:15]
	v_add_u32_e32 v14, -2, v12
	v_add_u32_e32 v12, 0x280, v12
	s_waitcnt vmcnt(3)
	v_fma_f64 v[42:43], v[8:9], v[39:40], v[47:48]
	v_fma_f64 v[47:48], v[10:11], v[39:40], v[35:36]
	global_load_dwordx4 v[8:11], v[33:34], off
	v_add_co_u32_e32 v33, vcc, s14, v49
	v_addc_co_u32_e32 v34, vcc, v20, v50, vcc
	global_load_dwordx4 v[33:36], v[33:34], off
	v_lshlrev_b64 v[39:40], 3, v[14:15]
	v_add_co_u32_e32 v37, vcc, s12, v37
	v_addc_co_u32_e32 v38, vcc, v19, v38, vcc
	v_add_co_u32_e32 v49, vcc, s12, v39
	v_addc_co_u32_e32 v50, vcc, v19, v40, vcc
	global_load_dwordx4 v[37:40], v[37:38], off
	v_add_u32_e32 v14, 8, v41
	v_lshlrev_b64 v[13:14], 3, v[14:15]
	s_waitcnt vmcnt(4)
	v_fma_f64 v[51:52], v[21:22], v[25:26], v[42:43]
	v_add_co_u32_e32 v13, vcc, s14, v13
	v_addc_co_u32_e32 v14, vcc, v20, v14, vcc
	v_fma_f64 v[25:26], v[23:24], v[25:26], v[47:48]
	global_load_dwordx4 v[21:24], v[49:50], off
	global_load_dwordx4 v[41:44], v[13:14], off
	s_waitcnt vmcnt(5)
	v_fma_f64 v[13:14], v[29:30], v[27:28], v[51:52]
	v_cmp_ge_i32_e32 vcc, v16, v18
	s_or_b64 s[8:9], vcc, s[8:9]
	v_fma_f64 v[29:30], v[31:32], v[27:28], v[25:26]
	global_load_dwordx4 v[25:28], v[45:46], off
	s_waitcnt vmcnt(4)
	v_fma_f64 v[8:9], v[8:9], v[33:34], v[13:14]
	v_fma_f64 v[10:11], v[10:11], v[33:34], v[29:30]
	s_waitcnt vmcnt(3)
	v_fma_f64 v[8:9], v[37:38], v[35:36], v[8:9]
	v_fma_f64 v[10:11], v[39:40], v[35:36], v[10:11]
	;; [unrolled: 3-line block ×4, first 2 shown]
	s_andn2_b64 exec, exec, s[8:9]
	s_cbranch_execnz .LBB119_9
; %bb.10:
	s_or_b64 exec, exec, s[8:9]
.LBB119_11:
	s_or_b64 exec, exec, s[6:7]
	s_cbranch_execz .LBB119_13
	s_branch .LBB119_18
.LBB119_12:
                                        ; implicit-def: $vgpr10_vgpr11
                                        ; implicit-def: $vgpr8_vgpr9
.LBB119_13:
	v_mov_b32_e32 v10, 0
	v_mov_b32_e32 v8, 0
	;; [unrolled: 1-line block ×4, first 2 shown]
	s_and_saveexec_b64 s[6:7], s[0:1]
	s_cbranch_execz .LBB119_17
; %bb.14:
	v_mad_u64_u32 v[12:13], s[0:1], v6, 20, 19
	v_mov_b32_e32 v10, 0
	v_mov_b32_e32 v8, 0
	;; [unrolled: 1-line block ×3, first 2 shown]
	s_mov_b64 s[0:1], 0
	v_mov_b32_e32 v16, s11
	v_mov_b32_e32 v15, 0
	;; [unrolled: 1-line block ×5, first 2 shown]
.LBB119_15:                             ; =>This Inner Loop Header: Depth=1
	v_ashrrev_i32_e32 v7, 31, v6
	v_lshlrev_b64 v[22:23], 2, v[6:7]
	v_subrev_u32_e32 v14, 19, v12
	v_lshlrev_b64 v[24:25], 3, v[14:15]
	v_add_co_u32_e32 v28, vcc, s10, v22
	v_addc_co_u32_e32 v29, vcc, v16, v23, vcc
	v_add_u32_e32 v20, -9, v12
	v_mov_b32_e32 v21, v15
	v_add_co_u32_e32 v30, vcc, s12, v24
	v_lshlrev_b64 v[34:35], 3, v[20:21]
	v_addc_co_u32_e32 v31, vcc, v17, v25, vcc
	global_load_dword v7, v[28:29], off
	global_load_dwordx4 v[20:23], v[30:31], off
	global_load_dwordx4 v[24:27], v[30:31], off offset:16
	v_mov_b32_e32 v33, v15
	v_mov_b32_e32 v13, v15
	v_lshlrev_b64 v[36:37], 3, v[12:13]
	v_add_u32_e32 v14, -8, v12
	v_add_u32_e32 v6, 32, v6
	s_waitcnt vmcnt(2)
	v_subrev_u32_e32 v7, s2, v7
	v_mul_lo_u32 v32, v7, 10
	v_lshlrev_b64 v[28:29], 3, v[32:33]
	v_add_co_u32_e32 v28, vcc, s14, v28
	v_addc_co_u32_e32 v29, vcc, v19, v29, vcc
	global_load_dwordx4 v[28:31], v[28:29], off
	s_waitcnt vmcnt(0)
	v_fma_f64 v[10:11], v[20:21], v[28:29], v[10:11]
	v_fma_f64 v[20:21], v[22:23], v[30:31], v[10:11]
	v_add_co_u32_e32 v22, vcc, s12, v34
	v_addc_co_u32_e32 v23, vcc, v17, v35, vcc
	v_lshlrev_b64 v[10:11], 3, v[14:15]
	v_add_co_u32_e32 v33, vcc, s12, v36
	v_addc_co_u32_e32 v34, vcc, v17, v37, vcc
	v_add_co_u32_e32 v10, vcc, s12, v10
	v_addc_co_u32_e32 v11, vcc, v17, v11, vcc
	global_load_dwordx2 v[37:38], v[22:23], off
	global_load_dwordx2 v[39:40], v[10:11], off
	v_add_u32_e32 v14, 2, v32
	v_lshlrev_b64 v[13:14], 3, v[14:15]
	v_add_co_u32_e32 v35, vcc, s14, v13
	v_addc_co_u32_e32 v36, vcc, v19, v14, vcc
	v_add_u32_e32 v14, -7, v12
	v_lshlrev_b64 v[22:23], 3, v[14:15]
	v_add_u32_e32 v14, -6, v12
	v_add_co_u32_e32 v22, vcc, s12, v22
	v_addc_co_u32_e32 v23, vcc, v17, v23, vcc
	s_waitcnt vmcnt(1)
	v_fma_f64 v[7:8], v[37:38], v[28:29], v[8:9]
	s_waitcnt vmcnt(0)
	v_fma_f64 v[28:29], v[39:40], v[30:31], v[7:8]
	global_load_dwordx4 v[7:10], v[35:36], off
	v_lshlrev_b64 v[30:31], 3, v[14:15]
	v_add_u32_e32 v14, -15, v12
	v_add_co_u32_e32 v30, vcc, s12, v30
	v_addc_co_u32_e32 v31, vcc, v17, v31, vcc
	global_load_dwordx2 v[37:38], v[22:23], off
	global_load_dwordx2 v[39:40], v[30:31], off
	v_lshlrev_b64 v[35:36], 3, v[14:15]
	v_add_u32_e32 v14, 4, v32
	s_waitcnt vmcnt(2)
	v_fma_f64 v[20:21], v[24:25], v[7:8], v[20:21]
	v_lshlrev_b64 v[24:25], 3, v[14:15]
	v_add_u32_e32 v14, -5, v12
	v_lshlrev_b64 v[13:14], 3, v[14:15]
	s_waitcnt vmcnt(1)
	v_fma_f64 v[7:8], v[37:38], v[7:8], v[28:29]
	v_fma_f64 v[20:21], v[26:27], v[9:10], v[20:21]
	v_add_co_u32_e32 v26, vcc, s12, v35
	v_addc_co_u32_e32 v27, vcc, v17, v36, vcc
	v_add_co_u32_e32 v24, vcc, s14, v24
	v_addc_co_u32_e32 v25, vcc, v19, v25, vcc
	;; [unrolled: 2-line block ×3, first 2 shown]
	v_add_u32_e32 v14, -14, v12
	global_load_dwordx2 v[22:23], v[26:27], off
	v_lshlrev_b64 v[26:27], 3, v[14:15]
	v_add_u32_e32 v14, -4, v12
	s_waitcnt vmcnt(1)
	v_fma_f64 v[28:29], v[39:40], v[9:10], v[7:8]
	v_lshlrev_b64 v[7:8], 3, v[14:15]
	v_add_co_u32_e32 v26, vcc, s12, v26
	v_add_u32_e32 v14, -13, v12
	v_addc_co_u32_e32 v27, vcc, v17, v27, vcc
	v_lshlrev_b64 v[9:10], 3, v[14:15]
	v_add_co_u32_e32 v30, vcc, s12, v7
	v_add_u32_e32 v14, 6, v32
	v_addc_co_u32_e32 v31, vcc, v17, v8, vcc
	v_add_co_u32_e32 v37, vcc, s12, v9
	v_lshlrev_b64 v[7:8], 3, v[14:15]
	v_addc_co_u32_e32 v38, vcc, v17, v10, vcc
	v_add_co_u32_e32 v39, vcc, s14, v7
	v_add_u32_e32 v14, -3, v12
	v_addc_co_u32_e32 v40, vcc, v19, v8, vcc
	v_lshlrev_b64 v[7:8], 3, v[14:15]
	v_add_co_u32_e32 v41, vcc, s12, v7
	v_addc_co_u32_e32 v42, vcc, v17, v8, vcc
	global_load_dwordx4 v[7:10], v[24:25], off
	s_waitcnt vmcnt(0)
	v_fma_f64 v[20:21], v[22:23], v[7:8], v[20:21]
	global_load_dwordx2 v[13:14], v[35:36], off
	global_load_dwordx2 v[22:23], v[26:27], off
	;; [unrolled: 1-line block ×4, first 2 shown]
	s_waitcnt vmcnt(3)
	v_fma_f64 v[7:8], v[13:14], v[7:8], v[28:29]
	v_add_u32_e32 v14, -12, v12
	s_waitcnt vmcnt(2)
	v_fma_f64 v[20:21], v[22:23], v[9:10], v[20:21]
	v_lshlrev_b64 v[22:23], 3, v[14:15]
	v_add_u32_e32 v14, -2, v12
	v_add_co_u32_e32 v22, vcc, s12, v22
	v_addc_co_u32_e32 v23, vcc, v17, v23, vcc
	s_waitcnt vmcnt(1)
	v_fma_f64 v[24:25], v[24:25], v[9:10], v[7:8]
	v_lshlrev_b64 v[7:8], 3, v[14:15]
	v_add_u32_e32 v14, -11, v12
	v_lshlrev_b64 v[9:10], 3, v[14:15]
	v_add_co_u32_e32 v26, vcc, s12, v7
	v_add_u32_e32 v14, 8, v32
	v_addc_co_u32_e32 v27, vcc, v17, v8, vcc
	v_lshlrev_b64 v[7:8], 3, v[14:15]
	v_add_co_u32_e32 v28, vcc, s12, v9
	v_addc_co_u32_e32 v29, vcc, v17, v10, vcc
	v_add_u32_e32 v14, -1, v12
	v_add_co_u32_e32 v30, vcc, s14, v7
	v_addc_co_u32_e32 v31, vcc, v19, v8, vcc
	v_lshlrev_b64 v[7:8], 3, v[14:15]
	v_add_u32_e32 v14, -10, v12
	v_add_co_u32_e32 v35, vcc, s12, v7
	v_addc_co_u32_e32 v36, vcc, v17, v8, vcc
	v_lshlrev_b64 v[7:8], 3, v[14:15]
	v_add_u32_e32 v12, 0x280, v12
	v_add_co_u32_e32 v13, vcc, s12, v7
	v_addc_co_u32_e32 v14, vcc, v17, v8, vcc
	global_load_dwordx4 v[7:10], v[39:40], off
	v_cmp_ge_i32_e32 vcc, v6, v18
	s_or_b64 s[0:1], vcc, s[0:1]
	s_waitcnt vmcnt(0)
	v_fma_f64 v[20:21], v[43:44], v[7:8], v[20:21]
	global_load_dwordx2 v[37:38], v[41:42], off
	global_load_dwordx2 v[39:40], v[22:23], off
	;; [unrolled: 1-line block ×4, first 2 shown]
	s_waitcnt vmcnt(3)
	v_fma_f64 v[7:8], v[37:38], v[7:8], v[24:25]
	s_waitcnt vmcnt(2)
	v_fma_f64 v[24:25], v[39:40], v[9:10], v[20:21]
	global_load_dwordx4 v[20:23], v[30:31], off
	global_load_dwordx2 v[26:27], v[35:36], off
	global_load_dwordx2 v[28:29], v[13:14], off
	;; [unrolled: 1-line block ×3, first 2 shown]
	s_waitcnt vmcnt(5)
	v_fma_f64 v[7:8], v[43:44], v[9:10], v[7:8]
	s_waitcnt vmcnt(3)
	v_fma_f64 v[9:10], v[45:46], v[20:21], v[24:25]
	;; [unrolled: 2-line block ×5, first 2 shown]
	s_andn2_b64 exec, exec, s[0:1]
	s_cbranch_execnz .LBB119_15
; %bb.16:
	s_or_b64 exec, exec, s[0:1]
.LBB119_17:
	s_or_b64 exec, exec, s[6:7]
.LBB119_18:
	v_mov_b32_dpp v6, v10 row_shr:1 row_mask:0xf bank_mask:0xf
	v_mov_b32_dpp v7, v11 row_shr:1 row_mask:0xf bank_mask:0xf
	v_add_f64 v[6:7], v[10:11], v[6:7]
	v_mov_b32_dpp v10, v8 row_shr:1 row_mask:0xf bank_mask:0xf
	v_mov_b32_dpp v11, v9 row_shr:1 row_mask:0xf bank_mask:0xf
	v_add_f64 v[8:9], v[8:9], v[10:11]
	v_cmp_eq_u32_e32 vcc, 31, v0
	v_mov_b32_dpp v10, v6 row_shr:2 row_mask:0xf bank_mask:0xf
	v_mov_b32_dpp v11, v7 row_shr:2 row_mask:0xf bank_mask:0xf
	v_add_f64 v[6:7], v[6:7], v[10:11]
	v_mov_b32_dpp v12, v8 row_shr:2 row_mask:0xf bank_mask:0xf
	v_mov_b32_dpp v13, v9 row_shr:2 row_mask:0xf bank_mask:0xf
	v_add_f64 v[8:9], v[8:9], v[12:13]
	;; [unrolled: 3-line block ×6, first 2 shown]
	v_mov_b32_dpp v8, v6 row_bcast:15 row_mask:0xa bank_mask:0xf
	v_mov_b32_dpp v9, v7 row_bcast:15 row_mask:0xa bank_mask:0xf
	;; [unrolled: 1-line block ×4, first 2 shown]
	s_and_b64 exec, exec, vcc
	s_cbranch_execz .LBB119_23
; %bb.19:
	v_add_f64 v[8:9], v[6:7], v[8:9]
	v_add_f64 v[6:7], v[10:11], v[12:13]
	v_cmp_eq_f64_e32 vcc, 0, v[3:4]
	s_load_dwordx2 s[0:1], s[4:5], 0x38
	s_and_saveexec_b64 s[2:3], vcc
	s_xor_b64 s[2:3], exec, s[2:3]
	s_cbranch_execz .LBB119_21
; %bb.20:
	v_mul_f64 v[3:4], v[1:2], v[8:9]
	v_lshlrev_b32_e32 v0, 1, v5
	v_mul_f64 v[5:6], v[1:2], v[6:7]
	v_ashrrev_i32_e32 v1, 31, v0
	v_lshlrev_b64 v[0:1], 3, v[0:1]
	s_waitcnt lgkmcnt(0)
	v_mov_b32_e32 v2, s1
	v_add_co_u32_e32 v0, vcc, s0, v0
	v_addc_co_u32_e32 v1, vcc, v2, v1, vcc
	global_store_dwordx4 v[0:1], v[3:6], off
                                        ; implicit-def: $vgpr5
                                        ; implicit-def: $vgpr1_vgpr2
                                        ; implicit-def: $vgpr8_vgpr9
                                        ; implicit-def: $vgpr3_vgpr4
                                        ; implicit-def: $vgpr6_vgpr7
.LBB119_21:
	s_andn2_saveexec_b64 s[2:3], s[2:3]
	s_cbranch_execz .LBB119_23
; %bb.22:
	v_lshlrev_b32_e32 v10, 1, v5
	v_ashrrev_i32_e32 v11, 31, v10
	v_lshlrev_b64 v[10:11], 3, v[10:11]
	s_waitcnt lgkmcnt(0)
	v_mov_b32_e32 v0, s1
	v_add_co_u32_e32 v14, vcc, s0, v10
	v_addc_co_u32_e32 v15, vcc, v0, v11, vcc
	global_load_dwordx4 v[10:13], v[14:15], off
	v_mul_f64 v[8:9], v[1:2], v[8:9]
	v_mul_f64 v[5:6], v[1:2], v[6:7]
	s_waitcnt vmcnt(0)
	v_fma_f64 v[0:1], v[3:4], v[10:11], v[8:9]
	v_fma_f64 v[2:3], v[3:4], v[12:13], v[5:6]
	global_store_dwordx4 v[14:15], v[0:3], off
.LBB119_23:
	s_endpgm
	.section	.rodata,"a",@progbits
	.p2align	6, 0x0
	.amdhsa_kernel _ZN9rocsparseL19gebsrmvn_2xn_kernelILj128ELj10ELj32EdEEvi20rocsparse_direction_NS_24const_host_device_scalarIT2_EEPKiS6_PKS3_S8_S4_PS3_21rocsparse_index_base_b
		.amdhsa_group_segment_fixed_size 0
		.amdhsa_private_segment_fixed_size 0
		.amdhsa_kernarg_size 72
		.amdhsa_user_sgpr_count 6
		.amdhsa_user_sgpr_private_segment_buffer 1
		.amdhsa_user_sgpr_dispatch_ptr 0
		.amdhsa_user_sgpr_queue_ptr 0
		.amdhsa_user_sgpr_kernarg_segment_ptr 1
		.amdhsa_user_sgpr_dispatch_id 0
		.amdhsa_user_sgpr_flat_scratch_init 0
		.amdhsa_user_sgpr_private_segment_size 0
		.amdhsa_uses_dynamic_stack 0
		.amdhsa_system_sgpr_private_segment_wavefront_offset 0
		.amdhsa_system_sgpr_workgroup_id_x 1
		.amdhsa_system_sgpr_workgroup_id_y 0
		.amdhsa_system_sgpr_workgroup_id_z 0
		.amdhsa_system_sgpr_workgroup_info 0
		.amdhsa_system_vgpr_workitem_id 0
		.amdhsa_next_free_vgpr 53
		.amdhsa_next_free_sgpr 16
		.amdhsa_reserve_vcc 1
		.amdhsa_reserve_flat_scratch 0
		.amdhsa_float_round_mode_32 0
		.amdhsa_float_round_mode_16_64 0
		.amdhsa_float_denorm_mode_32 3
		.amdhsa_float_denorm_mode_16_64 3
		.amdhsa_dx10_clamp 1
		.amdhsa_ieee_mode 1
		.amdhsa_fp16_overflow 0
		.amdhsa_exception_fp_ieee_invalid_op 0
		.amdhsa_exception_fp_denorm_src 0
		.amdhsa_exception_fp_ieee_div_zero 0
		.amdhsa_exception_fp_ieee_overflow 0
		.amdhsa_exception_fp_ieee_underflow 0
		.amdhsa_exception_fp_ieee_inexact 0
		.amdhsa_exception_int_div_zero 0
	.end_amdhsa_kernel
	.section	.text._ZN9rocsparseL19gebsrmvn_2xn_kernelILj128ELj10ELj32EdEEvi20rocsparse_direction_NS_24const_host_device_scalarIT2_EEPKiS6_PKS3_S8_S4_PS3_21rocsparse_index_base_b,"axG",@progbits,_ZN9rocsparseL19gebsrmvn_2xn_kernelILj128ELj10ELj32EdEEvi20rocsparse_direction_NS_24const_host_device_scalarIT2_EEPKiS6_PKS3_S8_S4_PS3_21rocsparse_index_base_b,comdat
.Lfunc_end119:
	.size	_ZN9rocsparseL19gebsrmvn_2xn_kernelILj128ELj10ELj32EdEEvi20rocsparse_direction_NS_24const_host_device_scalarIT2_EEPKiS6_PKS3_S8_S4_PS3_21rocsparse_index_base_b, .Lfunc_end119-_ZN9rocsparseL19gebsrmvn_2xn_kernelILj128ELj10ELj32EdEEvi20rocsparse_direction_NS_24const_host_device_scalarIT2_EEPKiS6_PKS3_S8_S4_PS3_21rocsparse_index_base_b
                                        ; -- End function
	.set _ZN9rocsparseL19gebsrmvn_2xn_kernelILj128ELj10ELj32EdEEvi20rocsparse_direction_NS_24const_host_device_scalarIT2_EEPKiS6_PKS3_S8_S4_PS3_21rocsparse_index_base_b.num_vgpr, 53
	.set _ZN9rocsparseL19gebsrmvn_2xn_kernelILj128ELj10ELj32EdEEvi20rocsparse_direction_NS_24const_host_device_scalarIT2_EEPKiS6_PKS3_S8_S4_PS3_21rocsparse_index_base_b.num_agpr, 0
	.set _ZN9rocsparseL19gebsrmvn_2xn_kernelILj128ELj10ELj32EdEEvi20rocsparse_direction_NS_24const_host_device_scalarIT2_EEPKiS6_PKS3_S8_S4_PS3_21rocsparse_index_base_b.numbered_sgpr, 16
	.set _ZN9rocsparseL19gebsrmvn_2xn_kernelILj128ELj10ELj32EdEEvi20rocsparse_direction_NS_24const_host_device_scalarIT2_EEPKiS6_PKS3_S8_S4_PS3_21rocsparse_index_base_b.num_named_barrier, 0
	.set _ZN9rocsparseL19gebsrmvn_2xn_kernelILj128ELj10ELj32EdEEvi20rocsparse_direction_NS_24const_host_device_scalarIT2_EEPKiS6_PKS3_S8_S4_PS3_21rocsparse_index_base_b.private_seg_size, 0
	.set _ZN9rocsparseL19gebsrmvn_2xn_kernelILj128ELj10ELj32EdEEvi20rocsparse_direction_NS_24const_host_device_scalarIT2_EEPKiS6_PKS3_S8_S4_PS3_21rocsparse_index_base_b.uses_vcc, 1
	.set _ZN9rocsparseL19gebsrmvn_2xn_kernelILj128ELj10ELj32EdEEvi20rocsparse_direction_NS_24const_host_device_scalarIT2_EEPKiS6_PKS3_S8_S4_PS3_21rocsparse_index_base_b.uses_flat_scratch, 0
	.set _ZN9rocsparseL19gebsrmvn_2xn_kernelILj128ELj10ELj32EdEEvi20rocsparse_direction_NS_24const_host_device_scalarIT2_EEPKiS6_PKS3_S8_S4_PS3_21rocsparse_index_base_b.has_dyn_sized_stack, 0
	.set _ZN9rocsparseL19gebsrmvn_2xn_kernelILj128ELj10ELj32EdEEvi20rocsparse_direction_NS_24const_host_device_scalarIT2_EEPKiS6_PKS3_S8_S4_PS3_21rocsparse_index_base_b.has_recursion, 0
	.set _ZN9rocsparseL19gebsrmvn_2xn_kernelILj128ELj10ELj32EdEEvi20rocsparse_direction_NS_24const_host_device_scalarIT2_EEPKiS6_PKS3_S8_S4_PS3_21rocsparse_index_base_b.has_indirect_call, 0
	.section	.AMDGPU.csdata,"",@progbits
; Kernel info:
; codeLenInByte = 2440
; TotalNumSgprs: 20
; NumVgprs: 53
; ScratchSize: 0
; MemoryBound: 0
; FloatMode: 240
; IeeeMode: 1
; LDSByteSize: 0 bytes/workgroup (compile time only)
; SGPRBlocks: 2
; VGPRBlocks: 13
; NumSGPRsForWavesPerEU: 20
; NumVGPRsForWavesPerEU: 53
; Occupancy: 4
; WaveLimiterHint : 1
; COMPUTE_PGM_RSRC2:SCRATCH_EN: 0
; COMPUTE_PGM_RSRC2:USER_SGPR: 6
; COMPUTE_PGM_RSRC2:TRAP_HANDLER: 0
; COMPUTE_PGM_RSRC2:TGID_X_EN: 1
; COMPUTE_PGM_RSRC2:TGID_Y_EN: 0
; COMPUTE_PGM_RSRC2:TGID_Z_EN: 0
; COMPUTE_PGM_RSRC2:TIDIG_COMP_CNT: 0
	.section	.text._ZN9rocsparseL19gebsrmvn_2xn_kernelILj128ELj10ELj64EdEEvi20rocsparse_direction_NS_24const_host_device_scalarIT2_EEPKiS6_PKS3_S8_S4_PS3_21rocsparse_index_base_b,"axG",@progbits,_ZN9rocsparseL19gebsrmvn_2xn_kernelILj128ELj10ELj64EdEEvi20rocsparse_direction_NS_24const_host_device_scalarIT2_EEPKiS6_PKS3_S8_S4_PS3_21rocsparse_index_base_b,comdat
	.globl	_ZN9rocsparseL19gebsrmvn_2xn_kernelILj128ELj10ELj64EdEEvi20rocsparse_direction_NS_24const_host_device_scalarIT2_EEPKiS6_PKS3_S8_S4_PS3_21rocsparse_index_base_b ; -- Begin function _ZN9rocsparseL19gebsrmvn_2xn_kernelILj128ELj10ELj64EdEEvi20rocsparse_direction_NS_24const_host_device_scalarIT2_EEPKiS6_PKS3_S8_S4_PS3_21rocsparse_index_base_b
	.p2align	8
	.type	_ZN9rocsparseL19gebsrmvn_2xn_kernelILj128ELj10ELj64EdEEvi20rocsparse_direction_NS_24const_host_device_scalarIT2_EEPKiS6_PKS3_S8_S4_PS3_21rocsparse_index_base_b,@function
_ZN9rocsparseL19gebsrmvn_2xn_kernelILj128ELj10ELj64EdEEvi20rocsparse_direction_NS_24const_host_device_scalarIT2_EEPKiS6_PKS3_S8_S4_PS3_21rocsparse_index_base_b: ; @_ZN9rocsparseL19gebsrmvn_2xn_kernelILj128ELj10ELj64EdEEvi20rocsparse_direction_NS_24const_host_device_scalarIT2_EEPKiS6_PKS3_S8_S4_PS3_21rocsparse_index_base_b
; %bb.0:
	s_load_dwordx2 s[2:3], s[4:5], 0x40
	s_load_dwordx2 s[10:11], s[4:5], 0x8
	;; [unrolled: 1-line block ×3, first 2 shown]
	s_waitcnt lgkmcnt(0)
	s_bitcmp1_b32 s3, 0
	s_cselect_b64 s[12:13], -1, 0
	v_mov_b32_e32 v1, s10
	s_xor_b64 s[8:9], s[12:13], -1
	s_and_b64 vcc, exec, s[12:13]
	v_mov_b32_e32 v2, s11
	s_cbranch_vccnz .LBB120_2
; %bb.1:
	v_mov_b32_e32 v1, s10
	v_mov_b32_e32 v2, s11
	flat_load_dwordx2 v[1:2], v[1:2]
.LBB120_2:
	v_mov_b32_e32 v4, s1
	s_andn2_b64 vcc, exec, s[8:9]
	v_mov_b32_e32 v3, s0
	s_cbranch_vccnz .LBB120_4
; %bb.3:
	v_mov_b32_e32 v4, s1
	v_mov_b32_e32 v3, s0
	flat_load_dwordx2 v[3:4], v[3:4]
.LBB120_4:
	s_waitcnt vmcnt(0) lgkmcnt(0)
	v_cmp_neq_f64_e32 vcc, 0, v[1:2]
	v_cmp_neq_f64_e64 s[0:1], 1.0, v[3:4]
	s_or_b64 s[0:1], vcc, s[0:1]
	s_and_saveexec_b64 s[8:9], s[0:1]
	s_cbranch_execz .LBB120_23
; %bb.5:
	s_load_dwordx2 s[0:1], s[4:5], 0x0
	v_lshrrev_b32_e32 v5, 6, v0
	v_lshl_or_b32 v5, s6, 1, v5
	s_waitcnt lgkmcnt(0)
	v_cmp_gt_i32_e32 vcc, s0, v5
	s_and_b64 exec, exec, vcc
	s_cbranch_execz .LBB120_23
; %bb.6:
	s_load_dwordx8 s[8:15], s[4:5], 0x10
	v_ashrrev_i32_e32 v6, 31, v5
	v_lshlrev_b64 v[6:7], 2, v[5:6]
	v_and_b32_e32 v0, 63, v0
	s_cmp_lg_u32 s1, 0
	s_waitcnt lgkmcnt(0)
	v_mov_b32_e32 v8, s9
	v_add_co_u32_e32 v6, vcc, s8, v6
	v_addc_co_u32_e32 v7, vcc, v8, v7, vcc
	global_load_dwordx2 v[6:7], v[6:7], off
	s_waitcnt vmcnt(0)
	v_subrev_u32_e32 v6, s2, v6
	v_subrev_u32_e32 v18, s2, v7
	v_add_u32_e32 v6, v6, v0
	v_cmp_lt_i32_e64 s[0:1], v6, v18
	s_cbranch_scc0 .LBB120_12
; %bb.7:
	v_mov_b32_e32 v10, 0
	v_mov_b32_e32 v8, 0
	;; [unrolled: 1-line block ×4, first 2 shown]
	s_and_saveexec_b64 s[6:7], s[0:1]
	s_cbranch_execz .LBB120_11
; %bb.8:
	v_mad_u64_u32 v[12:13], s[8:9], v6, 20, 18
	v_mov_b32_e32 v10, 0
	v_mov_b32_e32 v8, 0
	;; [unrolled: 1-line block ×3, first 2 shown]
	s_mov_b64 s[8:9], 0
	v_mov_b32_e32 v7, s11
	v_mov_b32_e32 v15, 0
	;; [unrolled: 1-line block ×6, first 2 shown]
.LBB120_9:                              ; =>This Inner Loop Header: Depth=1
	v_ashrrev_i32_e32 v17, 31, v16
	v_lshlrev_b64 v[21:22], 2, v[16:17]
	v_subrev_u32_e32 v14, 18, v12
	v_lshlrev_b64 v[23:24], 3, v[14:15]
	v_add_co_u32_e32 v29, vcc, s10, v21
	v_mov_b32_e32 v13, v15
	v_addc_co_u32_e32 v30, vcc, v7, v22, vcc
	v_lshlrev_b64 v[25:26], 3, v[12:13]
	v_add_co_u32_e32 v31, vcc, s12, v23
	v_addc_co_u32_e32 v32, vcc, v19, v24, vcc
	v_add_co_u32_e32 v45, vcc, s12, v25
	v_addc_co_u32_e32 v46, vcc, v19, v26, vcc
	global_load_dword v17, v[29:30], off
	global_load_dwordx4 v[21:24], v[31:32], off
	global_load_dwordx4 v[25:28], v[31:32], off offset:16
	v_add_u32_e32 v14, -14, v12
	v_lshlrev_b64 v[13:14], 3, v[14:15]
	v_mov_b32_e32 v42, v15
	v_add_co_u32_e32 v13, vcc, s12, v13
	v_addc_co_u32_e32 v14, vcc, v19, v14, vcc
	global_load_dwordx4 v[29:32], v[13:14], off
	v_add_u32_e32 v16, 64, v16
	s_waitcnt vmcnt(3)
	v_subrev_u32_e32 v13, s2, v17
	v_mul_lo_u32 v41, v13, 10
	v_lshlrev_b64 v[33:34], 3, v[41:42]
	v_add_u32_e32 v14, 2, v41
	v_add_co_u32_e32 v33, vcc, s14, v33
	v_addc_co_u32_e32 v34, vcc, v20, v34, vcc
	global_load_dwordx4 v[33:36], v[33:34], off
	v_lshlrev_b64 v[37:38], 3, v[14:15]
	v_add_u32_e32 v14, -12, v12
	v_add_co_u32_e32 v37, vcc, s14, v37
	v_addc_co_u32_e32 v38, vcc, v20, v38, vcc
	global_load_dwordx4 v[37:40], v[37:38], off
	v_lshlrev_b64 v[42:43], 3, v[14:15]
	v_add_u32_e32 v14, -10, v12
	v_add_co_u32_e32 v42, vcc, s12, v42
	v_addc_co_u32_e32 v43, vcc, v19, v43, vcc
	v_lshlrev_b64 v[47:48], 3, v[14:15]
	v_add_u32_e32 v14, 4, v41
	v_lshlrev_b64 v[49:50], 3, v[14:15]
	v_add_u32_e32 v14, -8, v12
	s_waitcnt vmcnt(1)
	v_fma_f64 v[21:22], v[21:22], v[33:34], v[10:11]
	v_fma_f64 v[23:24], v[23:24], v[33:34], v[8:9]
	global_load_dwordx4 v[8:11], v[42:43], off
	v_add_co_u32_e32 v33, vcc, s12, v47
	v_addc_co_u32_e32 v34, vcc, v19, v48, vcc
	v_fma_f64 v[47:48], v[25:26], v[35:36], v[21:22]
	v_add_co_u32_e32 v25, vcc, s14, v49
	v_addc_co_u32_e32 v26, vcc, v20, v50, vcc
	v_fma_f64 v[35:36], v[27:28], v[35:36], v[23:24]
	global_load_dwordx4 v[21:24], v[33:34], off
	v_lshlrev_b64 v[42:43], 3, v[14:15]
	global_load_dwordx4 v[25:28], v[25:26], off
	v_add_co_u32_e32 v42, vcc, s12, v42
	v_addc_co_u32_e32 v43, vcc, v19, v43, vcc
	s_waitcnt vmcnt(3)
	v_fma_f64 v[47:48], v[29:30], v[37:38], v[47:48]
	v_fma_f64 v[35:36], v[31:32], v[37:38], v[35:36]
	global_load_dwordx4 v[29:32], v[42:43], off
	v_add_u32_e32 v14, -6, v12
	v_lshlrev_b64 v[33:34], 3, v[14:15]
	v_add_u32_e32 v14, 6, v41
	v_lshlrev_b64 v[49:50], 3, v[14:15]
	v_add_co_u32_e32 v33, vcc, s12, v33
	v_addc_co_u32_e32 v34, vcc, v19, v34, vcc
	v_add_u32_e32 v14, -4, v12
	v_lshlrev_b64 v[37:38], 3, v[14:15]
	v_add_u32_e32 v14, -2, v12
	v_add_u32_e32 v12, 0x500, v12
	s_waitcnt vmcnt(3)
	v_fma_f64 v[42:43], v[8:9], v[39:40], v[47:48]
	v_fma_f64 v[47:48], v[10:11], v[39:40], v[35:36]
	global_load_dwordx4 v[8:11], v[33:34], off
	v_add_co_u32_e32 v33, vcc, s14, v49
	v_addc_co_u32_e32 v34, vcc, v20, v50, vcc
	global_load_dwordx4 v[33:36], v[33:34], off
	v_lshlrev_b64 v[39:40], 3, v[14:15]
	v_add_co_u32_e32 v37, vcc, s12, v37
	v_addc_co_u32_e32 v38, vcc, v19, v38, vcc
	v_add_co_u32_e32 v49, vcc, s12, v39
	v_addc_co_u32_e32 v50, vcc, v19, v40, vcc
	global_load_dwordx4 v[37:40], v[37:38], off
	v_add_u32_e32 v14, 8, v41
	v_lshlrev_b64 v[13:14], 3, v[14:15]
	s_waitcnt vmcnt(4)
	v_fma_f64 v[51:52], v[21:22], v[25:26], v[42:43]
	v_add_co_u32_e32 v13, vcc, s14, v13
	v_addc_co_u32_e32 v14, vcc, v20, v14, vcc
	v_fma_f64 v[25:26], v[23:24], v[25:26], v[47:48]
	global_load_dwordx4 v[21:24], v[49:50], off
	global_load_dwordx4 v[41:44], v[13:14], off
	s_waitcnt vmcnt(5)
	v_fma_f64 v[13:14], v[29:30], v[27:28], v[51:52]
	v_cmp_ge_i32_e32 vcc, v16, v18
	s_or_b64 s[8:9], vcc, s[8:9]
	v_fma_f64 v[29:30], v[31:32], v[27:28], v[25:26]
	global_load_dwordx4 v[25:28], v[45:46], off
	s_waitcnt vmcnt(4)
	v_fma_f64 v[8:9], v[8:9], v[33:34], v[13:14]
	v_fma_f64 v[10:11], v[10:11], v[33:34], v[29:30]
	s_waitcnt vmcnt(3)
	v_fma_f64 v[8:9], v[37:38], v[35:36], v[8:9]
	v_fma_f64 v[10:11], v[39:40], v[35:36], v[10:11]
	;; [unrolled: 3-line block ×4, first 2 shown]
	s_andn2_b64 exec, exec, s[8:9]
	s_cbranch_execnz .LBB120_9
; %bb.10:
	s_or_b64 exec, exec, s[8:9]
.LBB120_11:
	s_or_b64 exec, exec, s[6:7]
	s_cbranch_execz .LBB120_13
	s_branch .LBB120_18
.LBB120_12:
                                        ; implicit-def: $vgpr10_vgpr11
                                        ; implicit-def: $vgpr8_vgpr9
.LBB120_13:
	v_mov_b32_e32 v10, 0
	v_mov_b32_e32 v8, 0
	v_mov_b32_e32 v11, 0
	v_mov_b32_e32 v9, 0
	s_and_saveexec_b64 s[6:7], s[0:1]
	s_cbranch_execz .LBB120_17
; %bb.14:
	v_mad_u64_u32 v[12:13], s[0:1], v6, 20, 19
	v_mov_b32_e32 v10, 0
	v_mov_b32_e32 v8, 0
	;; [unrolled: 1-line block ×3, first 2 shown]
	s_mov_b64 s[0:1], 0
	v_mov_b32_e32 v16, s11
	v_mov_b32_e32 v15, 0
	;; [unrolled: 1-line block ×5, first 2 shown]
.LBB120_15:                             ; =>This Inner Loop Header: Depth=1
	v_ashrrev_i32_e32 v7, 31, v6
	v_lshlrev_b64 v[22:23], 2, v[6:7]
	v_subrev_u32_e32 v14, 19, v12
	v_lshlrev_b64 v[24:25], 3, v[14:15]
	v_add_co_u32_e32 v28, vcc, s10, v22
	v_addc_co_u32_e32 v29, vcc, v16, v23, vcc
	v_add_u32_e32 v20, -9, v12
	v_mov_b32_e32 v21, v15
	v_add_co_u32_e32 v30, vcc, s12, v24
	v_lshlrev_b64 v[34:35], 3, v[20:21]
	v_addc_co_u32_e32 v31, vcc, v17, v25, vcc
	global_load_dword v7, v[28:29], off
	global_load_dwordx4 v[20:23], v[30:31], off
	global_load_dwordx4 v[24:27], v[30:31], off offset:16
	v_mov_b32_e32 v33, v15
	v_mov_b32_e32 v13, v15
	v_lshlrev_b64 v[36:37], 3, v[12:13]
	v_add_u32_e32 v14, -8, v12
	v_add_u32_e32 v6, 64, v6
	s_waitcnt vmcnt(2)
	v_subrev_u32_e32 v7, s2, v7
	v_mul_lo_u32 v32, v7, 10
	v_lshlrev_b64 v[28:29], 3, v[32:33]
	v_add_co_u32_e32 v28, vcc, s14, v28
	v_addc_co_u32_e32 v29, vcc, v19, v29, vcc
	global_load_dwordx4 v[28:31], v[28:29], off
	s_waitcnt vmcnt(0)
	v_fma_f64 v[10:11], v[20:21], v[28:29], v[10:11]
	v_fma_f64 v[20:21], v[22:23], v[30:31], v[10:11]
	v_add_co_u32_e32 v22, vcc, s12, v34
	v_addc_co_u32_e32 v23, vcc, v17, v35, vcc
	v_lshlrev_b64 v[10:11], 3, v[14:15]
	v_add_co_u32_e32 v33, vcc, s12, v36
	v_addc_co_u32_e32 v34, vcc, v17, v37, vcc
	v_add_co_u32_e32 v10, vcc, s12, v10
	v_addc_co_u32_e32 v11, vcc, v17, v11, vcc
	global_load_dwordx2 v[37:38], v[22:23], off
	global_load_dwordx2 v[39:40], v[10:11], off
	v_add_u32_e32 v14, 2, v32
	v_lshlrev_b64 v[13:14], 3, v[14:15]
	v_add_co_u32_e32 v35, vcc, s14, v13
	v_addc_co_u32_e32 v36, vcc, v19, v14, vcc
	v_add_u32_e32 v14, -7, v12
	v_lshlrev_b64 v[22:23], 3, v[14:15]
	v_add_u32_e32 v14, -6, v12
	v_add_co_u32_e32 v22, vcc, s12, v22
	v_addc_co_u32_e32 v23, vcc, v17, v23, vcc
	s_waitcnt vmcnt(1)
	v_fma_f64 v[7:8], v[37:38], v[28:29], v[8:9]
	s_waitcnt vmcnt(0)
	v_fma_f64 v[28:29], v[39:40], v[30:31], v[7:8]
	global_load_dwordx4 v[7:10], v[35:36], off
	v_lshlrev_b64 v[30:31], 3, v[14:15]
	v_add_u32_e32 v14, -15, v12
	v_add_co_u32_e32 v30, vcc, s12, v30
	v_addc_co_u32_e32 v31, vcc, v17, v31, vcc
	global_load_dwordx2 v[37:38], v[22:23], off
	global_load_dwordx2 v[39:40], v[30:31], off
	v_lshlrev_b64 v[35:36], 3, v[14:15]
	v_add_u32_e32 v14, 4, v32
	s_waitcnt vmcnt(2)
	v_fma_f64 v[20:21], v[24:25], v[7:8], v[20:21]
	v_lshlrev_b64 v[24:25], 3, v[14:15]
	v_add_u32_e32 v14, -5, v12
	v_lshlrev_b64 v[13:14], 3, v[14:15]
	s_waitcnt vmcnt(1)
	v_fma_f64 v[7:8], v[37:38], v[7:8], v[28:29]
	v_fma_f64 v[20:21], v[26:27], v[9:10], v[20:21]
	v_add_co_u32_e32 v26, vcc, s12, v35
	v_addc_co_u32_e32 v27, vcc, v17, v36, vcc
	v_add_co_u32_e32 v24, vcc, s14, v24
	v_addc_co_u32_e32 v25, vcc, v19, v25, vcc
	;; [unrolled: 2-line block ×3, first 2 shown]
	v_add_u32_e32 v14, -14, v12
	global_load_dwordx2 v[22:23], v[26:27], off
	v_lshlrev_b64 v[26:27], 3, v[14:15]
	v_add_u32_e32 v14, -4, v12
	s_waitcnt vmcnt(1)
	v_fma_f64 v[28:29], v[39:40], v[9:10], v[7:8]
	v_lshlrev_b64 v[7:8], 3, v[14:15]
	v_add_co_u32_e32 v26, vcc, s12, v26
	v_add_u32_e32 v14, -13, v12
	v_addc_co_u32_e32 v27, vcc, v17, v27, vcc
	v_lshlrev_b64 v[9:10], 3, v[14:15]
	v_add_co_u32_e32 v30, vcc, s12, v7
	v_add_u32_e32 v14, 6, v32
	v_addc_co_u32_e32 v31, vcc, v17, v8, vcc
	v_add_co_u32_e32 v37, vcc, s12, v9
	v_lshlrev_b64 v[7:8], 3, v[14:15]
	v_addc_co_u32_e32 v38, vcc, v17, v10, vcc
	v_add_co_u32_e32 v39, vcc, s14, v7
	v_add_u32_e32 v14, -3, v12
	v_addc_co_u32_e32 v40, vcc, v19, v8, vcc
	v_lshlrev_b64 v[7:8], 3, v[14:15]
	v_add_co_u32_e32 v41, vcc, s12, v7
	v_addc_co_u32_e32 v42, vcc, v17, v8, vcc
	global_load_dwordx4 v[7:10], v[24:25], off
	s_waitcnt vmcnt(0)
	v_fma_f64 v[20:21], v[22:23], v[7:8], v[20:21]
	global_load_dwordx2 v[13:14], v[35:36], off
	global_load_dwordx2 v[22:23], v[26:27], off
	global_load_dwordx2 v[24:25], v[30:31], off
	global_load_dwordx2 v[43:44], v[37:38], off
	s_waitcnt vmcnt(3)
	v_fma_f64 v[7:8], v[13:14], v[7:8], v[28:29]
	v_add_u32_e32 v14, -12, v12
	s_waitcnt vmcnt(2)
	v_fma_f64 v[20:21], v[22:23], v[9:10], v[20:21]
	v_lshlrev_b64 v[22:23], 3, v[14:15]
	v_add_u32_e32 v14, -2, v12
	v_add_co_u32_e32 v22, vcc, s12, v22
	v_addc_co_u32_e32 v23, vcc, v17, v23, vcc
	s_waitcnt vmcnt(1)
	v_fma_f64 v[24:25], v[24:25], v[9:10], v[7:8]
	v_lshlrev_b64 v[7:8], 3, v[14:15]
	v_add_u32_e32 v14, -11, v12
	v_lshlrev_b64 v[9:10], 3, v[14:15]
	v_add_co_u32_e32 v26, vcc, s12, v7
	v_add_u32_e32 v14, 8, v32
	v_addc_co_u32_e32 v27, vcc, v17, v8, vcc
	v_lshlrev_b64 v[7:8], 3, v[14:15]
	v_add_co_u32_e32 v28, vcc, s12, v9
	v_addc_co_u32_e32 v29, vcc, v17, v10, vcc
	v_add_u32_e32 v14, -1, v12
	v_add_co_u32_e32 v30, vcc, s14, v7
	v_addc_co_u32_e32 v31, vcc, v19, v8, vcc
	v_lshlrev_b64 v[7:8], 3, v[14:15]
	v_add_u32_e32 v14, -10, v12
	v_add_co_u32_e32 v35, vcc, s12, v7
	v_addc_co_u32_e32 v36, vcc, v17, v8, vcc
	v_lshlrev_b64 v[7:8], 3, v[14:15]
	v_add_u32_e32 v12, 0x500, v12
	v_add_co_u32_e32 v13, vcc, s12, v7
	v_addc_co_u32_e32 v14, vcc, v17, v8, vcc
	global_load_dwordx4 v[7:10], v[39:40], off
	v_cmp_ge_i32_e32 vcc, v6, v18
	s_or_b64 s[0:1], vcc, s[0:1]
	s_waitcnt vmcnt(0)
	v_fma_f64 v[20:21], v[43:44], v[7:8], v[20:21]
	global_load_dwordx2 v[37:38], v[41:42], off
	global_load_dwordx2 v[39:40], v[22:23], off
	;; [unrolled: 1-line block ×4, first 2 shown]
	s_waitcnt vmcnt(3)
	v_fma_f64 v[7:8], v[37:38], v[7:8], v[24:25]
	s_waitcnt vmcnt(2)
	v_fma_f64 v[24:25], v[39:40], v[9:10], v[20:21]
	global_load_dwordx4 v[20:23], v[30:31], off
	global_load_dwordx2 v[26:27], v[35:36], off
	global_load_dwordx2 v[28:29], v[13:14], off
	;; [unrolled: 1-line block ×3, first 2 shown]
	s_waitcnt vmcnt(5)
	v_fma_f64 v[7:8], v[43:44], v[9:10], v[7:8]
	s_waitcnt vmcnt(3)
	v_fma_f64 v[9:10], v[45:46], v[20:21], v[24:25]
	s_waitcnt vmcnt(2)
	v_fma_f64 v[7:8], v[26:27], v[20:21], v[7:8]
	s_waitcnt vmcnt(1)
	v_fma_f64 v[10:11], v[28:29], v[22:23], v[9:10]
	s_waitcnt vmcnt(0)
	v_fma_f64 v[8:9], v[37:38], v[22:23], v[7:8]
	s_andn2_b64 exec, exec, s[0:1]
	s_cbranch_execnz .LBB120_15
; %bb.16:
	s_or_b64 exec, exec, s[0:1]
.LBB120_17:
	s_or_b64 exec, exec, s[6:7]
.LBB120_18:
	v_mov_b32_dpp v6, v10 row_shr:1 row_mask:0xf bank_mask:0xf
	v_mov_b32_dpp v7, v11 row_shr:1 row_mask:0xf bank_mask:0xf
	v_add_f64 v[6:7], v[10:11], v[6:7]
	v_mov_b32_dpp v10, v8 row_shr:1 row_mask:0xf bank_mask:0xf
	v_mov_b32_dpp v11, v9 row_shr:1 row_mask:0xf bank_mask:0xf
	v_add_f64 v[8:9], v[8:9], v[10:11]
	v_cmp_eq_u32_e32 vcc, 63, v0
	v_mov_b32_dpp v10, v6 row_shr:2 row_mask:0xf bank_mask:0xf
	v_mov_b32_dpp v11, v7 row_shr:2 row_mask:0xf bank_mask:0xf
	v_add_f64 v[6:7], v[6:7], v[10:11]
	v_mov_b32_dpp v12, v8 row_shr:2 row_mask:0xf bank_mask:0xf
	v_mov_b32_dpp v13, v9 row_shr:2 row_mask:0xf bank_mask:0xf
	v_add_f64 v[8:9], v[8:9], v[12:13]
	;; [unrolled: 3-line block ×6, first 2 shown]
	v_mov_b32_dpp v10, v6 row_bcast:15 row_mask:0xa bank_mask:0xf
	v_mov_b32_dpp v11, v7 row_bcast:15 row_mask:0xa bank_mask:0xf
	v_add_f64 v[6:7], v[6:7], v[10:11]
	v_mov_b32_dpp v12, v8 row_bcast:15 row_mask:0xa bank_mask:0xf
	v_mov_b32_dpp v13, v9 row_bcast:15 row_mask:0xa bank_mask:0xf
	v_add_f64 v[10:11], v[8:9], v[12:13]
	v_mov_b32_dpp v8, v6 row_bcast:31 row_mask:0xc bank_mask:0xf
	v_mov_b32_dpp v9, v7 row_bcast:31 row_mask:0xc bank_mask:0xf
	;; [unrolled: 1-line block ×4, first 2 shown]
	s_and_b64 exec, exec, vcc
	s_cbranch_execz .LBB120_23
; %bb.19:
	v_add_f64 v[8:9], v[6:7], v[8:9]
	v_add_f64 v[6:7], v[10:11], v[12:13]
	v_cmp_eq_f64_e32 vcc, 0, v[3:4]
	s_load_dwordx2 s[0:1], s[4:5], 0x38
	s_and_saveexec_b64 s[2:3], vcc
	s_xor_b64 s[2:3], exec, s[2:3]
	s_cbranch_execz .LBB120_21
; %bb.20:
	v_mul_f64 v[3:4], v[1:2], v[8:9]
	v_lshlrev_b32_e32 v0, 1, v5
	v_mul_f64 v[5:6], v[1:2], v[6:7]
	v_ashrrev_i32_e32 v1, 31, v0
	v_lshlrev_b64 v[0:1], 3, v[0:1]
	s_waitcnt lgkmcnt(0)
	v_mov_b32_e32 v2, s1
	v_add_co_u32_e32 v0, vcc, s0, v0
	v_addc_co_u32_e32 v1, vcc, v2, v1, vcc
	global_store_dwordx4 v[0:1], v[3:6], off
                                        ; implicit-def: $vgpr5
                                        ; implicit-def: $vgpr1_vgpr2
                                        ; implicit-def: $vgpr8_vgpr9
                                        ; implicit-def: $vgpr3_vgpr4
                                        ; implicit-def: $vgpr6_vgpr7
.LBB120_21:
	s_andn2_saveexec_b64 s[2:3], s[2:3]
	s_cbranch_execz .LBB120_23
; %bb.22:
	v_lshlrev_b32_e32 v10, 1, v5
	v_ashrrev_i32_e32 v11, 31, v10
	v_lshlrev_b64 v[10:11], 3, v[10:11]
	s_waitcnt lgkmcnt(0)
	v_mov_b32_e32 v0, s1
	v_add_co_u32_e32 v14, vcc, s0, v10
	v_addc_co_u32_e32 v15, vcc, v0, v11, vcc
	global_load_dwordx4 v[10:13], v[14:15], off
	v_mul_f64 v[8:9], v[1:2], v[8:9]
	v_mul_f64 v[5:6], v[1:2], v[6:7]
	s_waitcnt vmcnt(0)
	v_fma_f64 v[0:1], v[3:4], v[10:11], v[8:9]
	v_fma_f64 v[2:3], v[3:4], v[12:13], v[5:6]
	global_store_dwordx4 v[14:15], v[0:3], off
.LBB120_23:
	s_endpgm
	.section	.rodata,"a",@progbits
	.p2align	6, 0x0
	.amdhsa_kernel _ZN9rocsparseL19gebsrmvn_2xn_kernelILj128ELj10ELj64EdEEvi20rocsparse_direction_NS_24const_host_device_scalarIT2_EEPKiS6_PKS3_S8_S4_PS3_21rocsparse_index_base_b
		.amdhsa_group_segment_fixed_size 0
		.amdhsa_private_segment_fixed_size 0
		.amdhsa_kernarg_size 72
		.amdhsa_user_sgpr_count 6
		.amdhsa_user_sgpr_private_segment_buffer 1
		.amdhsa_user_sgpr_dispatch_ptr 0
		.amdhsa_user_sgpr_queue_ptr 0
		.amdhsa_user_sgpr_kernarg_segment_ptr 1
		.amdhsa_user_sgpr_dispatch_id 0
		.amdhsa_user_sgpr_flat_scratch_init 0
		.amdhsa_user_sgpr_private_segment_size 0
		.amdhsa_uses_dynamic_stack 0
		.amdhsa_system_sgpr_private_segment_wavefront_offset 0
		.amdhsa_system_sgpr_workgroup_id_x 1
		.amdhsa_system_sgpr_workgroup_id_y 0
		.amdhsa_system_sgpr_workgroup_id_z 0
		.amdhsa_system_sgpr_workgroup_info 0
		.amdhsa_system_vgpr_workitem_id 0
		.amdhsa_next_free_vgpr 53
		.amdhsa_next_free_sgpr 16
		.amdhsa_reserve_vcc 1
		.amdhsa_reserve_flat_scratch 0
		.amdhsa_float_round_mode_32 0
		.amdhsa_float_round_mode_16_64 0
		.amdhsa_float_denorm_mode_32 3
		.amdhsa_float_denorm_mode_16_64 3
		.amdhsa_dx10_clamp 1
		.amdhsa_ieee_mode 1
		.amdhsa_fp16_overflow 0
		.amdhsa_exception_fp_ieee_invalid_op 0
		.amdhsa_exception_fp_denorm_src 0
		.amdhsa_exception_fp_ieee_div_zero 0
		.amdhsa_exception_fp_ieee_overflow 0
		.amdhsa_exception_fp_ieee_underflow 0
		.amdhsa_exception_fp_ieee_inexact 0
		.amdhsa_exception_int_div_zero 0
	.end_amdhsa_kernel
	.section	.text._ZN9rocsparseL19gebsrmvn_2xn_kernelILj128ELj10ELj64EdEEvi20rocsparse_direction_NS_24const_host_device_scalarIT2_EEPKiS6_PKS3_S8_S4_PS3_21rocsparse_index_base_b,"axG",@progbits,_ZN9rocsparseL19gebsrmvn_2xn_kernelILj128ELj10ELj64EdEEvi20rocsparse_direction_NS_24const_host_device_scalarIT2_EEPKiS6_PKS3_S8_S4_PS3_21rocsparse_index_base_b,comdat
.Lfunc_end120:
	.size	_ZN9rocsparseL19gebsrmvn_2xn_kernelILj128ELj10ELj64EdEEvi20rocsparse_direction_NS_24const_host_device_scalarIT2_EEPKiS6_PKS3_S8_S4_PS3_21rocsparse_index_base_b, .Lfunc_end120-_ZN9rocsparseL19gebsrmvn_2xn_kernelILj128ELj10ELj64EdEEvi20rocsparse_direction_NS_24const_host_device_scalarIT2_EEPKiS6_PKS3_S8_S4_PS3_21rocsparse_index_base_b
                                        ; -- End function
	.set _ZN9rocsparseL19gebsrmvn_2xn_kernelILj128ELj10ELj64EdEEvi20rocsparse_direction_NS_24const_host_device_scalarIT2_EEPKiS6_PKS3_S8_S4_PS3_21rocsparse_index_base_b.num_vgpr, 53
	.set _ZN9rocsparseL19gebsrmvn_2xn_kernelILj128ELj10ELj64EdEEvi20rocsparse_direction_NS_24const_host_device_scalarIT2_EEPKiS6_PKS3_S8_S4_PS3_21rocsparse_index_base_b.num_agpr, 0
	.set _ZN9rocsparseL19gebsrmvn_2xn_kernelILj128ELj10ELj64EdEEvi20rocsparse_direction_NS_24const_host_device_scalarIT2_EEPKiS6_PKS3_S8_S4_PS3_21rocsparse_index_base_b.numbered_sgpr, 16
	.set _ZN9rocsparseL19gebsrmvn_2xn_kernelILj128ELj10ELj64EdEEvi20rocsparse_direction_NS_24const_host_device_scalarIT2_EEPKiS6_PKS3_S8_S4_PS3_21rocsparse_index_base_b.num_named_barrier, 0
	.set _ZN9rocsparseL19gebsrmvn_2xn_kernelILj128ELj10ELj64EdEEvi20rocsparse_direction_NS_24const_host_device_scalarIT2_EEPKiS6_PKS3_S8_S4_PS3_21rocsparse_index_base_b.private_seg_size, 0
	.set _ZN9rocsparseL19gebsrmvn_2xn_kernelILj128ELj10ELj64EdEEvi20rocsparse_direction_NS_24const_host_device_scalarIT2_EEPKiS6_PKS3_S8_S4_PS3_21rocsparse_index_base_b.uses_vcc, 1
	.set _ZN9rocsparseL19gebsrmvn_2xn_kernelILj128ELj10ELj64EdEEvi20rocsparse_direction_NS_24const_host_device_scalarIT2_EEPKiS6_PKS3_S8_S4_PS3_21rocsparse_index_base_b.uses_flat_scratch, 0
	.set _ZN9rocsparseL19gebsrmvn_2xn_kernelILj128ELj10ELj64EdEEvi20rocsparse_direction_NS_24const_host_device_scalarIT2_EEPKiS6_PKS3_S8_S4_PS3_21rocsparse_index_base_b.has_dyn_sized_stack, 0
	.set _ZN9rocsparseL19gebsrmvn_2xn_kernelILj128ELj10ELj64EdEEvi20rocsparse_direction_NS_24const_host_device_scalarIT2_EEPKiS6_PKS3_S8_S4_PS3_21rocsparse_index_base_b.has_recursion, 0
	.set _ZN9rocsparseL19gebsrmvn_2xn_kernelILj128ELj10ELj64EdEEvi20rocsparse_direction_NS_24const_host_device_scalarIT2_EEPKiS6_PKS3_S8_S4_PS3_21rocsparse_index_base_b.has_indirect_call, 0
	.section	.AMDGPU.csdata,"",@progbits
; Kernel info:
; codeLenInByte = 2488
; TotalNumSgprs: 20
; NumVgprs: 53
; ScratchSize: 0
; MemoryBound: 0
; FloatMode: 240
; IeeeMode: 1
; LDSByteSize: 0 bytes/workgroup (compile time only)
; SGPRBlocks: 2
; VGPRBlocks: 13
; NumSGPRsForWavesPerEU: 20
; NumVGPRsForWavesPerEU: 53
; Occupancy: 4
; WaveLimiterHint : 1
; COMPUTE_PGM_RSRC2:SCRATCH_EN: 0
; COMPUTE_PGM_RSRC2:USER_SGPR: 6
; COMPUTE_PGM_RSRC2:TRAP_HANDLER: 0
; COMPUTE_PGM_RSRC2:TGID_X_EN: 1
; COMPUTE_PGM_RSRC2:TGID_Y_EN: 0
; COMPUTE_PGM_RSRC2:TGID_Z_EN: 0
; COMPUTE_PGM_RSRC2:TIDIG_COMP_CNT: 0
	.section	.text._ZN9rocsparseL19gebsrmvn_2xn_kernelILj128ELj11ELj4EdEEvi20rocsparse_direction_NS_24const_host_device_scalarIT2_EEPKiS6_PKS3_S8_S4_PS3_21rocsparse_index_base_b,"axG",@progbits,_ZN9rocsparseL19gebsrmvn_2xn_kernelILj128ELj11ELj4EdEEvi20rocsparse_direction_NS_24const_host_device_scalarIT2_EEPKiS6_PKS3_S8_S4_PS3_21rocsparse_index_base_b,comdat
	.globl	_ZN9rocsparseL19gebsrmvn_2xn_kernelILj128ELj11ELj4EdEEvi20rocsparse_direction_NS_24const_host_device_scalarIT2_EEPKiS6_PKS3_S8_S4_PS3_21rocsparse_index_base_b ; -- Begin function _ZN9rocsparseL19gebsrmvn_2xn_kernelILj128ELj11ELj4EdEEvi20rocsparse_direction_NS_24const_host_device_scalarIT2_EEPKiS6_PKS3_S8_S4_PS3_21rocsparse_index_base_b
	.p2align	8
	.type	_ZN9rocsparseL19gebsrmvn_2xn_kernelILj128ELj11ELj4EdEEvi20rocsparse_direction_NS_24const_host_device_scalarIT2_EEPKiS6_PKS3_S8_S4_PS3_21rocsparse_index_base_b,@function
_ZN9rocsparseL19gebsrmvn_2xn_kernelILj128ELj11ELj4EdEEvi20rocsparse_direction_NS_24const_host_device_scalarIT2_EEPKiS6_PKS3_S8_S4_PS3_21rocsparse_index_base_b: ; @_ZN9rocsparseL19gebsrmvn_2xn_kernelILj128ELj11ELj4EdEEvi20rocsparse_direction_NS_24const_host_device_scalarIT2_EEPKiS6_PKS3_S8_S4_PS3_21rocsparse_index_base_b
; %bb.0:
	s_load_dwordx2 s[2:3], s[4:5], 0x40
	s_load_dwordx2 s[10:11], s[4:5], 0x8
	;; [unrolled: 1-line block ×3, first 2 shown]
	s_waitcnt lgkmcnt(0)
	s_bitcmp1_b32 s3, 0
	s_cselect_b64 s[12:13], -1, 0
	v_mov_b32_e32 v1, s10
	s_xor_b64 s[8:9], s[12:13], -1
	s_and_b64 vcc, exec, s[12:13]
	v_mov_b32_e32 v2, s11
	s_cbranch_vccnz .LBB121_2
; %bb.1:
	v_mov_b32_e32 v1, s10
	v_mov_b32_e32 v2, s11
	flat_load_dwordx2 v[1:2], v[1:2]
.LBB121_2:
	v_mov_b32_e32 v4, s1
	s_andn2_b64 vcc, exec, s[8:9]
	v_mov_b32_e32 v3, s0
	s_cbranch_vccnz .LBB121_4
; %bb.3:
	v_mov_b32_e32 v4, s1
	v_mov_b32_e32 v3, s0
	flat_load_dwordx2 v[3:4], v[3:4]
.LBB121_4:
	s_waitcnt vmcnt(0) lgkmcnt(0)
	v_cmp_neq_f64_e32 vcc, 0, v[1:2]
	v_cmp_neq_f64_e64 s[0:1], 1.0, v[3:4]
	s_or_b64 s[0:1], vcc, s[0:1]
	s_and_saveexec_b64 s[8:9], s[0:1]
	s_cbranch_execz .LBB121_23
; %bb.5:
	s_load_dwordx2 s[0:1], s[4:5], 0x0
	v_lshrrev_b32_e32 v5, 2, v0
	v_lshl_or_b32 v5, s6, 5, v5
	s_waitcnt lgkmcnt(0)
	v_cmp_gt_i32_e32 vcc, s0, v5
	s_and_b64 exec, exec, vcc
	s_cbranch_execz .LBB121_23
; %bb.6:
	s_load_dwordx8 s[8:15], s[4:5], 0x10
	v_ashrrev_i32_e32 v6, 31, v5
	v_lshlrev_b64 v[6:7], 2, v[5:6]
	v_and_b32_e32 v0, 3, v0
	s_cmp_lg_u32 s1, 0
	s_waitcnt lgkmcnt(0)
	v_mov_b32_e32 v8, s9
	v_add_co_u32_e32 v6, vcc, s8, v6
	v_addc_co_u32_e32 v7, vcc, v8, v7, vcc
	global_load_dwordx2 v[6:7], v[6:7], off
	s_waitcnt vmcnt(0)
	v_subrev_u32_e32 v6, s2, v6
	v_subrev_u32_e32 v18, s2, v7
	v_add_u32_e32 v6, v6, v0
	v_cmp_lt_i32_e64 s[0:1], v6, v18
	s_cbranch_scc0 .LBB121_12
; %bb.7:
	v_mov_b32_e32 v8, 0
	v_mov_b32_e32 v10, 0
	;; [unrolled: 1-line block ×4, first 2 shown]
	s_and_saveexec_b64 s[6:7], s[0:1]
	s_cbranch_execz .LBB121_11
; %bb.8:
	v_mad_u64_u32 v[12:13], s[8:9], v6, 22, 20
	v_mov_b32_e32 v8, 0
	v_mov_b32_e32 v10, 0
	;; [unrolled: 1-line block ×3, first 2 shown]
	s_mov_b64 s[8:9], 0
	v_mov_b32_e32 v7, s11
	v_mov_b32_e32 v15, 0
	v_mov_b32_e32 v19, s13
	v_mov_b32_e32 v20, s15
	v_mov_b32_e32 v11, 0
	v_mov_b32_e32 v16, v6
.LBB121_9:                              ; =>This Inner Loop Header: Depth=1
	v_ashrrev_i32_e32 v17, 31, v16
	v_lshlrev_b64 v[21:22], 2, v[16:17]
	v_subrev_u32_e32 v14, 20, v12
	v_lshlrev_b64 v[23:24], 3, v[14:15]
	v_add_co_u32_e32 v27, vcc, s10, v21
	v_addc_co_u32_e32 v28, vcc, v7, v22, vcc
	v_add_co_u32_e32 v31, vcc, s12, v23
	v_addc_co_u32_e32 v32, vcc, v19, v24, vcc
	global_load_dword v17, v[27:28], off
	global_load_dwordx4 v[21:24], v[31:32], off
	v_mov_b32_e32 v13, v15
	v_lshlrev_b64 v[25:26], 3, v[12:13]
	v_subrev_u32_e32 v14, 18, v12
	v_lshlrev_b64 v[13:14], 3, v[14:15]
	v_add_co_u32_e32 v33, vcc, s12, v25
	v_mov_b32_e32 v30, v15
	v_addc_co_u32_e32 v34, vcc, v19, v26, vcc
	v_add_co_u32_e32 v13, vcc, s12, v13
	v_addc_co_u32_e32 v14, vcc, v19, v14, vcc
	v_add_u32_e32 v16, 4, v16
	s_waitcnt vmcnt(1)
	v_subrev_u32_e32 v17, s2, v17
	v_mul_lo_u32 v29, v17, 11
	v_lshlrev_b64 v[25:26], 3, v[29:30]
	v_add_co_u32_e32 v30, vcc, s14, v25
	v_addc_co_u32_e32 v31, vcc, v20, v26, vcc
	global_load_dwordx4 v[25:28], v[33:34], off
	global_load_dwordx2 v[35:36], v[30:31], off
	s_waitcnt vmcnt(0)
	v_fma_f64 v[21:22], v[21:22], v[35:36], v[8:9]
	v_fma_f64 v[23:24], v[23:24], v[35:36], v[10:11]
	global_load_dwordx4 v[8:11], v[13:14], off
	v_add_u32_e32 v14, 1, v29
	v_lshlrev_b64 v[30:31], 3, v[14:15]
	v_add_u32_e32 v14, -16, v12
	v_add_co_u32_e32 v30, vcc, s14, v30
	v_addc_co_u32_e32 v31, vcc, v20, v31, vcc
	global_load_dwordx2 v[30:31], v[30:31], off
	v_lshlrev_b64 v[32:33], 3, v[14:15]
	v_add_u32_e32 v14, 2, v29
	s_waitcnt vmcnt(0)
	v_fma_f64 v[21:22], v[8:9], v[30:31], v[21:22]
	v_fma_f64 v[23:24], v[10:11], v[30:31], v[23:24]
	v_lshlrev_b64 v[8:9], 3, v[14:15]
	v_add_co_u32_e32 v30, vcc, s12, v32
	v_addc_co_u32_e32 v31, vcc, v19, v33, vcc
	v_add_co_u32_e32 v34, vcc, s14, v8
	v_addc_co_u32_e32 v35, vcc, v20, v9, vcc
	global_load_dwordx4 v[8:11], v[30:31], off
	global_load_dwordx2 v[36:37], v[34:35], off
	v_add_u32_e32 v14, -14, v12
	v_lshlrev_b64 v[32:33], 3, v[14:15]
	v_add_u32_e32 v14, 3, v29
	v_add_co_u32_e32 v30, vcc, s12, v32
	v_addc_co_u32_e32 v31, vcc, v19, v33, vcc
	s_waitcnt vmcnt(0)
	v_fma_f64 v[21:22], v[8:9], v[36:37], v[21:22]
	v_lshlrev_b64 v[8:9], 3, v[14:15]
	v_fma_f64 v[23:24], v[10:11], v[36:37], v[23:24]
	v_add_co_u32_e32 v34, vcc, s14, v8
	v_addc_co_u32_e32 v35, vcc, v20, v9, vcc
	global_load_dwordx4 v[8:11], v[30:31], off
	global_load_dwordx2 v[36:37], v[34:35], off
	v_add_u32_e32 v14, -12, v12
	v_lshlrev_b64 v[32:33], 3, v[14:15]
	v_add_u32_e32 v14, 4, v29
	v_add_co_u32_e32 v30, vcc, s12, v32
	v_addc_co_u32_e32 v31, vcc, v19, v33, vcc
	s_waitcnt vmcnt(0)
	v_fma_f64 v[21:22], v[8:9], v[36:37], v[21:22]
	v_lshlrev_b64 v[8:9], 3, v[14:15]
	v_fma_f64 v[23:24], v[10:11], v[36:37], v[23:24]
	;; [unrolled: 13-line block ×6, first 2 shown]
	v_add_co_u32_e32 v34, vcc, s14, v8
	v_addc_co_u32_e32 v35, vcc, v20, v9, vcc
	global_load_dwordx4 v[8:11], v[30:31], off
	global_load_dwordx2 v[36:37], v[34:35], off
	v_add_u32_e32 v14, -2, v12
	v_lshlrev_b64 v[32:33], 3, v[14:15]
	v_add_u32_e32 v14, 9, v29
	v_add_co_u32_e32 v13, vcc, s12, v32
	v_add_u32_e32 v12, 0x58, v12
	s_waitcnt vmcnt(0)
	v_fma_f64 v[21:22], v[8:9], v[36:37], v[21:22]
	v_lshlrev_b64 v[8:9], 3, v[14:15]
	v_addc_co_u32_e32 v14, vcc, v19, v33, vcc
	v_add_co_u32_e32 v30, vcc, s14, v8
	v_fma_f64 v[23:24], v[10:11], v[36:37], v[23:24]
	v_addc_co_u32_e32 v31, vcc, v20, v9, vcc
	global_load_dwordx4 v[8:11], v[13:14], off
	global_load_dwordx2 v[32:33], v[30:31], off
	v_add_u32_e32 v14, 10, v29
	v_lshlrev_b64 v[13:14], 3, v[14:15]
	v_add_co_u32_e32 v13, vcc, s14, v13
	v_addc_co_u32_e32 v14, vcc, v20, v14, vcc
	global_load_dwordx2 v[13:14], v[13:14], off
	v_cmp_ge_i32_e32 vcc, v16, v18
	s_or_b64 s[8:9], vcc, s[8:9]
	s_waitcnt vmcnt(1)
	v_fma_f64 v[8:9], v[8:9], v[32:33], v[21:22]
	v_fma_f64 v[10:11], v[10:11], v[32:33], v[23:24]
	s_waitcnt vmcnt(0)
	v_fma_f64 v[8:9], v[25:26], v[13:14], v[8:9]
	v_fma_f64 v[10:11], v[27:28], v[13:14], v[10:11]
	s_andn2_b64 exec, exec, s[8:9]
	s_cbranch_execnz .LBB121_9
; %bb.10:
	s_or_b64 exec, exec, s[8:9]
.LBB121_11:
	s_or_b64 exec, exec, s[6:7]
	s_cbranch_execz .LBB121_13
	s_branch .LBB121_18
.LBB121_12:
                                        ; implicit-def: $vgpr8_vgpr9
                                        ; implicit-def: $vgpr10_vgpr11
.LBB121_13:
	v_mov_b32_e32 v8, 0
	v_mov_b32_e32 v10, 0
	;; [unrolled: 1-line block ×4, first 2 shown]
	s_and_saveexec_b64 s[6:7], s[0:1]
	s_cbranch_execz .LBB121_17
; %bb.14:
	v_mad_u64_u32 v[12:13], s[0:1], v6, 22, 21
	v_mov_b32_e32 v8, 0
	v_mov_b32_e32 v10, 0
	;; [unrolled: 1-line block ×3, first 2 shown]
	s_mov_b64 s[0:1], 0
	v_mov_b32_e32 v16, s11
	v_mov_b32_e32 v15, 0
	;; [unrolled: 1-line block ×5, first 2 shown]
.LBB121_15:                             ; =>This Inner Loop Header: Depth=1
	v_ashrrev_i32_e32 v7, 31, v6
	v_lshlrev_b64 v[22:23], 2, v[6:7]
	v_subrev_u32_e32 v14, 21, v12
	v_add_co_u32_e32 v22, vcc, s10, v22
	v_addc_co_u32_e32 v23, vcc, v16, v23, vcc
	global_load_dword v7, v[22:23], off
	v_lshlrev_b64 v[24:25], 3, v[14:15]
	v_add_u32_e32 v20, -10, v12
	v_mov_b32_e32 v21, v15
	v_lshlrev_b64 v[20:21], 3, v[20:21]
	v_add_co_u32_e32 v24, vcc, s12, v24
	v_mov_b32_e32 v13, v15
	v_addc_co_u32_e32 v25, vcc, v17, v25, vcc
	v_lshlrev_b64 v[13:14], 3, v[12:13]
	v_add_co_u32_e32 v20, vcc, s12, v20
	v_addc_co_u32_e32 v21, vcc, v17, v21, vcc
	v_add_co_u32_e32 v26, vcc, s12, v13
	v_addc_co_u32_e32 v27, vcc, v17, v14, vcc
	v_mov_b32_e32 v14, v15
	v_add_u32_e32 v6, 4, v6
	s_waitcnt vmcnt(0)
	v_subrev_u32_e32 v7, s2, v7
	v_mul_lo_u32 v13, v7, 11
	v_lshlrev_b64 v[22:23], 3, v[13:14]
	v_add_u32_e32 v14, 1, v13
	v_add_co_u32_e32 v22, vcc, s14, v22
	v_addc_co_u32_e32 v23, vcc, v19, v23, vcc
	global_load_dwordx2 v[30:31], v[20:21], off
	global_load_dwordx2 v[32:33], v[22:23], off
	v_lshlrev_b64 v[28:29], 3, v[14:15]
	global_load_dwordx4 v[20:23], v[24:25], off
	v_add_co_u32_e32 v28, vcc, s14, v28
	v_addc_co_u32_e32 v29, vcc, v19, v29, vcc
	v_add_u32_e32 v14, -9, v12
	s_waitcnt vmcnt(1)
	v_fma_f64 v[10:11], v[30:31], v[32:33], v[10:11]
	s_waitcnt vmcnt(0)
	v_fma_f64 v[7:8], v[20:21], v[32:33], v[8:9]
	global_load_dwordx2 v[20:21], v[28:29], off
	s_waitcnt vmcnt(0)
	v_fma_f64 v[7:8], v[22:23], v[20:21], v[7:8]
	v_lshlrev_b64 v[22:23], 3, v[14:15]
	v_subrev_u32_e32 v14, 19, v12
	v_add_co_u32_e32 v22, vcc, s12, v22
	v_lshlrev_b64 v[24:25], 3, v[14:15]
	v_addc_co_u32_e32 v23, vcc, v17, v23, vcc
	v_add_co_u32_e32 v24, vcc, s12, v24
	v_addc_co_u32_e32 v25, vcc, v17, v25, vcc
	global_load_dwordx2 v[28:29], v[22:23], off
	global_load_dwordx2 v[30:31], v[24:25], off
	v_add_u32_e32 v14, 2, v13
	s_waitcnt vmcnt(1)
	v_fma_f64 v[9:10], v[28:29], v[20:21], v[10:11]
	v_lshlrev_b64 v[20:21], 3, v[14:15]
	v_add_u32_e32 v14, -8, v12
	v_add_co_u32_e32 v20, vcc, s14, v20
	v_addc_co_u32_e32 v21, vcc, v19, v21, vcc
	global_load_dwordx2 v[20:21], v[20:21], off
	v_lshlrev_b64 v[22:23], 3, v[14:15]
	v_subrev_u32_e32 v14, 18, v12
	v_add_co_u32_e32 v22, vcc, s12, v22
	v_lshlrev_b64 v[24:25], 3, v[14:15]
	v_addc_co_u32_e32 v23, vcc, v17, v23, vcc
	v_add_co_u32_e32 v24, vcc, s12, v24
	v_addc_co_u32_e32 v25, vcc, v17, v25, vcc
	v_add_u32_e32 v14, 3, v13
	s_waitcnt vmcnt(0)
	v_fma_f64 v[7:8], v[30:31], v[20:21], v[7:8]
	global_load_dwordx2 v[28:29], v[22:23], off
	global_load_dwordx2 v[30:31], v[24:25], off
	s_waitcnt vmcnt(1)
	v_fma_f64 v[9:10], v[28:29], v[20:21], v[9:10]
	v_lshlrev_b64 v[20:21], 3, v[14:15]
	v_add_u32_e32 v14, -7, v12
	v_add_co_u32_e32 v20, vcc, s14, v20
	v_addc_co_u32_e32 v21, vcc, v19, v21, vcc
	global_load_dwordx2 v[20:21], v[20:21], off
	v_lshlrev_b64 v[22:23], 3, v[14:15]
	v_subrev_u32_e32 v14, 17, v12
	v_add_co_u32_e32 v22, vcc, s12, v22
	v_lshlrev_b64 v[24:25], 3, v[14:15]
	v_addc_co_u32_e32 v23, vcc, v17, v23, vcc
	v_add_co_u32_e32 v24, vcc, s12, v24
	v_addc_co_u32_e32 v25, vcc, v17, v25, vcc
	v_add_u32_e32 v14, 4, v13
	s_waitcnt vmcnt(0)
	v_fma_f64 v[7:8], v[30:31], v[20:21], v[7:8]
	global_load_dwordx2 v[28:29], v[22:23], off
	global_load_dwordx2 v[30:31], v[24:25], off
	s_waitcnt vmcnt(1)
	v_fma_f64 v[9:10], v[28:29], v[20:21], v[9:10]
	v_lshlrev_b64 v[20:21], 3, v[14:15]
	v_add_u32_e32 v14, -6, v12
	v_add_co_u32_e32 v20, vcc, s14, v20
	v_addc_co_u32_e32 v21, vcc, v19, v21, vcc
	global_load_dwordx2 v[20:21], v[20:21], off
	v_lshlrev_b64 v[22:23], 3, v[14:15]
	v_add_u32_e32 v14, -16, v12
	v_add_co_u32_e32 v22, vcc, s12, v22
	v_lshlrev_b64 v[24:25], 3, v[14:15]
	v_addc_co_u32_e32 v23, vcc, v17, v23, vcc
	v_add_co_u32_e32 v24, vcc, s12, v24
	v_addc_co_u32_e32 v25, vcc, v17, v25, vcc
	v_add_u32_e32 v14, 5, v13
	s_waitcnt vmcnt(0)
	v_fma_f64 v[7:8], v[30:31], v[20:21], v[7:8]
	global_load_dwordx2 v[28:29], v[22:23], off
	global_load_dwordx2 v[30:31], v[24:25], off
	s_waitcnt vmcnt(1)
	v_fma_f64 v[9:10], v[28:29], v[20:21], v[9:10]
	v_lshlrev_b64 v[20:21], 3, v[14:15]
	v_add_u32_e32 v14, -5, v12
	v_add_co_u32_e32 v20, vcc, s14, v20
	v_addc_co_u32_e32 v21, vcc, v19, v21, vcc
	global_load_dwordx2 v[20:21], v[20:21], off
	v_lshlrev_b64 v[22:23], 3, v[14:15]
	v_add_u32_e32 v14, -15, v12
	;; [unrolled: 19-line block ×6, first 2 shown]
	v_lshlrev_b64 v[24:25], 3, v[14:15]
	v_add_co_u32_e32 v22, vcc, s12, v22
	v_add_u32_e32 v14, 10, v13
	v_addc_co_u32_e32 v23, vcc, v17, v23, vcc
	v_add_co_u32_e32 v24, vcc, s12, v24
	v_lshlrev_b64 v[13:14], 3, v[14:15]
	v_addc_co_u32_e32 v25, vcc, v17, v25, vcc
	v_add_co_u32_e32 v13, vcc, s14, v13
	v_addc_co_u32_e32 v14, vcc, v19, v14, vcc
	v_cmp_ge_i32_e32 vcc, v6, v18
	s_or_b64 s[0:1], vcc, s[0:1]
	v_add_u32_e32 v12, 0x58, v12
	s_waitcnt vmcnt(0)
	v_fma_f64 v[7:8], v[30:31], v[20:21], v[7:8]
	global_load_dwordx2 v[28:29], v[22:23], off
	global_load_dwordx2 v[30:31], v[26:27], off
	;; [unrolled: 1-line block ×4, first 2 shown]
	s_waitcnt vmcnt(3)
	v_fma_f64 v[10:11], v[28:29], v[20:21], v[9:10]
	s_waitcnt vmcnt(0)
	v_fma_f64 v[8:9], v[32:33], v[34:35], v[7:8]
	v_fma_f64 v[10:11], v[30:31], v[34:35], v[10:11]
	s_andn2_b64 exec, exec, s[0:1]
	s_cbranch_execnz .LBB121_15
; %bb.16:
	s_or_b64 exec, exec, s[0:1]
.LBB121_17:
	s_or_b64 exec, exec, s[6:7]
.LBB121_18:
	v_mov_b32_dpp v6, v8 row_shr:1 row_mask:0xf bank_mask:0xf
	v_mov_b32_dpp v7, v9 row_shr:1 row_mask:0xf bank_mask:0xf
	v_add_f64 v[6:7], v[8:9], v[6:7]
	v_mov_b32_dpp v8, v10 row_shr:1 row_mask:0xf bank_mask:0xf
	v_mov_b32_dpp v9, v11 row_shr:1 row_mask:0xf bank_mask:0xf
	v_add_f64 v[10:11], v[10:11], v[8:9]
	v_cmp_eq_u32_e32 vcc, 3, v0
	v_mov_b32_dpp v8, v6 row_shr:2 row_mask:0xf bank_mask:0xf
	v_mov_b32_dpp v9, v7 row_shr:2 row_mask:0xf bank_mask:0xf
	;; [unrolled: 1-line block ×4, first 2 shown]
	s_and_b64 exec, exec, vcc
	s_cbranch_execz .LBB121_23
; %bb.19:
	v_add_f64 v[8:9], v[6:7], v[8:9]
	v_add_f64 v[6:7], v[10:11], v[12:13]
	v_cmp_eq_f64_e32 vcc, 0, v[3:4]
	s_load_dwordx2 s[0:1], s[4:5], 0x38
	s_and_saveexec_b64 s[2:3], vcc
	s_xor_b64 s[2:3], exec, s[2:3]
	s_cbranch_execz .LBB121_21
; %bb.20:
	v_mul_f64 v[3:4], v[1:2], v[8:9]
	v_lshlrev_b32_e32 v0, 1, v5
	v_mul_f64 v[5:6], v[1:2], v[6:7]
	v_ashrrev_i32_e32 v1, 31, v0
	v_lshlrev_b64 v[0:1], 3, v[0:1]
	s_waitcnt lgkmcnt(0)
	v_mov_b32_e32 v2, s1
	v_add_co_u32_e32 v0, vcc, s0, v0
	v_addc_co_u32_e32 v1, vcc, v2, v1, vcc
	global_store_dwordx4 v[0:1], v[3:6], off
                                        ; implicit-def: $vgpr5
                                        ; implicit-def: $vgpr1_vgpr2
                                        ; implicit-def: $vgpr8_vgpr9
                                        ; implicit-def: $vgpr3_vgpr4
                                        ; implicit-def: $vgpr6_vgpr7
.LBB121_21:
	s_andn2_saveexec_b64 s[2:3], s[2:3]
	s_cbranch_execz .LBB121_23
; %bb.22:
	v_lshlrev_b32_e32 v10, 1, v5
	v_ashrrev_i32_e32 v11, 31, v10
	v_lshlrev_b64 v[10:11], 3, v[10:11]
	s_waitcnt lgkmcnt(0)
	v_mov_b32_e32 v0, s1
	v_add_co_u32_e32 v14, vcc, s0, v10
	v_addc_co_u32_e32 v15, vcc, v0, v11, vcc
	global_load_dwordx4 v[10:13], v[14:15], off
	v_mul_f64 v[8:9], v[1:2], v[8:9]
	v_mul_f64 v[5:6], v[1:2], v[6:7]
	s_waitcnt vmcnt(0)
	v_fma_f64 v[0:1], v[3:4], v[10:11], v[8:9]
	v_fma_f64 v[2:3], v[3:4], v[12:13], v[5:6]
	global_store_dwordx4 v[14:15], v[0:3], off
.LBB121_23:
	s_endpgm
	.section	.rodata,"a",@progbits
	.p2align	6, 0x0
	.amdhsa_kernel _ZN9rocsparseL19gebsrmvn_2xn_kernelILj128ELj11ELj4EdEEvi20rocsparse_direction_NS_24const_host_device_scalarIT2_EEPKiS6_PKS3_S8_S4_PS3_21rocsparse_index_base_b
		.amdhsa_group_segment_fixed_size 0
		.amdhsa_private_segment_fixed_size 0
		.amdhsa_kernarg_size 72
		.amdhsa_user_sgpr_count 6
		.amdhsa_user_sgpr_private_segment_buffer 1
		.amdhsa_user_sgpr_dispatch_ptr 0
		.amdhsa_user_sgpr_queue_ptr 0
		.amdhsa_user_sgpr_kernarg_segment_ptr 1
		.amdhsa_user_sgpr_dispatch_id 0
		.amdhsa_user_sgpr_flat_scratch_init 0
		.amdhsa_user_sgpr_private_segment_size 0
		.amdhsa_uses_dynamic_stack 0
		.amdhsa_system_sgpr_private_segment_wavefront_offset 0
		.amdhsa_system_sgpr_workgroup_id_x 1
		.amdhsa_system_sgpr_workgroup_id_y 0
		.amdhsa_system_sgpr_workgroup_id_z 0
		.amdhsa_system_sgpr_workgroup_info 0
		.amdhsa_system_vgpr_workitem_id 0
		.amdhsa_next_free_vgpr 38
		.amdhsa_next_free_sgpr 16
		.amdhsa_reserve_vcc 1
		.amdhsa_reserve_flat_scratch 0
		.amdhsa_float_round_mode_32 0
		.amdhsa_float_round_mode_16_64 0
		.amdhsa_float_denorm_mode_32 3
		.amdhsa_float_denorm_mode_16_64 3
		.amdhsa_dx10_clamp 1
		.amdhsa_ieee_mode 1
		.amdhsa_fp16_overflow 0
		.amdhsa_exception_fp_ieee_invalid_op 0
		.amdhsa_exception_fp_denorm_src 0
		.amdhsa_exception_fp_ieee_div_zero 0
		.amdhsa_exception_fp_ieee_overflow 0
		.amdhsa_exception_fp_ieee_underflow 0
		.amdhsa_exception_fp_ieee_inexact 0
		.amdhsa_exception_int_div_zero 0
	.end_amdhsa_kernel
	.section	.text._ZN9rocsparseL19gebsrmvn_2xn_kernelILj128ELj11ELj4EdEEvi20rocsparse_direction_NS_24const_host_device_scalarIT2_EEPKiS6_PKS3_S8_S4_PS3_21rocsparse_index_base_b,"axG",@progbits,_ZN9rocsparseL19gebsrmvn_2xn_kernelILj128ELj11ELj4EdEEvi20rocsparse_direction_NS_24const_host_device_scalarIT2_EEPKiS6_PKS3_S8_S4_PS3_21rocsparse_index_base_b,comdat
.Lfunc_end121:
	.size	_ZN9rocsparseL19gebsrmvn_2xn_kernelILj128ELj11ELj4EdEEvi20rocsparse_direction_NS_24const_host_device_scalarIT2_EEPKiS6_PKS3_S8_S4_PS3_21rocsparse_index_base_b, .Lfunc_end121-_ZN9rocsparseL19gebsrmvn_2xn_kernelILj128ELj11ELj4EdEEvi20rocsparse_direction_NS_24const_host_device_scalarIT2_EEPKiS6_PKS3_S8_S4_PS3_21rocsparse_index_base_b
                                        ; -- End function
	.set _ZN9rocsparseL19gebsrmvn_2xn_kernelILj128ELj11ELj4EdEEvi20rocsparse_direction_NS_24const_host_device_scalarIT2_EEPKiS6_PKS3_S8_S4_PS3_21rocsparse_index_base_b.num_vgpr, 38
	.set _ZN9rocsparseL19gebsrmvn_2xn_kernelILj128ELj11ELj4EdEEvi20rocsparse_direction_NS_24const_host_device_scalarIT2_EEPKiS6_PKS3_S8_S4_PS3_21rocsparse_index_base_b.num_agpr, 0
	.set _ZN9rocsparseL19gebsrmvn_2xn_kernelILj128ELj11ELj4EdEEvi20rocsparse_direction_NS_24const_host_device_scalarIT2_EEPKiS6_PKS3_S8_S4_PS3_21rocsparse_index_base_b.numbered_sgpr, 16
	.set _ZN9rocsparseL19gebsrmvn_2xn_kernelILj128ELj11ELj4EdEEvi20rocsparse_direction_NS_24const_host_device_scalarIT2_EEPKiS6_PKS3_S8_S4_PS3_21rocsparse_index_base_b.num_named_barrier, 0
	.set _ZN9rocsparseL19gebsrmvn_2xn_kernelILj128ELj11ELj4EdEEvi20rocsparse_direction_NS_24const_host_device_scalarIT2_EEPKiS6_PKS3_S8_S4_PS3_21rocsparse_index_base_b.private_seg_size, 0
	.set _ZN9rocsparseL19gebsrmvn_2xn_kernelILj128ELj11ELj4EdEEvi20rocsparse_direction_NS_24const_host_device_scalarIT2_EEPKiS6_PKS3_S8_S4_PS3_21rocsparse_index_base_b.uses_vcc, 1
	.set _ZN9rocsparseL19gebsrmvn_2xn_kernelILj128ELj11ELj4EdEEvi20rocsparse_direction_NS_24const_host_device_scalarIT2_EEPKiS6_PKS3_S8_S4_PS3_21rocsparse_index_base_b.uses_flat_scratch, 0
	.set _ZN9rocsparseL19gebsrmvn_2xn_kernelILj128ELj11ELj4EdEEvi20rocsparse_direction_NS_24const_host_device_scalarIT2_EEPKiS6_PKS3_S8_S4_PS3_21rocsparse_index_base_b.has_dyn_sized_stack, 0
	.set _ZN9rocsparseL19gebsrmvn_2xn_kernelILj128ELj11ELj4EdEEvi20rocsparse_direction_NS_24const_host_device_scalarIT2_EEPKiS6_PKS3_S8_S4_PS3_21rocsparse_index_base_b.has_recursion, 0
	.set _ZN9rocsparseL19gebsrmvn_2xn_kernelILj128ELj11ELj4EdEEvi20rocsparse_direction_NS_24const_host_device_scalarIT2_EEPKiS6_PKS3_S8_S4_PS3_21rocsparse_index_base_b.has_indirect_call, 0
	.section	.AMDGPU.csdata,"",@progbits
; Kernel info:
; codeLenInByte = 2836
; TotalNumSgprs: 20
; NumVgprs: 38
; ScratchSize: 0
; MemoryBound: 0
; FloatMode: 240
; IeeeMode: 1
; LDSByteSize: 0 bytes/workgroup (compile time only)
; SGPRBlocks: 2
; VGPRBlocks: 9
; NumSGPRsForWavesPerEU: 20
; NumVGPRsForWavesPerEU: 38
; Occupancy: 6
; WaveLimiterHint : 1
; COMPUTE_PGM_RSRC2:SCRATCH_EN: 0
; COMPUTE_PGM_RSRC2:USER_SGPR: 6
; COMPUTE_PGM_RSRC2:TRAP_HANDLER: 0
; COMPUTE_PGM_RSRC2:TGID_X_EN: 1
; COMPUTE_PGM_RSRC2:TGID_Y_EN: 0
; COMPUTE_PGM_RSRC2:TGID_Z_EN: 0
; COMPUTE_PGM_RSRC2:TIDIG_COMP_CNT: 0
	.section	.text._ZN9rocsparseL19gebsrmvn_2xn_kernelILj128ELj11ELj8EdEEvi20rocsparse_direction_NS_24const_host_device_scalarIT2_EEPKiS6_PKS3_S8_S4_PS3_21rocsparse_index_base_b,"axG",@progbits,_ZN9rocsparseL19gebsrmvn_2xn_kernelILj128ELj11ELj8EdEEvi20rocsparse_direction_NS_24const_host_device_scalarIT2_EEPKiS6_PKS3_S8_S4_PS3_21rocsparse_index_base_b,comdat
	.globl	_ZN9rocsparseL19gebsrmvn_2xn_kernelILj128ELj11ELj8EdEEvi20rocsparse_direction_NS_24const_host_device_scalarIT2_EEPKiS6_PKS3_S8_S4_PS3_21rocsparse_index_base_b ; -- Begin function _ZN9rocsparseL19gebsrmvn_2xn_kernelILj128ELj11ELj8EdEEvi20rocsparse_direction_NS_24const_host_device_scalarIT2_EEPKiS6_PKS3_S8_S4_PS3_21rocsparse_index_base_b
	.p2align	8
	.type	_ZN9rocsparseL19gebsrmvn_2xn_kernelILj128ELj11ELj8EdEEvi20rocsparse_direction_NS_24const_host_device_scalarIT2_EEPKiS6_PKS3_S8_S4_PS3_21rocsparse_index_base_b,@function
_ZN9rocsparseL19gebsrmvn_2xn_kernelILj128ELj11ELj8EdEEvi20rocsparse_direction_NS_24const_host_device_scalarIT2_EEPKiS6_PKS3_S8_S4_PS3_21rocsparse_index_base_b: ; @_ZN9rocsparseL19gebsrmvn_2xn_kernelILj128ELj11ELj8EdEEvi20rocsparse_direction_NS_24const_host_device_scalarIT2_EEPKiS6_PKS3_S8_S4_PS3_21rocsparse_index_base_b
; %bb.0:
	s_load_dwordx2 s[2:3], s[4:5], 0x40
	s_load_dwordx2 s[10:11], s[4:5], 0x8
	;; [unrolled: 1-line block ×3, first 2 shown]
	s_waitcnt lgkmcnt(0)
	s_bitcmp1_b32 s3, 0
	s_cselect_b64 s[12:13], -1, 0
	v_mov_b32_e32 v1, s10
	s_xor_b64 s[8:9], s[12:13], -1
	s_and_b64 vcc, exec, s[12:13]
	v_mov_b32_e32 v2, s11
	s_cbranch_vccnz .LBB122_2
; %bb.1:
	v_mov_b32_e32 v1, s10
	v_mov_b32_e32 v2, s11
	flat_load_dwordx2 v[1:2], v[1:2]
.LBB122_2:
	v_mov_b32_e32 v4, s1
	s_andn2_b64 vcc, exec, s[8:9]
	v_mov_b32_e32 v3, s0
	s_cbranch_vccnz .LBB122_4
; %bb.3:
	v_mov_b32_e32 v4, s1
	v_mov_b32_e32 v3, s0
	flat_load_dwordx2 v[3:4], v[3:4]
.LBB122_4:
	s_waitcnt vmcnt(0) lgkmcnt(0)
	v_cmp_neq_f64_e32 vcc, 0, v[1:2]
	v_cmp_neq_f64_e64 s[0:1], 1.0, v[3:4]
	s_or_b64 s[0:1], vcc, s[0:1]
	s_and_saveexec_b64 s[8:9], s[0:1]
	s_cbranch_execz .LBB122_23
; %bb.5:
	s_load_dwordx2 s[0:1], s[4:5], 0x0
	v_lshrrev_b32_e32 v5, 3, v0
	v_lshl_or_b32 v5, s6, 4, v5
	s_waitcnt lgkmcnt(0)
	v_cmp_gt_i32_e32 vcc, s0, v5
	s_and_b64 exec, exec, vcc
	s_cbranch_execz .LBB122_23
; %bb.6:
	s_load_dwordx8 s[8:15], s[4:5], 0x10
	v_ashrrev_i32_e32 v6, 31, v5
	v_lshlrev_b64 v[6:7], 2, v[5:6]
	v_and_b32_e32 v0, 7, v0
	s_cmp_lg_u32 s1, 0
	s_waitcnt lgkmcnt(0)
	v_mov_b32_e32 v8, s9
	v_add_co_u32_e32 v6, vcc, s8, v6
	v_addc_co_u32_e32 v7, vcc, v8, v7, vcc
	global_load_dwordx2 v[6:7], v[6:7], off
	s_waitcnt vmcnt(0)
	v_subrev_u32_e32 v6, s2, v6
	v_subrev_u32_e32 v18, s2, v7
	v_add_u32_e32 v6, v6, v0
	v_cmp_lt_i32_e64 s[0:1], v6, v18
	s_cbranch_scc0 .LBB122_12
; %bb.7:
	v_mov_b32_e32 v8, 0
	v_mov_b32_e32 v10, 0
	;; [unrolled: 1-line block ×4, first 2 shown]
	s_and_saveexec_b64 s[6:7], s[0:1]
	s_cbranch_execz .LBB122_11
; %bb.8:
	v_mad_u64_u32 v[12:13], s[8:9], v6, 22, 20
	v_mov_b32_e32 v8, 0
	v_mov_b32_e32 v10, 0
	;; [unrolled: 1-line block ×3, first 2 shown]
	s_mov_b64 s[8:9], 0
	v_mov_b32_e32 v7, s11
	v_mov_b32_e32 v15, 0
	;; [unrolled: 1-line block ×6, first 2 shown]
.LBB122_9:                              ; =>This Inner Loop Header: Depth=1
	v_ashrrev_i32_e32 v17, 31, v16
	v_lshlrev_b64 v[21:22], 2, v[16:17]
	v_subrev_u32_e32 v14, 20, v12
	v_lshlrev_b64 v[23:24], 3, v[14:15]
	v_add_co_u32_e32 v27, vcc, s10, v21
	v_addc_co_u32_e32 v28, vcc, v7, v22, vcc
	v_add_co_u32_e32 v31, vcc, s12, v23
	v_addc_co_u32_e32 v32, vcc, v19, v24, vcc
	global_load_dword v17, v[27:28], off
	global_load_dwordx4 v[21:24], v[31:32], off
	v_mov_b32_e32 v13, v15
	v_lshlrev_b64 v[25:26], 3, v[12:13]
	v_subrev_u32_e32 v14, 18, v12
	v_lshlrev_b64 v[13:14], 3, v[14:15]
	v_add_co_u32_e32 v33, vcc, s12, v25
	v_mov_b32_e32 v30, v15
	v_addc_co_u32_e32 v34, vcc, v19, v26, vcc
	v_add_co_u32_e32 v13, vcc, s12, v13
	v_addc_co_u32_e32 v14, vcc, v19, v14, vcc
	v_add_u32_e32 v16, 8, v16
	s_waitcnt vmcnt(1)
	v_subrev_u32_e32 v17, s2, v17
	v_mul_lo_u32 v29, v17, 11
	v_lshlrev_b64 v[25:26], 3, v[29:30]
	v_add_co_u32_e32 v30, vcc, s14, v25
	v_addc_co_u32_e32 v31, vcc, v20, v26, vcc
	global_load_dwordx4 v[25:28], v[33:34], off
	global_load_dwordx2 v[35:36], v[30:31], off
	s_waitcnt vmcnt(0)
	v_fma_f64 v[21:22], v[21:22], v[35:36], v[8:9]
	v_fma_f64 v[23:24], v[23:24], v[35:36], v[10:11]
	global_load_dwordx4 v[8:11], v[13:14], off
	v_add_u32_e32 v14, 1, v29
	v_lshlrev_b64 v[30:31], 3, v[14:15]
	v_add_u32_e32 v14, -16, v12
	v_add_co_u32_e32 v30, vcc, s14, v30
	v_addc_co_u32_e32 v31, vcc, v20, v31, vcc
	global_load_dwordx2 v[30:31], v[30:31], off
	v_lshlrev_b64 v[32:33], 3, v[14:15]
	v_add_u32_e32 v14, 2, v29
	s_waitcnt vmcnt(0)
	v_fma_f64 v[21:22], v[8:9], v[30:31], v[21:22]
	v_fma_f64 v[23:24], v[10:11], v[30:31], v[23:24]
	v_lshlrev_b64 v[8:9], 3, v[14:15]
	v_add_co_u32_e32 v30, vcc, s12, v32
	v_addc_co_u32_e32 v31, vcc, v19, v33, vcc
	v_add_co_u32_e32 v34, vcc, s14, v8
	v_addc_co_u32_e32 v35, vcc, v20, v9, vcc
	global_load_dwordx4 v[8:11], v[30:31], off
	global_load_dwordx2 v[36:37], v[34:35], off
	v_add_u32_e32 v14, -14, v12
	v_lshlrev_b64 v[32:33], 3, v[14:15]
	v_add_u32_e32 v14, 3, v29
	v_add_co_u32_e32 v30, vcc, s12, v32
	v_addc_co_u32_e32 v31, vcc, v19, v33, vcc
	s_waitcnt vmcnt(0)
	v_fma_f64 v[21:22], v[8:9], v[36:37], v[21:22]
	v_lshlrev_b64 v[8:9], 3, v[14:15]
	v_fma_f64 v[23:24], v[10:11], v[36:37], v[23:24]
	v_add_co_u32_e32 v34, vcc, s14, v8
	v_addc_co_u32_e32 v35, vcc, v20, v9, vcc
	global_load_dwordx4 v[8:11], v[30:31], off
	global_load_dwordx2 v[36:37], v[34:35], off
	v_add_u32_e32 v14, -12, v12
	v_lshlrev_b64 v[32:33], 3, v[14:15]
	v_add_u32_e32 v14, 4, v29
	v_add_co_u32_e32 v30, vcc, s12, v32
	v_addc_co_u32_e32 v31, vcc, v19, v33, vcc
	s_waitcnt vmcnt(0)
	v_fma_f64 v[21:22], v[8:9], v[36:37], v[21:22]
	v_lshlrev_b64 v[8:9], 3, v[14:15]
	v_fma_f64 v[23:24], v[10:11], v[36:37], v[23:24]
	;; [unrolled: 13-line block ×6, first 2 shown]
	v_add_co_u32_e32 v34, vcc, s14, v8
	v_addc_co_u32_e32 v35, vcc, v20, v9, vcc
	global_load_dwordx4 v[8:11], v[30:31], off
	global_load_dwordx2 v[36:37], v[34:35], off
	v_add_u32_e32 v14, -2, v12
	v_lshlrev_b64 v[32:33], 3, v[14:15]
	v_add_u32_e32 v14, 9, v29
	v_add_co_u32_e32 v13, vcc, s12, v32
	v_add_u32_e32 v12, 0xb0, v12
	s_waitcnt vmcnt(0)
	v_fma_f64 v[21:22], v[8:9], v[36:37], v[21:22]
	v_lshlrev_b64 v[8:9], 3, v[14:15]
	v_addc_co_u32_e32 v14, vcc, v19, v33, vcc
	v_add_co_u32_e32 v30, vcc, s14, v8
	v_fma_f64 v[23:24], v[10:11], v[36:37], v[23:24]
	v_addc_co_u32_e32 v31, vcc, v20, v9, vcc
	global_load_dwordx4 v[8:11], v[13:14], off
	global_load_dwordx2 v[32:33], v[30:31], off
	v_add_u32_e32 v14, 10, v29
	v_lshlrev_b64 v[13:14], 3, v[14:15]
	v_add_co_u32_e32 v13, vcc, s14, v13
	v_addc_co_u32_e32 v14, vcc, v20, v14, vcc
	global_load_dwordx2 v[13:14], v[13:14], off
	v_cmp_ge_i32_e32 vcc, v16, v18
	s_or_b64 s[8:9], vcc, s[8:9]
	s_waitcnt vmcnt(1)
	v_fma_f64 v[8:9], v[8:9], v[32:33], v[21:22]
	v_fma_f64 v[10:11], v[10:11], v[32:33], v[23:24]
	s_waitcnt vmcnt(0)
	v_fma_f64 v[8:9], v[25:26], v[13:14], v[8:9]
	v_fma_f64 v[10:11], v[27:28], v[13:14], v[10:11]
	s_andn2_b64 exec, exec, s[8:9]
	s_cbranch_execnz .LBB122_9
; %bb.10:
	s_or_b64 exec, exec, s[8:9]
.LBB122_11:
	s_or_b64 exec, exec, s[6:7]
	s_cbranch_execz .LBB122_13
	s_branch .LBB122_18
.LBB122_12:
                                        ; implicit-def: $vgpr8_vgpr9
                                        ; implicit-def: $vgpr10_vgpr11
.LBB122_13:
	v_mov_b32_e32 v8, 0
	v_mov_b32_e32 v10, 0
	;; [unrolled: 1-line block ×4, first 2 shown]
	s_and_saveexec_b64 s[6:7], s[0:1]
	s_cbranch_execz .LBB122_17
; %bb.14:
	v_mad_u64_u32 v[12:13], s[0:1], v6, 22, 21
	v_mov_b32_e32 v8, 0
	v_mov_b32_e32 v10, 0
	;; [unrolled: 1-line block ×3, first 2 shown]
	s_mov_b64 s[0:1], 0
	v_mov_b32_e32 v16, s11
	v_mov_b32_e32 v15, 0
	;; [unrolled: 1-line block ×5, first 2 shown]
.LBB122_15:                             ; =>This Inner Loop Header: Depth=1
	v_ashrrev_i32_e32 v7, 31, v6
	v_lshlrev_b64 v[22:23], 2, v[6:7]
	v_subrev_u32_e32 v14, 21, v12
	v_add_co_u32_e32 v22, vcc, s10, v22
	v_addc_co_u32_e32 v23, vcc, v16, v23, vcc
	global_load_dword v7, v[22:23], off
	v_lshlrev_b64 v[24:25], 3, v[14:15]
	v_add_u32_e32 v20, -10, v12
	v_mov_b32_e32 v21, v15
	v_lshlrev_b64 v[20:21], 3, v[20:21]
	v_add_co_u32_e32 v24, vcc, s12, v24
	v_mov_b32_e32 v13, v15
	v_addc_co_u32_e32 v25, vcc, v17, v25, vcc
	v_lshlrev_b64 v[13:14], 3, v[12:13]
	v_add_co_u32_e32 v20, vcc, s12, v20
	v_addc_co_u32_e32 v21, vcc, v17, v21, vcc
	v_add_co_u32_e32 v26, vcc, s12, v13
	v_addc_co_u32_e32 v27, vcc, v17, v14, vcc
	v_mov_b32_e32 v14, v15
	v_add_u32_e32 v6, 8, v6
	s_waitcnt vmcnt(0)
	v_subrev_u32_e32 v7, s2, v7
	v_mul_lo_u32 v13, v7, 11
	v_lshlrev_b64 v[22:23], 3, v[13:14]
	v_add_u32_e32 v14, 1, v13
	v_add_co_u32_e32 v22, vcc, s14, v22
	v_addc_co_u32_e32 v23, vcc, v19, v23, vcc
	global_load_dwordx2 v[30:31], v[20:21], off
	global_load_dwordx2 v[32:33], v[22:23], off
	v_lshlrev_b64 v[28:29], 3, v[14:15]
	global_load_dwordx4 v[20:23], v[24:25], off
	v_add_co_u32_e32 v28, vcc, s14, v28
	v_addc_co_u32_e32 v29, vcc, v19, v29, vcc
	v_add_u32_e32 v14, -9, v12
	s_waitcnt vmcnt(1)
	v_fma_f64 v[10:11], v[30:31], v[32:33], v[10:11]
	s_waitcnt vmcnt(0)
	v_fma_f64 v[7:8], v[20:21], v[32:33], v[8:9]
	global_load_dwordx2 v[20:21], v[28:29], off
	s_waitcnt vmcnt(0)
	v_fma_f64 v[7:8], v[22:23], v[20:21], v[7:8]
	v_lshlrev_b64 v[22:23], 3, v[14:15]
	v_subrev_u32_e32 v14, 19, v12
	v_add_co_u32_e32 v22, vcc, s12, v22
	v_lshlrev_b64 v[24:25], 3, v[14:15]
	v_addc_co_u32_e32 v23, vcc, v17, v23, vcc
	v_add_co_u32_e32 v24, vcc, s12, v24
	v_addc_co_u32_e32 v25, vcc, v17, v25, vcc
	global_load_dwordx2 v[28:29], v[22:23], off
	global_load_dwordx2 v[30:31], v[24:25], off
	v_add_u32_e32 v14, 2, v13
	s_waitcnt vmcnt(1)
	v_fma_f64 v[9:10], v[28:29], v[20:21], v[10:11]
	v_lshlrev_b64 v[20:21], 3, v[14:15]
	v_add_u32_e32 v14, -8, v12
	v_add_co_u32_e32 v20, vcc, s14, v20
	v_addc_co_u32_e32 v21, vcc, v19, v21, vcc
	global_load_dwordx2 v[20:21], v[20:21], off
	v_lshlrev_b64 v[22:23], 3, v[14:15]
	v_subrev_u32_e32 v14, 18, v12
	v_add_co_u32_e32 v22, vcc, s12, v22
	v_lshlrev_b64 v[24:25], 3, v[14:15]
	v_addc_co_u32_e32 v23, vcc, v17, v23, vcc
	v_add_co_u32_e32 v24, vcc, s12, v24
	v_addc_co_u32_e32 v25, vcc, v17, v25, vcc
	v_add_u32_e32 v14, 3, v13
	s_waitcnt vmcnt(0)
	v_fma_f64 v[7:8], v[30:31], v[20:21], v[7:8]
	global_load_dwordx2 v[28:29], v[22:23], off
	global_load_dwordx2 v[30:31], v[24:25], off
	s_waitcnt vmcnt(1)
	v_fma_f64 v[9:10], v[28:29], v[20:21], v[9:10]
	v_lshlrev_b64 v[20:21], 3, v[14:15]
	v_add_u32_e32 v14, -7, v12
	v_add_co_u32_e32 v20, vcc, s14, v20
	v_addc_co_u32_e32 v21, vcc, v19, v21, vcc
	global_load_dwordx2 v[20:21], v[20:21], off
	v_lshlrev_b64 v[22:23], 3, v[14:15]
	v_subrev_u32_e32 v14, 17, v12
	v_add_co_u32_e32 v22, vcc, s12, v22
	v_lshlrev_b64 v[24:25], 3, v[14:15]
	v_addc_co_u32_e32 v23, vcc, v17, v23, vcc
	v_add_co_u32_e32 v24, vcc, s12, v24
	v_addc_co_u32_e32 v25, vcc, v17, v25, vcc
	v_add_u32_e32 v14, 4, v13
	s_waitcnt vmcnt(0)
	v_fma_f64 v[7:8], v[30:31], v[20:21], v[7:8]
	global_load_dwordx2 v[28:29], v[22:23], off
	global_load_dwordx2 v[30:31], v[24:25], off
	s_waitcnt vmcnt(1)
	v_fma_f64 v[9:10], v[28:29], v[20:21], v[9:10]
	v_lshlrev_b64 v[20:21], 3, v[14:15]
	v_add_u32_e32 v14, -6, v12
	v_add_co_u32_e32 v20, vcc, s14, v20
	v_addc_co_u32_e32 v21, vcc, v19, v21, vcc
	global_load_dwordx2 v[20:21], v[20:21], off
	v_lshlrev_b64 v[22:23], 3, v[14:15]
	v_add_u32_e32 v14, -16, v12
	v_add_co_u32_e32 v22, vcc, s12, v22
	v_lshlrev_b64 v[24:25], 3, v[14:15]
	v_addc_co_u32_e32 v23, vcc, v17, v23, vcc
	v_add_co_u32_e32 v24, vcc, s12, v24
	v_addc_co_u32_e32 v25, vcc, v17, v25, vcc
	v_add_u32_e32 v14, 5, v13
	s_waitcnt vmcnt(0)
	v_fma_f64 v[7:8], v[30:31], v[20:21], v[7:8]
	global_load_dwordx2 v[28:29], v[22:23], off
	global_load_dwordx2 v[30:31], v[24:25], off
	s_waitcnt vmcnt(1)
	v_fma_f64 v[9:10], v[28:29], v[20:21], v[9:10]
	v_lshlrev_b64 v[20:21], 3, v[14:15]
	v_add_u32_e32 v14, -5, v12
	v_add_co_u32_e32 v20, vcc, s14, v20
	v_addc_co_u32_e32 v21, vcc, v19, v21, vcc
	global_load_dwordx2 v[20:21], v[20:21], off
	v_lshlrev_b64 v[22:23], 3, v[14:15]
	v_add_u32_e32 v14, -15, v12
	;; [unrolled: 19-line block ×6, first 2 shown]
	v_lshlrev_b64 v[24:25], 3, v[14:15]
	v_add_co_u32_e32 v22, vcc, s12, v22
	v_add_u32_e32 v14, 10, v13
	v_addc_co_u32_e32 v23, vcc, v17, v23, vcc
	v_add_co_u32_e32 v24, vcc, s12, v24
	v_lshlrev_b64 v[13:14], 3, v[14:15]
	v_addc_co_u32_e32 v25, vcc, v17, v25, vcc
	v_add_co_u32_e32 v13, vcc, s14, v13
	v_addc_co_u32_e32 v14, vcc, v19, v14, vcc
	v_cmp_ge_i32_e32 vcc, v6, v18
	s_or_b64 s[0:1], vcc, s[0:1]
	v_add_u32_e32 v12, 0xb0, v12
	s_waitcnt vmcnt(0)
	v_fma_f64 v[7:8], v[30:31], v[20:21], v[7:8]
	global_load_dwordx2 v[28:29], v[22:23], off
	global_load_dwordx2 v[30:31], v[26:27], off
	;; [unrolled: 1-line block ×4, first 2 shown]
	s_waitcnt vmcnt(3)
	v_fma_f64 v[10:11], v[28:29], v[20:21], v[9:10]
	s_waitcnt vmcnt(0)
	v_fma_f64 v[8:9], v[32:33], v[34:35], v[7:8]
	v_fma_f64 v[10:11], v[30:31], v[34:35], v[10:11]
	s_andn2_b64 exec, exec, s[0:1]
	s_cbranch_execnz .LBB122_15
; %bb.16:
	s_or_b64 exec, exec, s[0:1]
.LBB122_17:
	s_or_b64 exec, exec, s[6:7]
.LBB122_18:
	v_mov_b32_dpp v6, v8 row_shr:1 row_mask:0xf bank_mask:0xf
	v_mov_b32_dpp v7, v9 row_shr:1 row_mask:0xf bank_mask:0xf
	v_add_f64 v[6:7], v[8:9], v[6:7]
	v_mov_b32_dpp v8, v10 row_shr:1 row_mask:0xf bank_mask:0xf
	v_mov_b32_dpp v9, v11 row_shr:1 row_mask:0xf bank_mask:0xf
	v_add_f64 v[8:9], v[10:11], v[8:9]
	v_cmp_eq_u32_e32 vcc, 7, v0
	v_mov_b32_dpp v10, v6 row_shr:2 row_mask:0xf bank_mask:0xf
	v_mov_b32_dpp v11, v7 row_shr:2 row_mask:0xf bank_mask:0xf
	v_add_f64 v[6:7], v[6:7], v[10:11]
	v_mov_b32_dpp v12, v8 row_shr:2 row_mask:0xf bank_mask:0xf
	v_mov_b32_dpp v13, v9 row_shr:2 row_mask:0xf bank_mask:0xf
	v_add_f64 v[10:11], v[8:9], v[12:13]
	v_mov_b32_dpp v8, v6 row_shr:4 row_mask:0xf bank_mask:0xe
	v_mov_b32_dpp v9, v7 row_shr:4 row_mask:0xf bank_mask:0xe
	;; [unrolled: 1-line block ×4, first 2 shown]
	s_and_b64 exec, exec, vcc
	s_cbranch_execz .LBB122_23
; %bb.19:
	v_add_f64 v[8:9], v[6:7], v[8:9]
	v_add_f64 v[6:7], v[10:11], v[12:13]
	v_cmp_eq_f64_e32 vcc, 0, v[3:4]
	s_load_dwordx2 s[0:1], s[4:5], 0x38
	s_and_saveexec_b64 s[2:3], vcc
	s_xor_b64 s[2:3], exec, s[2:3]
	s_cbranch_execz .LBB122_21
; %bb.20:
	v_mul_f64 v[3:4], v[1:2], v[8:9]
	v_lshlrev_b32_e32 v0, 1, v5
	v_mul_f64 v[5:6], v[1:2], v[6:7]
	v_ashrrev_i32_e32 v1, 31, v0
	v_lshlrev_b64 v[0:1], 3, v[0:1]
	s_waitcnt lgkmcnt(0)
	v_mov_b32_e32 v2, s1
	v_add_co_u32_e32 v0, vcc, s0, v0
	v_addc_co_u32_e32 v1, vcc, v2, v1, vcc
	global_store_dwordx4 v[0:1], v[3:6], off
                                        ; implicit-def: $vgpr5
                                        ; implicit-def: $vgpr1_vgpr2
                                        ; implicit-def: $vgpr8_vgpr9
                                        ; implicit-def: $vgpr3_vgpr4
                                        ; implicit-def: $vgpr6_vgpr7
.LBB122_21:
	s_andn2_saveexec_b64 s[2:3], s[2:3]
	s_cbranch_execz .LBB122_23
; %bb.22:
	v_lshlrev_b32_e32 v10, 1, v5
	v_ashrrev_i32_e32 v11, 31, v10
	v_lshlrev_b64 v[10:11], 3, v[10:11]
	s_waitcnt lgkmcnt(0)
	v_mov_b32_e32 v0, s1
	v_add_co_u32_e32 v14, vcc, s0, v10
	v_addc_co_u32_e32 v15, vcc, v0, v11, vcc
	global_load_dwordx4 v[10:13], v[14:15], off
	v_mul_f64 v[8:9], v[1:2], v[8:9]
	v_mul_f64 v[5:6], v[1:2], v[6:7]
	s_waitcnt vmcnt(0)
	v_fma_f64 v[0:1], v[3:4], v[10:11], v[8:9]
	v_fma_f64 v[2:3], v[3:4], v[12:13], v[5:6]
	global_store_dwordx4 v[14:15], v[0:3], off
.LBB122_23:
	s_endpgm
	.section	.rodata,"a",@progbits
	.p2align	6, 0x0
	.amdhsa_kernel _ZN9rocsparseL19gebsrmvn_2xn_kernelILj128ELj11ELj8EdEEvi20rocsparse_direction_NS_24const_host_device_scalarIT2_EEPKiS6_PKS3_S8_S4_PS3_21rocsparse_index_base_b
		.amdhsa_group_segment_fixed_size 0
		.amdhsa_private_segment_fixed_size 0
		.amdhsa_kernarg_size 72
		.amdhsa_user_sgpr_count 6
		.amdhsa_user_sgpr_private_segment_buffer 1
		.amdhsa_user_sgpr_dispatch_ptr 0
		.amdhsa_user_sgpr_queue_ptr 0
		.amdhsa_user_sgpr_kernarg_segment_ptr 1
		.amdhsa_user_sgpr_dispatch_id 0
		.amdhsa_user_sgpr_flat_scratch_init 0
		.amdhsa_user_sgpr_private_segment_size 0
		.amdhsa_uses_dynamic_stack 0
		.amdhsa_system_sgpr_private_segment_wavefront_offset 0
		.amdhsa_system_sgpr_workgroup_id_x 1
		.amdhsa_system_sgpr_workgroup_id_y 0
		.amdhsa_system_sgpr_workgroup_id_z 0
		.amdhsa_system_sgpr_workgroup_info 0
		.amdhsa_system_vgpr_workitem_id 0
		.amdhsa_next_free_vgpr 38
		.amdhsa_next_free_sgpr 16
		.amdhsa_reserve_vcc 1
		.amdhsa_reserve_flat_scratch 0
		.amdhsa_float_round_mode_32 0
		.amdhsa_float_round_mode_16_64 0
		.amdhsa_float_denorm_mode_32 3
		.amdhsa_float_denorm_mode_16_64 3
		.amdhsa_dx10_clamp 1
		.amdhsa_ieee_mode 1
		.amdhsa_fp16_overflow 0
		.amdhsa_exception_fp_ieee_invalid_op 0
		.amdhsa_exception_fp_denorm_src 0
		.amdhsa_exception_fp_ieee_div_zero 0
		.amdhsa_exception_fp_ieee_overflow 0
		.amdhsa_exception_fp_ieee_underflow 0
		.amdhsa_exception_fp_ieee_inexact 0
		.amdhsa_exception_int_div_zero 0
	.end_amdhsa_kernel
	.section	.text._ZN9rocsparseL19gebsrmvn_2xn_kernelILj128ELj11ELj8EdEEvi20rocsparse_direction_NS_24const_host_device_scalarIT2_EEPKiS6_PKS3_S8_S4_PS3_21rocsparse_index_base_b,"axG",@progbits,_ZN9rocsparseL19gebsrmvn_2xn_kernelILj128ELj11ELj8EdEEvi20rocsparse_direction_NS_24const_host_device_scalarIT2_EEPKiS6_PKS3_S8_S4_PS3_21rocsparse_index_base_b,comdat
.Lfunc_end122:
	.size	_ZN9rocsparseL19gebsrmvn_2xn_kernelILj128ELj11ELj8EdEEvi20rocsparse_direction_NS_24const_host_device_scalarIT2_EEPKiS6_PKS3_S8_S4_PS3_21rocsparse_index_base_b, .Lfunc_end122-_ZN9rocsparseL19gebsrmvn_2xn_kernelILj128ELj11ELj8EdEEvi20rocsparse_direction_NS_24const_host_device_scalarIT2_EEPKiS6_PKS3_S8_S4_PS3_21rocsparse_index_base_b
                                        ; -- End function
	.set _ZN9rocsparseL19gebsrmvn_2xn_kernelILj128ELj11ELj8EdEEvi20rocsparse_direction_NS_24const_host_device_scalarIT2_EEPKiS6_PKS3_S8_S4_PS3_21rocsparse_index_base_b.num_vgpr, 38
	.set _ZN9rocsparseL19gebsrmvn_2xn_kernelILj128ELj11ELj8EdEEvi20rocsparse_direction_NS_24const_host_device_scalarIT2_EEPKiS6_PKS3_S8_S4_PS3_21rocsparse_index_base_b.num_agpr, 0
	.set _ZN9rocsparseL19gebsrmvn_2xn_kernelILj128ELj11ELj8EdEEvi20rocsparse_direction_NS_24const_host_device_scalarIT2_EEPKiS6_PKS3_S8_S4_PS3_21rocsparse_index_base_b.numbered_sgpr, 16
	.set _ZN9rocsparseL19gebsrmvn_2xn_kernelILj128ELj11ELj8EdEEvi20rocsparse_direction_NS_24const_host_device_scalarIT2_EEPKiS6_PKS3_S8_S4_PS3_21rocsparse_index_base_b.num_named_barrier, 0
	.set _ZN9rocsparseL19gebsrmvn_2xn_kernelILj128ELj11ELj8EdEEvi20rocsparse_direction_NS_24const_host_device_scalarIT2_EEPKiS6_PKS3_S8_S4_PS3_21rocsparse_index_base_b.private_seg_size, 0
	.set _ZN9rocsparseL19gebsrmvn_2xn_kernelILj128ELj11ELj8EdEEvi20rocsparse_direction_NS_24const_host_device_scalarIT2_EEPKiS6_PKS3_S8_S4_PS3_21rocsparse_index_base_b.uses_vcc, 1
	.set _ZN9rocsparseL19gebsrmvn_2xn_kernelILj128ELj11ELj8EdEEvi20rocsparse_direction_NS_24const_host_device_scalarIT2_EEPKiS6_PKS3_S8_S4_PS3_21rocsparse_index_base_b.uses_flat_scratch, 0
	.set _ZN9rocsparseL19gebsrmvn_2xn_kernelILj128ELj11ELj8EdEEvi20rocsparse_direction_NS_24const_host_device_scalarIT2_EEPKiS6_PKS3_S8_S4_PS3_21rocsparse_index_base_b.has_dyn_sized_stack, 0
	.set _ZN9rocsparseL19gebsrmvn_2xn_kernelILj128ELj11ELj8EdEEvi20rocsparse_direction_NS_24const_host_device_scalarIT2_EEPKiS6_PKS3_S8_S4_PS3_21rocsparse_index_base_b.has_recursion, 0
	.set _ZN9rocsparseL19gebsrmvn_2xn_kernelILj128ELj11ELj8EdEEvi20rocsparse_direction_NS_24const_host_device_scalarIT2_EEPKiS6_PKS3_S8_S4_PS3_21rocsparse_index_base_b.has_indirect_call, 0
	.section	.AMDGPU.csdata,"",@progbits
; Kernel info:
; codeLenInByte = 2884
; TotalNumSgprs: 20
; NumVgprs: 38
; ScratchSize: 0
; MemoryBound: 0
; FloatMode: 240
; IeeeMode: 1
; LDSByteSize: 0 bytes/workgroup (compile time only)
; SGPRBlocks: 2
; VGPRBlocks: 9
; NumSGPRsForWavesPerEU: 20
; NumVGPRsForWavesPerEU: 38
; Occupancy: 6
; WaveLimiterHint : 1
; COMPUTE_PGM_RSRC2:SCRATCH_EN: 0
; COMPUTE_PGM_RSRC2:USER_SGPR: 6
; COMPUTE_PGM_RSRC2:TRAP_HANDLER: 0
; COMPUTE_PGM_RSRC2:TGID_X_EN: 1
; COMPUTE_PGM_RSRC2:TGID_Y_EN: 0
; COMPUTE_PGM_RSRC2:TGID_Z_EN: 0
; COMPUTE_PGM_RSRC2:TIDIG_COMP_CNT: 0
	.section	.text._ZN9rocsparseL19gebsrmvn_2xn_kernelILj128ELj11ELj16EdEEvi20rocsparse_direction_NS_24const_host_device_scalarIT2_EEPKiS6_PKS3_S8_S4_PS3_21rocsparse_index_base_b,"axG",@progbits,_ZN9rocsparseL19gebsrmvn_2xn_kernelILj128ELj11ELj16EdEEvi20rocsparse_direction_NS_24const_host_device_scalarIT2_EEPKiS6_PKS3_S8_S4_PS3_21rocsparse_index_base_b,comdat
	.globl	_ZN9rocsparseL19gebsrmvn_2xn_kernelILj128ELj11ELj16EdEEvi20rocsparse_direction_NS_24const_host_device_scalarIT2_EEPKiS6_PKS3_S8_S4_PS3_21rocsparse_index_base_b ; -- Begin function _ZN9rocsparseL19gebsrmvn_2xn_kernelILj128ELj11ELj16EdEEvi20rocsparse_direction_NS_24const_host_device_scalarIT2_EEPKiS6_PKS3_S8_S4_PS3_21rocsparse_index_base_b
	.p2align	8
	.type	_ZN9rocsparseL19gebsrmvn_2xn_kernelILj128ELj11ELj16EdEEvi20rocsparse_direction_NS_24const_host_device_scalarIT2_EEPKiS6_PKS3_S8_S4_PS3_21rocsparse_index_base_b,@function
_ZN9rocsparseL19gebsrmvn_2xn_kernelILj128ELj11ELj16EdEEvi20rocsparse_direction_NS_24const_host_device_scalarIT2_EEPKiS6_PKS3_S8_S4_PS3_21rocsparse_index_base_b: ; @_ZN9rocsparseL19gebsrmvn_2xn_kernelILj128ELj11ELj16EdEEvi20rocsparse_direction_NS_24const_host_device_scalarIT2_EEPKiS6_PKS3_S8_S4_PS3_21rocsparse_index_base_b
; %bb.0:
	s_load_dwordx2 s[2:3], s[4:5], 0x40
	s_load_dwordx2 s[10:11], s[4:5], 0x8
	;; [unrolled: 1-line block ×3, first 2 shown]
	s_waitcnt lgkmcnt(0)
	s_bitcmp1_b32 s3, 0
	s_cselect_b64 s[12:13], -1, 0
	v_mov_b32_e32 v1, s10
	s_xor_b64 s[8:9], s[12:13], -1
	s_and_b64 vcc, exec, s[12:13]
	v_mov_b32_e32 v2, s11
	s_cbranch_vccnz .LBB123_2
; %bb.1:
	v_mov_b32_e32 v1, s10
	v_mov_b32_e32 v2, s11
	flat_load_dwordx2 v[1:2], v[1:2]
.LBB123_2:
	v_mov_b32_e32 v4, s1
	s_andn2_b64 vcc, exec, s[8:9]
	v_mov_b32_e32 v3, s0
	s_cbranch_vccnz .LBB123_4
; %bb.3:
	v_mov_b32_e32 v4, s1
	v_mov_b32_e32 v3, s0
	flat_load_dwordx2 v[3:4], v[3:4]
.LBB123_4:
	s_waitcnt vmcnt(0) lgkmcnt(0)
	v_cmp_neq_f64_e32 vcc, 0, v[1:2]
	v_cmp_neq_f64_e64 s[0:1], 1.0, v[3:4]
	s_or_b64 s[0:1], vcc, s[0:1]
	s_and_saveexec_b64 s[8:9], s[0:1]
	s_cbranch_execz .LBB123_23
; %bb.5:
	s_load_dwordx2 s[0:1], s[4:5], 0x0
	v_lshrrev_b32_e32 v5, 4, v0
	v_lshl_or_b32 v5, s6, 3, v5
	s_waitcnt lgkmcnt(0)
	v_cmp_gt_i32_e32 vcc, s0, v5
	s_and_b64 exec, exec, vcc
	s_cbranch_execz .LBB123_23
; %bb.6:
	s_load_dwordx8 s[8:15], s[4:5], 0x10
	v_ashrrev_i32_e32 v6, 31, v5
	v_lshlrev_b64 v[6:7], 2, v[5:6]
	v_and_b32_e32 v0, 15, v0
	s_cmp_lg_u32 s1, 0
	s_waitcnt lgkmcnt(0)
	v_mov_b32_e32 v8, s9
	v_add_co_u32_e32 v6, vcc, s8, v6
	v_addc_co_u32_e32 v7, vcc, v8, v7, vcc
	global_load_dwordx2 v[6:7], v[6:7], off
	s_waitcnt vmcnt(0)
	v_subrev_u32_e32 v6, s2, v6
	v_subrev_u32_e32 v18, s2, v7
	v_add_u32_e32 v6, v6, v0
	v_cmp_lt_i32_e64 s[0:1], v6, v18
	s_cbranch_scc0 .LBB123_12
; %bb.7:
	v_mov_b32_e32 v8, 0
	v_mov_b32_e32 v10, 0
	;; [unrolled: 1-line block ×4, first 2 shown]
	s_and_saveexec_b64 s[6:7], s[0:1]
	s_cbranch_execz .LBB123_11
; %bb.8:
	v_mad_u64_u32 v[12:13], s[8:9], v6, 22, 20
	v_mov_b32_e32 v8, 0
	v_mov_b32_e32 v10, 0
	;; [unrolled: 1-line block ×3, first 2 shown]
	s_mov_b64 s[8:9], 0
	v_mov_b32_e32 v7, s11
	v_mov_b32_e32 v15, 0
	;; [unrolled: 1-line block ×6, first 2 shown]
.LBB123_9:                              ; =>This Inner Loop Header: Depth=1
	v_ashrrev_i32_e32 v17, 31, v16
	v_lshlrev_b64 v[21:22], 2, v[16:17]
	v_subrev_u32_e32 v14, 20, v12
	v_lshlrev_b64 v[23:24], 3, v[14:15]
	v_add_co_u32_e32 v27, vcc, s10, v21
	v_addc_co_u32_e32 v28, vcc, v7, v22, vcc
	v_add_co_u32_e32 v31, vcc, s12, v23
	v_addc_co_u32_e32 v32, vcc, v19, v24, vcc
	global_load_dword v17, v[27:28], off
	global_load_dwordx4 v[21:24], v[31:32], off
	v_mov_b32_e32 v13, v15
	v_lshlrev_b64 v[25:26], 3, v[12:13]
	v_subrev_u32_e32 v14, 18, v12
	v_lshlrev_b64 v[13:14], 3, v[14:15]
	v_add_co_u32_e32 v33, vcc, s12, v25
	v_mov_b32_e32 v30, v15
	v_addc_co_u32_e32 v34, vcc, v19, v26, vcc
	v_add_co_u32_e32 v13, vcc, s12, v13
	v_addc_co_u32_e32 v14, vcc, v19, v14, vcc
	v_add_u32_e32 v16, 16, v16
	s_waitcnt vmcnt(1)
	v_subrev_u32_e32 v17, s2, v17
	v_mul_lo_u32 v29, v17, 11
	v_lshlrev_b64 v[25:26], 3, v[29:30]
	v_add_co_u32_e32 v30, vcc, s14, v25
	v_addc_co_u32_e32 v31, vcc, v20, v26, vcc
	global_load_dwordx4 v[25:28], v[33:34], off
	global_load_dwordx2 v[35:36], v[30:31], off
	s_waitcnt vmcnt(0)
	v_fma_f64 v[21:22], v[21:22], v[35:36], v[8:9]
	v_fma_f64 v[23:24], v[23:24], v[35:36], v[10:11]
	global_load_dwordx4 v[8:11], v[13:14], off
	v_add_u32_e32 v14, 1, v29
	v_lshlrev_b64 v[30:31], 3, v[14:15]
	v_add_u32_e32 v14, -16, v12
	v_add_co_u32_e32 v30, vcc, s14, v30
	v_addc_co_u32_e32 v31, vcc, v20, v31, vcc
	global_load_dwordx2 v[30:31], v[30:31], off
	v_lshlrev_b64 v[32:33], 3, v[14:15]
	v_add_u32_e32 v14, 2, v29
	s_waitcnt vmcnt(0)
	v_fma_f64 v[21:22], v[8:9], v[30:31], v[21:22]
	v_fma_f64 v[23:24], v[10:11], v[30:31], v[23:24]
	v_lshlrev_b64 v[8:9], 3, v[14:15]
	v_add_co_u32_e32 v30, vcc, s12, v32
	v_addc_co_u32_e32 v31, vcc, v19, v33, vcc
	v_add_co_u32_e32 v34, vcc, s14, v8
	v_addc_co_u32_e32 v35, vcc, v20, v9, vcc
	global_load_dwordx4 v[8:11], v[30:31], off
	global_load_dwordx2 v[36:37], v[34:35], off
	v_add_u32_e32 v14, -14, v12
	v_lshlrev_b64 v[32:33], 3, v[14:15]
	v_add_u32_e32 v14, 3, v29
	v_add_co_u32_e32 v30, vcc, s12, v32
	v_addc_co_u32_e32 v31, vcc, v19, v33, vcc
	s_waitcnt vmcnt(0)
	v_fma_f64 v[21:22], v[8:9], v[36:37], v[21:22]
	v_lshlrev_b64 v[8:9], 3, v[14:15]
	v_fma_f64 v[23:24], v[10:11], v[36:37], v[23:24]
	v_add_co_u32_e32 v34, vcc, s14, v8
	v_addc_co_u32_e32 v35, vcc, v20, v9, vcc
	global_load_dwordx4 v[8:11], v[30:31], off
	global_load_dwordx2 v[36:37], v[34:35], off
	v_add_u32_e32 v14, -12, v12
	v_lshlrev_b64 v[32:33], 3, v[14:15]
	v_add_u32_e32 v14, 4, v29
	v_add_co_u32_e32 v30, vcc, s12, v32
	v_addc_co_u32_e32 v31, vcc, v19, v33, vcc
	s_waitcnt vmcnt(0)
	v_fma_f64 v[21:22], v[8:9], v[36:37], v[21:22]
	v_lshlrev_b64 v[8:9], 3, v[14:15]
	v_fma_f64 v[23:24], v[10:11], v[36:37], v[23:24]
	;; [unrolled: 13-line block ×6, first 2 shown]
	v_add_co_u32_e32 v34, vcc, s14, v8
	v_addc_co_u32_e32 v35, vcc, v20, v9, vcc
	global_load_dwordx4 v[8:11], v[30:31], off
	global_load_dwordx2 v[36:37], v[34:35], off
	v_add_u32_e32 v14, -2, v12
	v_lshlrev_b64 v[32:33], 3, v[14:15]
	v_add_u32_e32 v14, 9, v29
	v_add_co_u32_e32 v13, vcc, s12, v32
	v_add_u32_e32 v12, 0x160, v12
	s_waitcnt vmcnt(0)
	v_fma_f64 v[21:22], v[8:9], v[36:37], v[21:22]
	v_lshlrev_b64 v[8:9], 3, v[14:15]
	v_addc_co_u32_e32 v14, vcc, v19, v33, vcc
	v_add_co_u32_e32 v30, vcc, s14, v8
	v_fma_f64 v[23:24], v[10:11], v[36:37], v[23:24]
	v_addc_co_u32_e32 v31, vcc, v20, v9, vcc
	global_load_dwordx4 v[8:11], v[13:14], off
	global_load_dwordx2 v[32:33], v[30:31], off
	v_add_u32_e32 v14, 10, v29
	v_lshlrev_b64 v[13:14], 3, v[14:15]
	v_add_co_u32_e32 v13, vcc, s14, v13
	v_addc_co_u32_e32 v14, vcc, v20, v14, vcc
	global_load_dwordx2 v[13:14], v[13:14], off
	v_cmp_ge_i32_e32 vcc, v16, v18
	s_or_b64 s[8:9], vcc, s[8:9]
	s_waitcnt vmcnt(1)
	v_fma_f64 v[8:9], v[8:9], v[32:33], v[21:22]
	v_fma_f64 v[10:11], v[10:11], v[32:33], v[23:24]
	s_waitcnt vmcnt(0)
	v_fma_f64 v[8:9], v[25:26], v[13:14], v[8:9]
	v_fma_f64 v[10:11], v[27:28], v[13:14], v[10:11]
	s_andn2_b64 exec, exec, s[8:9]
	s_cbranch_execnz .LBB123_9
; %bb.10:
	s_or_b64 exec, exec, s[8:9]
.LBB123_11:
	s_or_b64 exec, exec, s[6:7]
	s_cbranch_execz .LBB123_13
	s_branch .LBB123_18
.LBB123_12:
                                        ; implicit-def: $vgpr8_vgpr9
                                        ; implicit-def: $vgpr10_vgpr11
.LBB123_13:
	v_mov_b32_e32 v8, 0
	v_mov_b32_e32 v10, 0
	;; [unrolled: 1-line block ×4, first 2 shown]
	s_and_saveexec_b64 s[6:7], s[0:1]
	s_cbranch_execz .LBB123_17
; %bb.14:
	v_mad_u64_u32 v[12:13], s[0:1], v6, 22, 21
	v_mov_b32_e32 v8, 0
	v_mov_b32_e32 v10, 0
	;; [unrolled: 1-line block ×3, first 2 shown]
	s_mov_b64 s[0:1], 0
	v_mov_b32_e32 v16, s11
	v_mov_b32_e32 v15, 0
	;; [unrolled: 1-line block ×5, first 2 shown]
.LBB123_15:                             ; =>This Inner Loop Header: Depth=1
	v_ashrrev_i32_e32 v7, 31, v6
	v_lshlrev_b64 v[22:23], 2, v[6:7]
	v_subrev_u32_e32 v14, 21, v12
	v_add_co_u32_e32 v22, vcc, s10, v22
	v_addc_co_u32_e32 v23, vcc, v16, v23, vcc
	global_load_dword v7, v[22:23], off
	v_lshlrev_b64 v[24:25], 3, v[14:15]
	v_add_u32_e32 v20, -10, v12
	v_mov_b32_e32 v21, v15
	v_lshlrev_b64 v[20:21], 3, v[20:21]
	v_add_co_u32_e32 v24, vcc, s12, v24
	v_mov_b32_e32 v13, v15
	v_addc_co_u32_e32 v25, vcc, v17, v25, vcc
	v_lshlrev_b64 v[13:14], 3, v[12:13]
	v_add_co_u32_e32 v20, vcc, s12, v20
	v_addc_co_u32_e32 v21, vcc, v17, v21, vcc
	v_add_co_u32_e32 v26, vcc, s12, v13
	v_addc_co_u32_e32 v27, vcc, v17, v14, vcc
	v_mov_b32_e32 v14, v15
	v_add_u32_e32 v6, 16, v6
	s_waitcnt vmcnt(0)
	v_subrev_u32_e32 v7, s2, v7
	v_mul_lo_u32 v13, v7, 11
	v_lshlrev_b64 v[22:23], 3, v[13:14]
	v_add_u32_e32 v14, 1, v13
	v_add_co_u32_e32 v22, vcc, s14, v22
	v_addc_co_u32_e32 v23, vcc, v19, v23, vcc
	global_load_dwordx2 v[30:31], v[20:21], off
	global_load_dwordx2 v[32:33], v[22:23], off
	v_lshlrev_b64 v[28:29], 3, v[14:15]
	global_load_dwordx4 v[20:23], v[24:25], off
	v_add_co_u32_e32 v28, vcc, s14, v28
	v_addc_co_u32_e32 v29, vcc, v19, v29, vcc
	v_add_u32_e32 v14, -9, v12
	s_waitcnt vmcnt(1)
	v_fma_f64 v[10:11], v[30:31], v[32:33], v[10:11]
	s_waitcnt vmcnt(0)
	v_fma_f64 v[7:8], v[20:21], v[32:33], v[8:9]
	global_load_dwordx2 v[20:21], v[28:29], off
	s_waitcnt vmcnt(0)
	v_fma_f64 v[7:8], v[22:23], v[20:21], v[7:8]
	v_lshlrev_b64 v[22:23], 3, v[14:15]
	v_subrev_u32_e32 v14, 19, v12
	v_add_co_u32_e32 v22, vcc, s12, v22
	v_lshlrev_b64 v[24:25], 3, v[14:15]
	v_addc_co_u32_e32 v23, vcc, v17, v23, vcc
	v_add_co_u32_e32 v24, vcc, s12, v24
	v_addc_co_u32_e32 v25, vcc, v17, v25, vcc
	global_load_dwordx2 v[28:29], v[22:23], off
	global_load_dwordx2 v[30:31], v[24:25], off
	v_add_u32_e32 v14, 2, v13
	s_waitcnt vmcnt(1)
	v_fma_f64 v[9:10], v[28:29], v[20:21], v[10:11]
	v_lshlrev_b64 v[20:21], 3, v[14:15]
	v_add_u32_e32 v14, -8, v12
	v_add_co_u32_e32 v20, vcc, s14, v20
	v_addc_co_u32_e32 v21, vcc, v19, v21, vcc
	global_load_dwordx2 v[20:21], v[20:21], off
	v_lshlrev_b64 v[22:23], 3, v[14:15]
	v_subrev_u32_e32 v14, 18, v12
	v_add_co_u32_e32 v22, vcc, s12, v22
	v_lshlrev_b64 v[24:25], 3, v[14:15]
	v_addc_co_u32_e32 v23, vcc, v17, v23, vcc
	v_add_co_u32_e32 v24, vcc, s12, v24
	v_addc_co_u32_e32 v25, vcc, v17, v25, vcc
	v_add_u32_e32 v14, 3, v13
	s_waitcnt vmcnt(0)
	v_fma_f64 v[7:8], v[30:31], v[20:21], v[7:8]
	global_load_dwordx2 v[28:29], v[22:23], off
	global_load_dwordx2 v[30:31], v[24:25], off
	s_waitcnt vmcnt(1)
	v_fma_f64 v[9:10], v[28:29], v[20:21], v[9:10]
	v_lshlrev_b64 v[20:21], 3, v[14:15]
	v_add_u32_e32 v14, -7, v12
	v_add_co_u32_e32 v20, vcc, s14, v20
	v_addc_co_u32_e32 v21, vcc, v19, v21, vcc
	global_load_dwordx2 v[20:21], v[20:21], off
	v_lshlrev_b64 v[22:23], 3, v[14:15]
	v_subrev_u32_e32 v14, 17, v12
	v_add_co_u32_e32 v22, vcc, s12, v22
	v_lshlrev_b64 v[24:25], 3, v[14:15]
	v_addc_co_u32_e32 v23, vcc, v17, v23, vcc
	v_add_co_u32_e32 v24, vcc, s12, v24
	v_addc_co_u32_e32 v25, vcc, v17, v25, vcc
	v_add_u32_e32 v14, 4, v13
	s_waitcnt vmcnt(0)
	v_fma_f64 v[7:8], v[30:31], v[20:21], v[7:8]
	global_load_dwordx2 v[28:29], v[22:23], off
	global_load_dwordx2 v[30:31], v[24:25], off
	s_waitcnt vmcnt(1)
	v_fma_f64 v[9:10], v[28:29], v[20:21], v[9:10]
	v_lshlrev_b64 v[20:21], 3, v[14:15]
	v_add_u32_e32 v14, -6, v12
	v_add_co_u32_e32 v20, vcc, s14, v20
	v_addc_co_u32_e32 v21, vcc, v19, v21, vcc
	global_load_dwordx2 v[20:21], v[20:21], off
	v_lshlrev_b64 v[22:23], 3, v[14:15]
	v_add_u32_e32 v14, -16, v12
	v_add_co_u32_e32 v22, vcc, s12, v22
	v_lshlrev_b64 v[24:25], 3, v[14:15]
	v_addc_co_u32_e32 v23, vcc, v17, v23, vcc
	v_add_co_u32_e32 v24, vcc, s12, v24
	v_addc_co_u32_e32 v25, vcc, v17, v25, vcc
	v_add_u32_e32 v14, 5, v13
	s_waitcnt vmcnt(0)
	v_fma_f64 v[7:8], v[30:31], v[20:21], v[7:8]
	global_load_dwordx2 v[28:29], v[22:23], off
	global_load_dwordx2 v[30:31], v[24:25], off
	s_waitcnt vmcnt(1)
	v_fma_f64 v[9:10], v[28:29], v[20:21], v[9:10]
	v_lshlrev_b64 v[20:21], 3, v[14:15]
	v_add_u32_e32 v14, -5, v12
	v_add_co_u32_e32 v20, vcc, s14, v20
	v_addc_co_u32_e32 v21, vcc, v19, v21, vcc
	global_load_dwordx2 v[20:21], v[20:21], off
	v_lshlrev_b64 v[22:23], 3, v[14:15]
	v_add_u32_e32 v14, -15, v12
	;; [unrolled: 19-line block ×6, first 2 shown]
	v_lshlrev_b64 v[24:25], 3, v[14:15]
	v_add_co_u32_e32 v22, vcc, s12, v22
	v_add_u32_e32 v14, 10, v13
	v_addc_co_u32_e32 v23, vcc, v17, v23, vcc
	v_add_co_u32_e32 v24, vcc, s12, v24
	v_lshlrev_b64 v[13:14], 3, v[14:15]
	v_addc_co_u32_e32 v25, vcc, v17, v25, vcc
	v_add_co_u32_e32 v13, vcc, s14, v13
	v_addc_co_u32_e32 v14, vcc, v19, v14, vcc
	v_cmp_ge_i32_e32 vcc, v6, v18
	s_or_b64 s[0:1], vcc, s[0:1]
	v_add_u32_e32 v12, 0x160, v12
	s_waitcnt vmcnt(0)
	v_fma_f64 v[7:8], v[30:31], v[20:21], v[7:8]
	global_load_dwordx2 v[28:29], v[22:23], off
	global_load_dwordx2 v[30:31], v[26:27], off
	;; [unrolled: 1-line block ×4, first 2 shown]
	s_waitcnt vmcnt(3)
	v_fma_f64 v[10:11], v[28:29], v[20:21], v[9:10]
	s_waitcnt vmcnt(0)
	v_fma_f64 v[8:9], v[32:33], v[34:35], v[7:8]
	v_fma_f64 v[10:11], v[30:31], v[34:35], v[10:11]
	s_andn2_b64 exec, exec, s[0:1]
	s_cbranch_execnz .LBB123_15
; %bb.16:
	s_or_b64 exec, exec, s[0:1]
.LBB123_17:
	s_or_b64 exec, exec, s[6:7]
.LBB123_18:
	v_mov_b32_dpp v6, v8 row_shr:1 row_mask:0xf bank_mask:0xf
	v_mov_b32_dpp v7, v9 row_shr:1 row_mask:0xf bank_mask:0xf
	v_add_f64 v[6:7], v[8:9], v[6:7]
	v_mov_b32_dpp v8, v10 row_shr:1 row_mask:0xf bank_mask:0xf
	v_mov_b32_dpp v9, v11 row_shr:1 row_mask:0xf bank_mask:0xf
	v_add_f64 v[8:9], v[10:11], v[8:9]
	v_cmp_eq_u32_e32 vcc, 15, v0
	v_mov_b32_dpp v10, v6 row_shr:2 row_mask:0xf bank_mask:0xf
	v_mov_b32_dpp v11, v7 row_shr:2 row_mask:0xf bank_mask:0xf
	v_add_f64 v[6:7], v[6:7], v[10:11]
	v_mov_b32_dpp v12, v8 row_shr:2 row_mask:0xf bank_mask:0xf
	v_mov_b32_dpp v13, v9 row_shr:2 row_mask:0xf bank_mask:0xf
	v_add_f64 v[8:9], v[8:9], v[12:13]
	;; [unrolled: 3-line block ×4, first 2 shown]
	v_mov_b32_dpp v8, v6 row_shr:8 row_mask:0xf bank_mask:0xc
	v_mov_b32_dpp v9, v7 row_shr:8 row_mask:0xf bank_mask:0xc
	;; [unrolled: 1-line block ×4, first 2 shown]
	s_and_b64 exec, exec, vcc
	s_cbranch_execz .LBB123_23
; %bb.19:
	v_add_f64 v[8:9], v[6:7], v[8:9]
	v_add_f64 v[6:7], v[10:11], v[12:13]
	v_cmp_eq_f64_e32 vcc, 0, v[3:4]
	s_load_dwordx2 s[0:1], s[4:5], 0x38
	s_and_saveexec_b64 s[2:3], vcc
	s_xor_b64 s[2:3], exec, s[2:3]
	s_cbranch_execz .LBB123_21
; %bb.20:
	v_mul_f64 v[3:4], v[1:2], v[8:9]
	v_lshlrev_b32_e32 v0, 1, v5
	v_mul_f64 v[5:6], v[1:2], v[6:7]
	v_ashrrev_i32_e32 v1, 31, v0
	v_lshlrev_b64 v[0:1], 3, v[0:1]
	s_waitcnt lgkmcnt(0)
	v_mov_b32_e32 v2, s1
	v_add_co_u32_e32 v0, vcc, s0, v0
	v_addc_co_u32_e32 v1, vcc, v2, v1, vcc
	global_store_dwordx4 v[0:1], v[3:6], off
                                        ; implicit-def: $vgpr5
                                        ; implicit-def: $vgpr1_vgpr2
                                        ; implicit-def: $vgpr8_vgpr9
                                        ; implicit-def: $vgpr3_vgpr4
                                        ; implicit-def: $vgpr6_vgpr7
.LBB123_21:
	s_andn2_saveexec_b64 s[2:3], s[2:3]
	s_cbranch_execz .LBB123_23
; %bb.22:
	v_lshlrev_b32_e32 v10, 1, v5
	v_ashrrev_i32_e32 v11, 31, v10
	v_lshlrev_b64 v[10:11], 3, v[10:11]
	s_waitcnt lgkmcnt(0)
	v_mov_b32_e32 v0, s1
	v_add_co_u32_e32 v14, vcc, s0, v10
	v_addc_co_u32_e32 v15, vcc, v0, v11, vcc
	global_load_dwordx4 v[10:13], v[14:15], off
	v_mul_f64 v[8:9], v[1:2], v[8:9]
	v_mul_f64 v[5:6], v[1:2], v[6:7]
	s_waitcnt vmcnt(0)
	v_fma_f64 v[0:1], v[3:4], v[10:11], v[8:9]
	v_fma_f64 v[2:3], v[3:4], v[12:13], v[5:6]
	global_store_dwordx4 v[14:15], v[0:3], off
.LBB123_23:
	s_endpgm
	.section	.rodata,"a",@progbits
	.p2align	6, 0x0
	.amdhsa_kernel _ZN9rocsparseL19gebsrmvn_2xn_kernelILj128ELj11ELj16EdEEvi20rocsparse_direction_NS_24const_host_device_scalarIT2_EEPKiS6_PKS3_S8_S4_PS3_21rocsparse_index_base_b
		.amdhsa_group_segment_fixed_size 0
		.amdhsa_private_segment_fixed_size 0
		.amdhsa_kernarg_size 72
		.amdhsa_user_sgpr_count 6
		.amdhsa_user_sgpr_private_segment_buffer 1
		.amdhsa_user_sgpr_dispatch_ptr 0
		.amdhsa_user_sgpr_queue_ptr 0
		.amdhsa_user_sgpr_kernarg_segment_ptr 1
		.amdhsa_user_sgpr_dispatch_id 0
		.amdhsa_user_sgpr_flat_scratch_init 0
		.amdhsa_user_sgpr_private_segment_size 0
		.amdhsa_uses_dynamic_stack 0
		.amdhsa_system_sgpr_private_segment_wavefront_offset 0
		.amdhsa_system_sgpr_workgroup_id_x 1
		.amdhsa_system_sgpr_workgroup_id_y 0
		.amdhsa_system_sgpr_workgroup_id_z 0
		.amdhsa_system_sgpr_workgroup_info 0
		.amdhsa_system_vgpr_workitem_id 0
		.amdhsa_next_free_vgpr 38
		.amdhsa_next_free_sgpr 16
		.amdhsa_reserve_vcc 1
		.amdhsa_reserve_flat_scratch 0
		.amdhsa_float_round_mode_32 0
		.amdhsa_float_round_mode_16_64 0
		.amdhsa_float_denorm_mode_32 3
		.amdhsa_float_denorm_mode_16_64 3
		.amdhsa_dx10_clamp 1
		.amdhsa_ieee_mode 1
		.amdhsa_fp16_overflow 0
		.amdhsa_exception_fp_ieee_invalid_op 0
		.amdhsa_exception_fp_denorm_src 0
		.amdhsa_exception_fp_ieee_div_zero 0
		.amdhsa_exception_fp_ieee_overflow 0
		.amdhsa_exception_fp_ieee_underflow 0
		.amdhsa_exception_fp_ieee_inexact 0
		.amdhsa_exception_int_div_zero 0
	.end_amdhsa_kernel
	.section	.text._ZN9rocsparseL19gebsrmvn_2xn_kernelILj128ELj11ELj16EdEEvi20rocsparse_direction_NS_24const_host_device_scalarIT2_EEPKiS6_PKS3_S8_S4_PS3_21rocsparse_index_base_b,"axG",@progbits,_ZN9rocsparseL19gebsrmvn_2xn_kernelILj128ELj11ELj16EdEEvi20rocsparse_direction_NS_24const_host_device_scalarIT2_EEPKiS6_PKS3_S8_S4_PS3_21rocsparse_index_base_b,comdat
.Lfunc_end123:
	.size	_ZN9rocsparseL19gebsrmvn_2xn_kernelILj128ELj11ELj16EdEEvi20rocsparse_direction_NS_24const_host_device_scalarIT2_EEPKiS6_PKS3_S8_S4_PS3_21rocsparse_index_base_b, .Lfunc_end123-_ZN9rocsparseL19gebsrmvn_2xn_kernelILj128ELj11ELj16EdEEvi20rocsparse_direction_NS_24const_host_device_scalarIT2_EEPKiS6_PKS3_S8_S4_PS3_21rocsparse_index_base_b
                                        ; -- End function
	.set _ZN9rocsparseL19gebsrmvn_2xn_kernelILj128ELj11ELj16EdEEvi20rocsparse_direction_NS_24const_host_device_scalarIT2_EEPKiS6_PKS3_S8_S4_PS3_21rocsparse_index_base_b.num_vgpr, 38
	.set _ZN9rocsparseL19gebsrmvn_2xn_kernelILj128ELj11ELj16EdEEvi20rocsparse_direction_NS_24const_host_device_scalarIT2_EEPKiS6_PKS3_S8_S4_PS3_21rocsparse_index_base_b.num_agpr, 0
	.set _ZN9rocsparseL19gebsrmvn_2xn_kernelILj128ELj11ELj16EdEEvi20rocsparse_direction_NS_24const_host_device_scalarIT2_EEPKiS6_PKS3_S8_S4_PS3_21rocsparse_index_base_b.numbered_sgpr, 16
	.set _ZN9rocsparseL19gebsrmvn_2xn_kernelILj128ELj11ELj16EdEEvi20rocsparse_direction_NS_24const_host_device_scalarIT2_EEPKiS6_PKS3_S8_S4_PS3_21rocsparse_index_base_b.num_named_barrier, 0
	.set _ZN9rocsparseL19gebsrmvn_2xn_kernelILj128ELj11ELj16EdEEvi20rocsparse_direction_NS_24const_host_device_scalarIT2_EEPKiS6_PKS3_S8_S4_PS3_21rocsparse_index_base_b.private_seg_size, 0
	.set _ZN9rocsparseL19gebsrmvn_2xn_kernelILj128ELj11ELj16EdEEvi20rocsparse_direction_NS_24const_host_device_scalarIT2_EEPKiS6_PKS3_S8_S4_PS3_21rocsparse_index_base_b.uses_vcc, 1
	.set _ZN9rocsparseL19gebsrmvn_2xn_kernelILj128ELj11ELj16EdEEvi20rocsparse_direction_NS_24const_host_device_scalarIT2_EEPKiS6_PKS3_S8_S4_PS3_21rocsparse_index_base_b.uses_flat_scratch, 0
	.set _ZN9rocsparseL19gebsrmvn_2xn_kernelILj128ELj11ELj16EdEEvi20rocsparse_direction_NS_24const_host_device_scalarIT2_EEPKiS6_PKS3_S8_S4_PS3_21rocsparse_index_base_b.has_dyn_sized_stack, 0
	.set _ZN9rocsparseL19gebsrmvn_2xn_kernelILj128ELj11ELj16EdEEvi20rocsparse_direction_NS_24const_host_device_scalarIT2_EEPKiS6_PKS3_S8_S4_PS3_21rocsparse_index_base_b.has_recursion, 0
	.set _ZN9rocsparseL19gebsrmvn_2xn_kernelILj128ELj11ELj16EdEEvi20rocsparse_direction_NS_24const_host_device_scalarIT2_EEPKiS6_PKS3_S8_S4_PS3_21rocsparse_index_base_b.has_indirect_call, 0
	.section	.AMDGPU.csdata,"",@progbits
; Kernel info:
; codeLenInByte = 2932
; TotalNumSgprs: 20
; NumVgprs: 38
; ScratchSize: 0
; MemoryBound: 0
; FloatMode: 240
; IeeeMode: 1
; LDSByteSize: 0 bytes/workgroup (compile time only)
; SGPRBlocks: 2
; VGPRBlocks: 9
; NumSGPRsForWavesPerEU: 20
; NumVGPRsForWavesPerEU: 38
; Occupancy: 6
; WaveLimiterHint : 1
; COMPUTE_PGM_RSRC2:SCRATCH_EN: 0
; COMPUTE_PGM_RSRC2:USER_SGPR: 6
; COMPUTE_PGM_RSRC2:TRAP_HANDLER: 0
; COMPUTE_PGM_RSRC2:TGID_X_EN: 1
; COMPUTE_PGM_RSRC2:TGID_Y_EN: 0
; COMPUTE_PGM_RSRC2:TGID_Z_EN: 0
; COMPUTE_PGM_RSRC2:TIDIG_COMP_CNT: 0
	.section	.text._ZN9rocsparseL19gebsrmvn_2xn_kernelILj128ELj11ELj32EdEEvi20rocsparse_direction_NS_24const_host_device_scalarIT2_EEPKiS6_PKS3_S8_S4_PS3_21rocsparse_index_base_b,"axG",@progbits,_ZN9rocsparseL19gebsrmvn_2xn_kernelILj128ELj11ELj32EdEEvi20rocsparse_direction_NS_24const_host_device_scalarIT2_EEPKiS6_PKS3_S8_S4_PS3_21rocsparse_index_base_b,comdat
	.globl	_ZN9rocsparseL19gebsrmvn_2xn_kernelILj128ELj11ELj32EdEEvi20rocsparse_direction_NS_24const_host_device_scalarIT2_EEPKiS6_PKS3_S8_S4_PS3_21rocsparse_index_base_b ; -- Begin function _ZN9rocsparseL19gebsrmvn_2xn_kernelILj128ELj11ELj32EdEEvi20rocsparse_direction_NS_24const_host_device_scalarIT2_EEPKiS6_PKS3_S8_S4_PS3_21rocsparse_index_base_b
	.p2align	8
	.type	_ZN9rocsparseL19gebsrmvn_2xn_kernelILj128ELj11ELj32EdEEvi20rocsparse_direction_NS_24const_host_device_scalarIT2_EEPKiS6_PKS3_S8_S4_PS3_21rocsparse_index_base_b,@function
_ZN9rocsparseL19gebsrmvn_2xn_kernelILj128ELj11ELj32EdEEvi20rocsparse_direction_NS_24const_host_device_scalarIT2_EEPKiS6_PKS3_S8_S4_PS3_21rocsparse_index_base_b: ; @_ZN9rocsparseL19gebsrmvn_2xn_kernelILj128ELj11ELj32EdEEvi20rocsparse_direction_NS_24const_host_device_scalarIT2_EEPKiS6_PKS3_S8_S4_PS3_21rocsparse_index_base_b
; %bb.0:
	s_load_dwordx2 s[2:3], s[4:5], 0x40
	s_load_dwordx2 s[10:11], s[4:5], 0x8
	s_load_dwordx2 s[0:1], s[4:5], 0x30
	s_waitcnt lgkmcnt(0)
	s_bitcmp1_b32 s3, 0
	s_cselect_b64 s[12:13], -1, 0
	v_mov_b32_e32 v1, s10
	s_xor_b64 s[8:9], s[12:13], -1
	s_and_b64 vcc, exec, s[12:13]
	v_mov_b32_e32 v2, s11
	s_cbranch_vccnz .LBB124_2
; %bb.1:
	v_mov_b32_e32 v1, s10
	v_mov_b32_e32 v2, s11
	flat_load_dwordx2 v[1:2], v[1:2]
.LBB124_2:
	v_mov_b32_e32 v4, s1
	s_andn2_b64 vcc, exec, s[8:9]
	v_mov_b32_e32 v3, s0
	s_cbranch_vccnz .LBB124_4
; %bb.3:
	v_mov_b32_e32 v4, s1
	v_mov_b32_e32 v3, s0
	flat_load_dwordx2 v[3:4], v[3:4]
.LBB124_4:
	s_waitcnt vmcnt(0) lgkmcnt(0)
	v_cmp_neq_f64_e32 vcc, 0, v[1:2]
	v_cmp_neq_f64_e64 s[0:1], 1.0, v[3:4]
	s_or_b64 s[0:1], vcc, s[0:1]
	s_and_saveexec_b64 s[8:9], s[0:1]
	s_cbranch_execz .LBB124_23
; %bb.5:
	s_load_dwordx2 s[0:1], s[4:5], 0x0
	v_lshrrev_b32_e32 v5, 5, v0
	v_lshl_or_b32 v5, s6, 2, v5
	s_waitcnt lgkmcnt(0)
	v_cmp_gt_i32_e32 vcc, s0, v5
	s_and_b64 exec, exec, vcc
	s_cbranch_execz .LBB124_23
; %bb.6:
	s_load_dwordx8 s[8:15], s[4:5], 0x10
	v_ashrrev_i32_e32 v6, 31, v5
	v_lshlrev_b64 v[6:7], 2, v[5:6]
	v_and_b32_e32 v0, 31, v0
	s_cmp_lg_u32 s1, 0
	s_waitcnt lgkmcnt(0)
	v_mov_b32_e32 v8, s9
	v_add_co_u32_e32 v6, vcc, s8, v6
	v_addc_co_u32_e32 v7, vcc, v8, v7, vcc
	global_load_dwordx2 v[6:7], v[6:7], off
	s_waitcnt vmcnt(0)
	v_subrev_u32_e32 v6, s2, v6
	v_subrev_u32_e32 v18, s2, v7
	v_add_u32_e32 v6, v6, v0
	v_cmp_lt_i32_e64 s[0:1], v6, v18
	s_cbranch_scc0 .LBB124_12
; %bb.7:
	v_mov_b32_e32 v8, 0
	v_mov_b32_e32 v10, 0
	;; [unrolled: 1-line block ×4, first 2 shown]
	s_and_saveexec_b64 s[6:7], s[0:1]
	s_cbranch_execz .LBB124_11
; %bb.8:
	v_mad_u64_u32 v[12:13], s[8:9], v6, 22, 20
	v_mov_b32_e32 v8, 0
	v_mov_b32_e32 v10, 0
	;; [unrolled: 1-line block ×3, first 2 shown]
	s_mov_b64 s[8:9], 0
	v_mov_b32_e32 v7, s11
	v_mov_b32_e32 v15, 0
	;; [unrolled: 1-line block ×6, first 2 shown]
.LBB124_9:                              ; =>This Inner Loop Header: Depth=1
	v_ashrrev_i32_e32 v17, 31, v16
	v_lshlrev_b64 v[21:22], 2, v[16:17]
	v_subrev_u32_e32 v14, 20, v12
	v_lshlrev_b64 v[23:24], 3, v[14:15]
	v_add_co_u32_e32 v27, vcc, s10, v21
	v_addc_co_u32_e32 v28, vcc, v7, v22, vcc
	v_add_co_u32_e32 v31, vcc, s12, v23
	v_addc_co_u32_e32 v32, vcc, v19, v24, vcc
	global_load_dword v17, v[27:28], off
	global_load_dwordx4 v[21:24], v[31:32], off
	v_mov_b32_e32 v13, v15
	v_lshlrev_b64 v[25:26], 3, v[12:13]
	v_subrev_u32_e32 v14, 18, v12
	v_lshlrev_b64 v[13:14], 3, v[14:15]
	v_add_co_u32_e32 v33, vcc, s12, v25
	v_mov_b32_e32 v30, v15
	v_addc_co_u32_e32 v34, vcc, v19, v26, vcc
	v_add_co_u32_e32 v13, vcc, s12, v13
	v_addc_co_u32_e32 v14, vcc, v19, v14, vcc
	v_add_u32_e32 v16, 32, v16
	s_waitcnt vmcnt(1)
	v_subrev_u32_e32 v17, s2, v17
	v_mul_lo_u32 v29, v17, 11
	v_lshlrev_b64 v[25:26], 3, v[29:30]
	v_add_co_u32_e32 v30, vcc, s14, v25
	v_addc_co_u32_e32 v31, vcc, v20, v26, vcc
	global_load_dwordx4 v[25:28], v[33:34], off
	global_load_dwordx2 v[35:36], v[30:31], off
	s_waitcnt vmcnt(0)
	v_fma_f64 v[21:22], v[21:22], v[35:36], v[8:9]
	v_fma_f64 v[23:24], v[23:24], v[35:36], v[10:11]
	global_load_dwordx4 v[8:11], v[13:14], off
	v_add_u32_e32 v14, 1, v29
	v_lshlrev_b64 v[30:31], 3, v[14:15]
	v_add_u32_e32 v14, -16, v12
	v_add_co_u32_e32 v30, vcc, s14, v30
	v_addc_co_u32_e32 v31, vcc, v20, v31, vcc
	global_load_dwordx2 v[30:31], v[30:31], off
	v_lshlrev_b64 v[32:33], 3, v[14:15]
	v_add_u32_e32 v14, 2, v29
	s_waitcnt vmcnt(0)
	v_fma_f64 v[21:22], v[8:9], v[30:31], v[21:22]
	v_fma_f64 v[23:24], v[10:11], v[30:31], v[23:24]
	v_lshlrev_b64 v[8:9], 3, v[14:15]
	v_add_co_u32_e32 v30, vcc, s12, v32
	v_addc_co_u32_e32 v31, vcc, v19, v33, vcc
	v_add_co_u32_e32 v34, vcc, s14, v8
	v_addc_co_u32_e32 v35, vcc, v20, v9, vcc
	global_load_dwordx4 v[8:11], v[30:31], off
	global_load_dwordx2 v[36:37], v[34:35], off
	v_add_u32_e32 v14, -14, v12
	v_lshlrev_b64 v[32:33], 3, v[14:15]
	v_add_u32_e32 v14, 3, v29
	v_add_co_u32_e32 v30, vcc, s12, v32
	v_addc_co_u32_e32 v31, vcc, v19, v33, vcc
	s_waitcnt vmcnt(0)
	v_fma_f64 v[21:22], v[8:9], v[36:37], v[21:22]
	v_lshlrev_b64 v[8:9], 3, v[14:15]
	v_fma_f64 v[23:24], v[10:11], v[36:37], v[23:24]
	v_add_co_u32_e32 v34, vcc, s14, v8
	v_addc_co_u32_e32 v35, vcc, v20, v9, vcc
	global_load_dwordx4 v[8:11], v[30:31], off
	global_load_dwordx2 v[36:37], v[34:35], off
	v_add_u32_e32 v14, -12, v12
	v_lshlrev_b64 v[32:33], 3, v[14:15]
	v_add_u32_e32 v14, 4, v29
	v_add_co_u32_e32 v30, vcc, s12, v32
	v_addc_co_u32_e32 v31, vcc, v19, v33, vcc
	s_waitcnt vmcnt(0)
	v_fma_f64 v[21:22], v[8:9], v[36:37], v[21:22]
	v_lshlrev_b64 v[8:9], 3, v[14:15]
	v_fma_f64 v[23:24], v[10:11], v[36:37], v[23:24]
	;; [unrolled: 13-line block ×6, first 2 shown]
	v_add_co_u32_e32 v34, vcc, s14, v8
	v_addc_co_u32_e32 v35, vcc, v20, v9, vcc
	global_load_dwordx4 v[8:11], v[30:31], off
	global_load_dwordx2 v[36:37], v[34:35], off
	v_add_u32_e32 v14, -2, v12
	v_lshlrev_b64 v[32:33], 3, v[14:15]
	v_add_u32_e32 v14, 9, v29
	v_add_co_u32_e32 v13, vcc, s12, v32
	v_add_u32_e32 v12, 0x2c0, v12
	s_waitcnt vmcnt(0)
	v_fma_f64 v[21:22], v[8:9], v[36:37], v[21:22]
	v_lshlrev_b64 v[8:9], 3, v[14:15]
	v_addc_co_u32_e32 v14, vcc, v19, v33, vcc
	v_add_co_u32_e32 v30, vcc, s14, v8
	v_fma_f64 v[23:24], v[10:11], v[36:37], v[23:24]
	v_addc_co_u32_e32 v31, vcc, v20, v9, vcc
	global_load_dwordx4 v[8:11], v[13:14], off
	global_load_dwordx2 v[32:33], v[30:31], off
	v_add_u32_e32 v14, 10, v29
	v_lshlrev_b64 v[13:14], 3, v[14:15]
	v_add_co_u32_e32 v13, vcc, s14, v13
	v_addc_co_u32_e32 v14, vcc, v20, v14, vcc
	global_load_dwordx2 v[13:14], v[13:14], off
	v_cmp_ge_i32_e32 vcc, v16, v18
	s_or_b64 s[8:9], vcc, s[8:9]
	s_waitcnt vmcnt(1)
	v_fma_f64 v[8:9], v[8:9], v[32:33], v[21:22]
	v_fma_f64 v[10:11], v[10:11], v[32:33], v[23:24]
	s_waitcnt vmcnt(0)
	v_fma_f64 v[8:9], v[25:26], v[13:14], v[8:9]
	v_fma_f64 v[10:11], v[27:28], v[13:14], v[10:11]
	s_andn2_b64 exec, exec, s[8:9]
	s_cbranch_execnz .LBB124_9
; %bb.10:
	s_or_b64 exec, exec, s[8:9]
.LBB124_11:
	s_or_b64 exec, exec, s[6:7]
	s_cbranch_execz .LBB124_13
	s_branch .LBB124_18
.LBB124_12:
                                        ; implicit-def: $vgpr8_vgpr9
                                        ; implicit-def: $vgpr10_vgpr11
.LBB124_13:
	v_mov_b32_e32 v8, 0
	v_mov_b32_e32 v10, 0
	;; [unrolled: 1-line block ×4, first 2 shown]
	s_and_saveexec_b64 s[6:7], s[0:1]
	s_cbranch_execz .LBB124_17
; %bb.14:
	v_mad_u64_u32 v[12:13], s[0:1], v6, 22, 21
	v_mov_b32_e32 v8, 0
	v_mov_b32_e32 v10, 0
	;; [unrolled: 1-line block ×3, first 2 shown]
	s_mov_b64 s[0:1], 0
	v_mov_b32_e32 v16, s11
	v_mov_b32_e32 v15, 0
	;; [unrolled: 1-line block ×5, first 2 shown]
.LBB124_15:                             ; =>This Inner Loop Header: Depth=1
	v_ashrrev_i32_e32 v7, 31, v6
	v_lshlrev_b64 v[22:23], 2, v[6:7]
	v_subrev_u32_e32 v14, 21, v12
	v_add_co_u32_e32 v22, vcc, s10, v22
	v_addc_co_u32_e32 v23, vcc, v16, v23, vcc
	global_load_dword v7, v[22:23], off
	v_lshlrev_b64 v[24:25], 3, v[14:15]
	v_add_u32_e32 v20, -10, v12
	v_mov_b32_e32 v21, v15
	v_lshlrev_b64 v[20:21], 3, v[20:21]
	v_add_co_u32_e32 v24, vcc, s12, v24
	v_mov_b32_e32 v13, v15
	v_addc_co_u32_e32 v25, vcc, v17, v25, vcc
	v_lshlrev_b64 v[13:14], 3, v[12:13]
	v_add_co_u32_e32 v20, vcc, s12, v20
	v_addc_co_u32_e32 v21, vcc, v17, v21, vcc
	v_add_co_u32_e32 v26, vcc, s12, v13
	v_addc_co_u32_e32 v27, vcc, v17, v14, vcc
	v_mov_b32_e32 v14, v15
	v_add_u32_e32 v6, 32, v6
	s_waitcnt vmcnt(0)
	v_subrev_u32_e32 v7, s2, v7
	v_mul_lo_u32 v13, v7, 11
	v_lshlrev_b64 v[22:23], 3, v[13:14]
	v_add_u32_e32 v14, 1, v13
	v_add_co_u32_e32 v22, vcc, s14, v22
	v_addc_co_u32_e32 v23, vcc, v19, v23, vcc
	global_load_dwordx2 v[30:31], v[20:21], off
	global_load_dwordx2 v[32:33], v[22:23], off
	v_lshlrev_b64 v[28:29], 3, v[14:15]
	global_load_dwordx4 v[20:23], v[24:25], off
	v_add_co_u32_e32 v28, vcc, s14, v28
	v_addc_co_u32_e32 v29, vcc, v19, v29, vcc
	v_add_u32_e32 v14, -9, v12
	s_waitcnt vmcnt(1)
	v_fma_f64 v[10:11], v[30:31], v[32:33], v[10:11]
	s_waitcnt vmcnt(0)
	v_fma_f64 v[7:8], v[20:21], v[32:33], v[8:9]
	global_load_dwordx2 v[20:21], v[28:29], off
	s_waitcnt vmcnt(0)
	v_fma_f64 v[7:8], v[22:23], v[20:21], v[7:8]
	v_lshlrev_b64 v[22:23], 3, v[14:15]
	v_subrev_u32_e32 v14, 19, v12
	v_add_co_u32_e32 v22, vcc, s12, v22
	v_lshlrev_b64 v[24:25], 3, v[14:15]
	v_addc_co_u32_e32 v23, vcc, v17, v23, vcc
	v_add_co_u32_e32 v24, vcc, s12, v24
	v_addc_co_u32_e32 v25, vcc, v17, v25, vcc
	global_load_dwordx2 v[28:29], v[22:23], off
	global_load_dwordx2 v[30:31], v[24:25], off
	v_add_u32_e32 v14, 2, v13
	s_waitcnt vmcnt(1)
	v_fma_f64 v[9:10], v[28:29], v[20:21], v[10:11]
	v_lshlrev_b64 v[20:21], 3, v[14:15]
	v_add_u32_e32 v14, -8, v12
	v_add_co_u32_e32 v20, vcc, s14, v20
	v_addc_co_u32_e32 v21, vcc, v19, v21, vcc
	global_load_dwordx2 v[20:21], v[20:21], off
	v_lshlrev_b64 v[22:23], 3, v[14:15]
	v_subrev_u32_e32 v14, 18, v12
	v_add_co_u32_e32 v22, vcc, s12, v22
	v_lshlrev_b64 v[24:25], 3, v[14:15]
	v_addc_co_u32_e32 v23, vcc, v17, v23, vcc
	v_add_co_u32_e32 v24, vcc, s12, v24
	v_addc_co_u32_e32 v25, vcc, v17, v25, vcc
	v_add_u32_e32 v14, 3, v13
	s_waitcnt vmcnt(0)
	v_fma_f64 v[7:8], v[30:31], v[20:21], v[7:8]
	global_load_dwordx2 v[28:29], v[22:23], off
	global_load_dwordx2 v[30:31], v[24:25], off
	s_waitcnt vmcnt(1)
	v_fma_f64 v[9:10], v[28:29], v[20:21], v[9:10]
	v_lshlrev_b64 v[20:21], 3, v[14:15]
	v_add_u32_e32 v14, -7, v12
	v_add_co_u32_e32 v20, vcc, s14, v20
	v_addc_co_u32_e32 v21, vcc, v19, v21, vcc
	global_load_dwordx2 v[20:21], v[20:21], off
	v_lshlrev_b64 v[22:23], 3, v[14:15]
	v_subrev_u32_e32 v14, 17, v12
	v_add_co_u32_e32 v22, vcc, s12, v22
	v_lshlrev_b64 v[24:25], 3, v[14:15]
	v_addc_co_u32_e32 v23, vcc, v17, v23, vcc
	v_add_co_u32_e32 v24, vcc, s12, v24
	v_addc_co_u32_e32 v25, vcc, v17, v25, vcc
	v_add_u32_e32 v14, 4, v13
	s_waitcnt vmcnt(0)
	v_fma_f64 v[7:8], v[30:31], v[20:21], v[7:8]
	global_load_dwordx2 v[28:29], v[22:23], off
	global_load_dwordx2 v[30:31], v[24:25], off
	s_waitcnt vmcnt(1)
	v_fma_f64 v[9:10], v[28:29], v[20:21], v[9:10]
	v_lshlrev_b64 v[20:21], 3, v[14:15]
	v_add_u32_e32 v14, -6, v12
	v_add_co_u32_e32 v20, vcc, s14, v20
	v_addc_co_u32_e32 v21, vcc, v19, v21, vcc
	global_load_dwordx2 v[20:21], v[20:21], off
	v_lshlrev_b64 v[22:23], 3, v[14:15]
	v_add_u32_e32 v14, -16, v12
	v_add_co_u32_e32 v22, vcc, s12, v22
	v_lshlrev_b64 v[24:25], 3, v[14:15]
	v_addc_co_u32_e32 v23, vcc, v17, v23, vcc
	v_add_co_u32_e32 v24, vcc, s12, v24
	v_addc_co_u32_e32 v25, vcc, v17, v25, vcc
	v_add_u32_e32 v14, 5, v13
	s_waitcnt vmcnt(0)
	v_fma_f64 v[7:8], v[30:31], v[20:21], v[7:8]
	global_load_dwordx2 v[28:29], v[22:23], off
	global_load_dwordx2 v[30:31], v[24:25], off
	s_waitcnt vmcnt(1)
	v_fma_f64 v[9:10], v[28:29], v[20:21], v[9:10]
	v_lshlrev_b64 v[20:21], 3, v[14:15]
	v_add_u32_e32 v14, -5, v12
	v_add_co_u32_e32 v20, vcc, s14, v20
	v_addc_co_u32_e32 v21, vcc, v19, v21, vcc
	global_load_dwordx2 v[20:21], v[20:21], off
	v_lshlrev_b64 v[22:23], 3, v[14:15]
	v_add_u32_e32 v14, -15, v12
	;; [unrolled: 19-line block ×6, first 2 shown]
	v_lshlrev_b64 v[24:25], 3, v[14:15]
	v_add_co_u32_e32 v22, vcc, s12, v22
	v_add_u32_e32 v14, 10, v13
	v_addc_co_u32_e32 v23, vcc, v17, v23, vcc
	v_add_co_u32_e32 v24, vcc, s12, v24
	v_lshlrev_b64 v[13:14], 3, v[14:15]
	v_addc_co_u32_e32 v25, vcc, v17, v25, vcc
	v_add_co_u32_e32 v13, vcc, s14, v13
	v_addc_co_u32_e32 v14, vcc, v19, v14, vcc
	v_cmp_ge_i32_e32 vcc, v6, v18
	s_or_b64 s[0:1], vcc, s[0:1]
	v_add_u32_e32 v12, 0x2c0, v12
	s_waitcnt vmcnt(0)
	v_fma_f64 v[7:8], v[30:31], v[20:21], v[7:8]
	global_load_dwordx2 v[28:29], v[22:23], off
	global_load_dwordx2 v[30:31], v[26:27], off
	;; [unrolled: 1-line block ×4, first 2 shown]
	s_waitcnt vmcnt(3)
	v_fma_f64 v[10:11], v[28:29], v[20:21], v[9:10]
	s_waitcnt vmcnt(0)
	v_fma_f64 v[8:9], v[32:33], v[34:35], v[7:8]
	v_fma_f64 v[10:11], v[30:31], v[34:35], v[10:11]
	s_andn2_b64 exec, exec, s[0:1]
	s_cbranch_execnz .LBB124_15
; %bb.16:
	s_or_b64 exec, exec, s[0:1]
.LBB124_17:
	s_or_b64 exec, exec, s[6:7]
.LBB124_18:
	v_mov_b32_dpp v6, v8 row_shr:1 row_mask:0xf bank_mask:0xf
	v_mov_b32_dpp v7, v9 row_shr:1 row_mask:0xf bank_mask:0xf
	v_add_f64 v[6:7], v[8:9], v[6:7]
	v_mov_b32_dpp v8, v10 row_shr:1 row_mask:0xf bank_mask:0xf
	v_mov_b32_dpp v9, v11 row_shr:1 row_mask:0xf bank_mask:0xf
	v_add_f64 v[8:9], v[10:11], v[8:9]
	v_cmp_eq_u32_e32 vcc, 31, v0
	v_mov_b32_dpp v10, v6 row_shr:2 row_mask:0xf bank_mask:0xf
	v_mov_b32_dpp v11, v7 row_shr:2 row_mask:0xf bank_mask:0xf
	v_add_f64 v[6:7], v[6:7], v[10:11]
	v_mov_b32_dpp v12, v8 row_shr:2 row_mask:0xf bank_mask:0xf
	v_mov_b32_dpp v13, v9 row_shr:2 row_mask:0xf bank_mask:0xf
	v_add_f64 v[8:9], v[8:9], v[12:13]
	;; [unrolled: 3-line block ×6, first 2 shown]
	v_mov_b32_dpp v8, v6 row_bcast:15 row_mask:0xa bank_mask:0xf
	v_mov_b32_dpp v9, v7 row_bcast:15 row_mask:0xa bank_mask:0xf
	;; [unrolled: 1-line block ×4, first 2 shown]
	s_and_b64 exec, exec, vcc
	s_cbranch_execz .LBB124_23
; %bb.19:
	v_add_f64 v[8:9], v[6:7], v[8:9]
	v_add_f64 v[6:7], v[10:11], v[12:13]
	v_cmp_eq_f64_e32 vcc, 0, v[3:4]
	s_load_dwordx2 s[0:1], s[4:5], 0x38
	s_and_saveexec_b64 s[2:3], vcc
	s_xor_b64 s[2:3], exec, s[2:3]
	s_cbranch_execz .LBB124_21
; %bb.20:
	v_mul_f64 v[3:4], v[1:2], v[8:9]
	v_lshlrev_b32_e32 v0, 1, v5
	v_mul_f64 v[5:6], v[1:2], v[6:7]
	v_ashrrev_i32_e32 v1, 31, v0
	v_lshlrev_b64 v[0:1], 3, v[0:1]
	s_waitcnt lgkmcnt(0)
	v_mov_b32_e32 v2, s1
	v_add_co_u32_e32 v0, vcc, s0, v0
	v_addc_co_u32_e32 v1, vcc, v2, v1, vcc
	global_store_dwordx4 v[0:1], v[3:6], off
                                        ; implicit-def: $vgpr5
                                        ; implicit-def: $vgpr1_vgpr2
                                        ; implicit-def: $vgpr8_vgpr9
                                        ; implicit-def: $vgpr3_vgpr4
                                        ; implicit-def: $vgpr6_vgpr7
.LBB124_21:
	s_andn2_saveexec_b64 s[2:3], s[2:3]
	s_cbranch_execz .LBB124_23
; %bb.22:
	v_lshlrev_b32_e32 v10, 1, v5
	v_ashrrev_i32_e32 v11, 31, v10
	v_lshlrev_b64 v[10:11], 3, v[10:11]
	s_waitcnt lgkmcnt(0)
	v_mov_b32_e32 v0, s1
	v_add_co_u32_e32 v14, vcc, s0, v10
	v_addc_co_u32_e32 v15, vcc, v0, v11, vcc
	global_load_dwordx4 v[10:13], v[14:15], off
	v_mul_f64 v[8:9], v[1:2], v[8:9]
	v_mul_f64 v[5:6], v[1:2], v[6:7]
	s_waitcnt vmcnt(0)
	v_fma_f64 v[0:1], v[3:4], v[10:11], v[8:9]
	v_fma_f64 v[2:3], v[3:4], v[12:13], v[5:6]
	global_store_dwordx4 v[14:15], v[0:3], off
.LBB124_23:
	s_endpgm
	.section	.rodata,"a",@progbits
	.p2align	6, 0x0
	.amdhsa_kernel _ZN9rocsparseL19gebsrmvn_2xn_kernelILj128ELj11ELj32EdEEvi20rocsparse_direction_NS_24const_host_device_scalarIT2_EEPKiS6_PKS3_S8_S4_PS3_21rocsparse_index_base_b
		.amdhsa_group_segment_fixed_size 0
		.amdhsa_private_segment_fixed_size 0
		.amdhsa_kernarg_size 72
		.amdhsa_user_sgpr_count 6
		.amdhsa_user_sgpr_private_segment_buffer 1
		.amdhsa_user_sgpr_dispatch_ptr 0
		.amdhsa_user_sgpr_queue_ptr 0
		.amdhsa_user_sgpr_kernarg_segment_ptr 1
		.amdhsa_user_sgpr_dispatch_id 0
		.amdhsa_user_sgpr_flat_scratch_init 0
		.amdhsa_user_sgpr_private_segment_size 0
		.amdhsa_uses_dynamic_stack 0
		.amdhsa_system_sgpr_private_segment_wavefront_offset 0
		.amdhsa_system_sgpr_workgroup_id_x 1
		.amdhsa_system_sgpr_workgroup_id_y 0
		.amdhsa_system_sgpr_workgroup_id_z 0
		.amdhsa_system_sgpr_workgroup_info 0
		.amdhsa_system_vgpr_workitem_id 0
		.amdhsa_next_free_vgpr 38
		.amdhsa_next_free_sgpr 16
		.amdhsa_reserve_vcc 1
		.amdhsa_reserve_flat_scratch 0
		.amdhsa_float_round_mode_32 0
		.amdhsa_float_round_mode_16_64 0
		.amdhsa_float_denorm_mode_32 3
		.amdhsa_float_denorm_mode_16_64 3
		.amdhsa_dx10_clamp 1
		.amdhsa_ieee_mode 1
		.amdhsa_fp16_overflow 0
		.amdhsa_exception_fp_ieee_invalid_op 0
		.amdhsa_exception_fp_denorm_src 0
		.amdhsa_exception_fp_ieee_div_zero 0
		.amdhsa_exception_fp_ieee_overflow 0
		.amdhsa_exception_fp_ieee_underflow 0
		.amdhsa_exception_fp_ieee_inexact 0
		.amdhsa_exception_int_div_zero 0
	.end_amdhsa_kernel
	.section	.text._ZN9rocsparseL19gebsrmvn_2xn_kernelILj128ELj11ELj32EdEEvi20rocsparse_direction_NS_24const_host_device_scalarIT2_EEPKiS6_PKS3_S8_S4_PS3_21rocsparse_index_base_b,"axG",@progbits,_ZN9rocsparseL19gebsrmvn_2xn_kernelILj128ELj11ELj32EdEEvi20rocsparse_direction_NS_24const_host_device_scalarIT2_EEPKiS6_PKS3_S8_S4_PS3_21rocsparse_index_base_b,comdat
.Lfunc_end124:
	.size	_ZN9rocsparseL19gebsrmvn_2xn_kernelILj128ELj11ELj32EdEEvi20rocsparse_direction_NS_24const_host_device_scalarIT2_EEPKiS6_PKS3_S8_S4_PS3_21rocsparse_index_base_b, .Lfunc_end124-_ZN9rocsparseL19gebsrmvn_2xn_kernelILj128ELj11ELj32EdEEvi20rocsparse_direction_NS_24const_host_device_scalarIT2_EEPKiS6_PKS3_S8_S4_PS3_21rocsparse_index_base_b
                                        ; -- End function
	.set _ZN9rocsparseL19gebsrmvn_2xn_kernelILj128ELj11ELj32EdEEvi20rocsparse_direction_NS_24const_host_device_scalarIT2_EEPKiS6_PKS3_S8_S4_PS3_21rocsparse_index_base_b.num_vgpr, 38
	.set _ZN9rocsparseL19gebsrmvn_2xn_kernelILj128ELj11ELj32EdEEvi20rocsparse_direction_NS_24const_host_device_scalarIT2_EEPKiS6_PKS3_S8_S4_PS3_21rocsparse_index_base_b.num_agpr, 0
	.set _ZN9rocsparseL19gebsrmvn_2xn_kernelILj128ELj11ELj32EdEEvi20rocsparse_direction_NS_24const_host_device_scalarIT2_EEPKiS6_PKS3_S8_S4_PS3_21rocsparse_index_base_b.numbered_sgpr, 16
	.set _ZN9rocsparseL19gebsrmvn_2xn_kernelILj128ELj11ELj32EdEEvi20rocsparse_direction_NS_24const_host_device_scalarIT2_EEPKiS6_PKS3_S8_S4_PS3_21rocsparse_index_base_b.num_named_barrier, 0
	.set _ZN9rocsparseL19gebsrmvn_2xn_kernelILj128ELj11ELj32EdEEvi20rocsparse_direction_NS_24const_host_device_scalarIT2_EEPKiS6_PKS3_S8_S4_PS3_21rocsparse_index_base_b.private_seg_size, 0
	.set _ZN9rocsparseL19gebsrmvn_2xn_kernelILj128ELj11ELj32EdEEvi20rocsparse_direction_NS_24const_host_device_scalarIT2_EEPKiS6_PKS3_S8_S4_PS3_21rocsparse_index_base_b.uses_vcc, 1
	.set _ZN9rocsparseL19gebsrmvn_2xn_kernelILj128ELj11ELj32EdEEvi20rocsparse_direction_NS_24const_host_device_scalarIT2_EEPKiS6_PKS3_S8_S4_PS3_21rocsparse_index_base_b.uses_flat_scratch, 0
	.set _ZN9rocsparseL19gebsrmvn_2xn_kernelILj128ELj11ELj32EdEEvi20rocsparse_direction_NS_24const_host_device_scalarIT2_EEPKiS6_PKS3_S8_S4_PS3_21rocsparse_index_base_b.has_dyn_sized_stack, 0
	.set _ZN9rocsparseL19gebsrmvn_2xn_kernelILj128ELj11ELj32EdEEvi20rocsparse_direction_NS_24const_host_device_scalarIT2_EEPKiS6_PKS3_S8_S4_PS3_21rocsparse_index_base_b.has_recursion, 0
	.set _ZN9rocsparseL19gebsrmvn_2xn_kernelILj128ELj11ELj32EdEEvi20rocsparse_direction_NS_24const_host_device_scalarIT2_EEPKiS6_PKS3_S8_S4_PS3_21rocsparse_index_base_b.has_indirect_call, 0
	.section	.AMDGPU.csdata,"",@progbits
; Kernel info:
; codeLenInByte = 2980
; TotalNumSgprs: 20
; NumVgprs: 38
; ScratchSize: 0
; MemoryBound: 0
; FloatMode: 240
; IeeeMode: 1
; LDSByteSize: 0 bytes/workgroup (compile time only)
; SGPRBlocks: 2
; VGPRBlocks: 9
; NumSGPRsForWavesPerEU: 20
; NumVGPRsForWavesPerEU: 38
; Occupancy: 6
; WaveLimiterHint : 1
; COMPUTE_PGM_RSRC2:SCRATCH_EN: 0
; COMPUTE_PGM_RSRC2:USER_SGPR: 6
; COMPUTE_PGM_RSRC2:TRAP_HANDLER: 0
; COMPUTE_PGM_RSRC2:TGID_X_EN: 1
; COMPUTE_PGM_RSRC2:TGID_Y_EN: 0
; COMPUTE_PGM_RSRC2:TGID_Z_EN: 0
; COMPUTE_PGM_RSRC2:TIDIG_COMP_CNT: 0
	.section	.text._ZN9rocsparseL19gebsrmvn_2xn_kernelILj128ELj11ELj64EdEEvi20rocsparse_direction_NS_24const_host_device_scalarIT2_EEPKiS6_PKS3_S8_S4_PS3_21rocsparse_index_base_b,"axG",@progbits,_ZN9rocsparseL19gebsrmvn_2xn_kernelILj128ELj11ELj64EdEEvi20rocsparse_direction_NS_24const_host_device_scalarIT2_EEPKiS6_PKS3_S8_S4_PS3_21rocsparse_index_base_b,comdat
	.globl	_ZN9rocsparseL19gebsrmvn_2xn_kernelILj128ELj11ELj64EdEEvi20rocsparse_direction_NS_24const_host_device_scalarIT2_EEPKiS6_PKS3_S8_S4_PS3_21rocsparse_index_base_b ; -- Begin function _ZN9rocsparseL19gebsrmvn_2xn_kernelILj128ELj11ELj64EdEEvi20rocsparse_direction_NS_24const_host_device_scalarIT2_EEPKiS6_PKS3_S8_S4_PS3_21rocsparse_index_base_b
	.p2align	8
	.type	_ZN9rocsparseL19gebsrmvn_2xn_kernelILj128ELj11ELj64EdEEvi20rocsparse_direction_NS_24const_host_device_scalarIT2_EEPKiS6_PKS3_S8_S4_PS3_21rocsparse_index_base_b,@function
_ZN9rocsparseL19gebsrmvn_2xn_kernelILj128ELj11ELj64EdEEvi20rocsparse_direction_NS_24const_host_device_scalarIT2_EEPKiS6_PKS3_S8_S4_PS3_21rocsparse_index_base_b: ; @_ZN9rocsparseL19gebsrmvn_2xn_kernelILj128ELj11ELj64EdEEvi20rocsparse_direction_NS_24const_host_device_scalarIT2_EEPKiS6_PKS3_S8_S4_PS3_21rocsparse_index_base_b
; %bb.0:
	s_load_dwordx2 s[2:3], s[4:5], 0x40
	s_load_dwordx2 s[10:11], s[4:5], 0x8
	;; [unrolled: 1-line block ×3, first 2 shown]
	s_waitcnt lgkmcnt(0)
	s_bitcmp1_b32 s3, 0
	s_cselect_b64 s[12:13], -1, 0
	v_mov_b32_e32 v1, s10
	s_xor_b64 s[8:9], s[12:13], -1
	s_and_b64 vcc, exec, s[12:13]
	v_mov_b32_e32 v2, s11
	s_cbranch_vccnz .LBB125_2
; %bb.1:
	v_mov_b32_e32 v1, s10
	v_mov_b32_e32 v2, s11
	flat_load_dwordx2 v[1:2], v[1:2]
.LBB125_2:
	v_mov_b32_e32 v4, s1
	s_andn2_b64 vcc, exec, s[8:9]
	v_mov_b32_e32 v3, s0
	s_cbranch_vccnz .LBB125_4
; %bb.3:
	v_mov_b32_e32 v4, s1
	v_mov_b32_e32 v3, s0
	flat_load_dwordx2 v[3:4], v[3:4]
.LBB125_4:
	s_waitcnt vmcnt(0) lgkmcnt(0)
	v_cmp_neq_f64_e32 vcc, 0, v[1:2]
	v_cmp_neq_f64_e64 s[0:1], 1.0, v[3:4]
	s_or_b64 s[0:1], vcc, s[0:1]
	s_and_saveexec_b64 s[8:9], s[0:1]
	s_cbranch_execz .LBB125_23
; %bb.5:
	s_load_dwordx2 s[0:1], s[4:5], 0x0
	v_lshrrev_b32_e32 v5, 6, v0
	v_lshl_or_b32 v5, s6, 1, v5
	s_waitcnt lgkmcnt(0)
	v_cmp_gt_i32_e32 vcc, s0, v5
	s_and_b64 exec, exec, vcc
	s_cbranch_execz .LBB125_23
; %bb.6:
	s_load_dwordx8 s[8:15], s[4:5], 0x10
	v_ashrrev_i32_e32 v6, 31, v5
	v_lshlrev_b64 v[6:7], 2, v[5:6]
	v_and_b32_e32 v0, 63, v0
	s_cmp_lg_u32 s1, 0
	s_waitcnt lgkmcnt(0)
	v_mov_b32_e32 v8, s9
	v_add_co_u32_e32 v6, vcc, s8, v6
	v_addc_co_u32_e32 v7, vcc, v8, v7, vcc
	global_load_dwordx2 v[6:7], v[6:7], off
	s_waitcnt vmcnt(0)
	v_subrev_u32_e32 v6, s2, v6
	v_subrev_u32_e32 v18, s2, v7
	v_add_u32_e32 v6, v6, v0
	v_cmp_lt_i32_e64 s[0:1], v6, v18
	s_cbranch_scc0 .LBB125_12
; %bb.7:
	v_mov_b32_e32 v8, 0
	v_mov_b32_e32 v10, 0
	v_mov_b32_e32 v9, 0
	v_mov_b32_e32 v11, 0
	s_and_saveexec_b64 s[6:7], s[0:1]
	s_cbranch_execz .LBB125_11
; %bb.8:
	v_mad_u64_u32 v[12:13], s[8:9], v6, 22, 20
	v_mov_b32_e32 v8, 0
	v_mov_b32_e32 v10, 0
	;; [unrolled: 1-line block ×3, first 2 shown]
	s_mov_b64 s[8:9], 0
	v_mov_b32_e32 v7, s11
	v_mov_b32_e32 v15, 0
	;; [unrolled: 1-line block ×6, first 2 shown]
.LBB125_9:                              ; =>This Inner Loop Header: Depth=1
	v_ashrrev_i32_e32 v17, 31, v16
	v_lshlrev_b64 v[21:22], 2, v[16:17]
	v_subrev_u32_e32 v14, 20, v12
	v_lshlrev_b64 v[23:24], 3, v[14:15]
	v_add_co_u32_e32 v27, vcc, s10, v21
	v_addc_co_u32_e32 v28, vcc, v7, v22, vcc
	v_add_co_u32_e32 v31, vcc, s12, v23
	v_addc_co_u32_e32 v32, vcc, v19, v24, vcc
	global_load_dword v17, v[27:28], off
	global_load_dwordx4 v[21:24], v[31:32], off
	v_mov_b32_e32 v13, v15
	v_lshlrev_b64 v[25:26], 3, v[12:13]
	v_subrev_u32_e32 v14, 18, v12
	v_lshlrev_b64 v[13:14], 3, v[14:15]
	v_add_co_u32_e32 v33, vcc, s12, v25
	v_mov_b32_e32 v30, v15
	v_addc_co_u32_e32 v34, vcc, v19, v26, vcc
	v_add_co_u32_e32 v13, vcc, s12, v13
	v_addc_co_u32_e32 v14, vcc, v19, v14, vcc
	v_add_u32_e32 v16, 64, v16
	s_waitcnt vmcnt(1)
	v_subrev_u32_e32 v17, s2, v17
	v_mul_lo_u32 v29, v17, 11
	v_lshlrev_b64 v[25:26], 3, v[29:30]
	v_add_co_u32_e32 v30, vcc, s14, v25
	v_addc_co_u32_e32 v31, vcc, v20, v26, vcc
	global_load_dwordx4 v[25:28], v[33:34], off
	global_load_dwordx2 v[35:36], v[30:31], off
	s_waitcnt vmcnt(0)
	v_fma_f64 v[21:22], v[21:22], v[35:36], v[8:9]
	v_fma_f64 v[23:24], v[23:24], v[35:36], v[10:11]
	global_load_dwordx4 v[8:11], v[13:14], off
	v_add_u32_e32 v14, 1, v29
	v_lshlrev_b64 v[30:31], 3, v[14:15]
	v_add_u32_e32 v14, -16, v12
	v_add_co_u32_e32 v30, vcc, s14, v30
	v_addc_co_u32_e32 v31, vcc, v20, v31, vcc
	global_load_dwordx2 v[30:31], v[30:31], off
	v_lshlrev_b64 v[32:33], 3, v[14:15]
	v_add_u32_e32 v14, 2, v29
	s_waitcnt vmcnt(0)
	v_fma_f64 v[21:22], v[8:9], v[30:31], v[21:22]
	v_fma_f64 v[23:24], v[10:11], v[30:31], v[23:24]
	v_lshlrev_b64 v[8:9], 3, v[14:15]
	v_add_co_u32_e32 v30, vcc, s12, v32
	v_addc_co_u32_e32 v31, vcc, v19, v33, vcc
	v_add_co_u32_e32 v34, vcc, s14, v8
	v_addc_co_u32_e32 v35, vcc, v20, v9, vcc
	global_load_dwordx4 v[8:11], v[30:31], off
	global_load_dwordx2 v[36:37], v[34:35], off
	v_add_u32_e32 v14, -14, v12
	v_lshlrev_b64 v[32:33], 3, v[14:15]
	v_add_u32_e32 v14, 3, v29
	v_add_co_u32_e32 v30, vcc, s12, v32
	v_addc_co_u32_e32 v31, vcc, v19, v33, vcc
	s_waitcnt vmcnt(0)
	v_fma_f64 v[21:22], v[8:9], v[36:37], v[21:22]
	v_lshlrev_b64 v[8:9], 3, v[14:15]
	v_fma_f64 v[23:24], v[10:11], v[36:37], v[23:24]
	v_add_co_u32_e32 v34, vcc, s14, v8
	v_addc_co_u32_e32 v35, vcc, v20, v9, vcc
	global_load_dwordx4 v[8:11], v[30:31], off
	global_load_dwordx2 v[36:37], v[34:35], off
	v_add_u32_e32 v14, -12, v12
	v_lshlrev_b64 v[32:33], 3, v[14:15]
	v_add_u32_e32 v14, 4, v29
	v_add_co_u32_e32 v30, vcc, s12, v32
	v_addc_co_u32_e32 v31, vcc, v19, v33, vcc
	s_waitcnt vmcnt(0)
	v_fma_f64 v[21:22], v[8:9], v[36:37], v[21:22]
	v_lshlrev_b64 v[8:9], 3, v[14:15]
	v_fma_f64 v[23:24], v[10:11], v[36:37], v[23:24]
	;; [unrolled: 13-line block ×6, first 2 shown]
	v_add_co_u32_e32 v34, vcc, s14, v8
	v_addc_co_u32_e32 v35, vcc, v20, v9, vcc
	global_load_dwordx4 v[8:11], v[30:31], off
	global_load_dwordx2 v[36:37], v[34:35], off
	v_add_u32_e32 v14, -2, v12
	v_lshlrev_b64 v[32:33], 3, v[14:15]
	v_add_u32_e32 v14, 9, v29
	v_add_co_u32_e32 v13, vcc, s12, v32
	v_add_u32_e32 v12, 0x580, v12
	s_waitcnt vmcnt(0)
	v_fma_f64 v[21:22], v[8:9], v[36:37], v[21:22]
	v_lshlrev_b64 v[8:9], 3, v[14:15]
	v_addc_co_u32_e32 v14, vcc, v19, v33, vcc
	v_add_co_u32_e32 v30, vcc, s14, v8
	v_fma_f64 v[23:24], v[10:11], v[36:37], v[23:24]
	v_addc_co_u32_e32 v31, vcc, v20, v9, vcc
	global_load_dwordx4 v[8:11], v[13:14], off
	global_load_dwordx2 v[32:33], v[30:31], off
	v_add_u32_e32 v14, 10, v29
	v_lshlrev_b64 v[13:14], 3, v[14:15]
	v_add_co_u32_e32 v13, vcc, s14, v13
	v_addc_co_u32_e32 v14, vcc, v20, v14, vcc
	global_load_dwordx2 v[13:14], v[13:14], off
	v_cmp_ge_i32_e32 vcc, v16, v18
	s_or_b64 s[8:9], vcc, s[8:9]
	s_waitcnt vmcnt(1)
	v_fma_f64 v[8:9], v[8:9], v[32:33], v[21:22]
	v_fma_f64 v[10:11], v[10:11], v[32:33], v[23:24]
	s_waitcnt vmcnt(0)
	v_fma_f64 v[8:9], v[25:26], v[13:14], v[8:9]
	v_fma_f64 v[10:11], v[27:28], v[13:14], v[10:11]
	s_andn2_b64 exec, exec, s[8:9]
	s_cbranch_execnz .LBB125_9
; %bb.10:
	s_or_b64 exec, exec, s[8:9]
.LBB125_11:
	s_or_b64 exec, exec, s[6:7]
	s_cbranch_execz .LBB125_13
	s_branch .LBB125_18
.LBB125_12:
                                        ; implicit-def: $vgpr8_vgpr9
                                        ; implicit-def: $vgpr10_vgpr11
.LBB125_13:
	v_mov_b32_e32 v8, 0
	v_mov_b32_e32 v10, 0
	;; [unrolled: 1-line block ×4, first 2 shown]
	s_and_saveexec_b64 s[6:7], s[0:1]
	s_cbranch_execz .LBB125_17
; %bb.14:
	v_mad_u64_u32 v[12:13], s[0:1], v6, 22, 21
	v_mov_b32_e32 v8, 0
	v_mov_b32_e32 v10, 0
	;; [unrolled: 1-line block ×3, first 2 shown]
	s_mov_b64 s[0:1], 0
	v_mov_b32_e32 v16, s11
	v_mov_b32_e32 v15, 0
	;; [unrolled: 1-line block ×5, first 2 shown]
.LBB125_15:                             ; =>This Inner Loop Header: Depth=1
	v_ashrrev_i32_e32 v7, 31, v6
	v_lshlrev_b64 v[22:23], 2, v[6:7]
	v_subrev_u32_e32 v14, 21, v12
	v_add_co_u32_e32 v22, vcc, s10, v22
	v_addc_co_u32_e32 v23, vcc, v16, v23, vcc
	global_load_dword v7, v[22:23], off
	v_lshlrev_b64 v[24:25], 3, v[14:15]
	v_add_u32_e32 v20, -10, v12
	v_mov_b32_e32 v21, v15
	v_lshlrev_b64 v[20:21], 3, v[20:21]
	v_add_co_u32_e32 v24, vcc, s12, v24
	v_mov_b32_e32 v13, v15
	v_addc_co_u32_e32 v25, vcc, v17, v25, vcc
	v_lshlrev_b64 v[13:14], 3, v[12:13]
	v_add_co_u32_e32 v20, vcc, s12, v20
	v_addc_co_u32_e32 v21, vcc, v17, v21, vcc
	v_add_co_u32_e32 v26, vcc, s12, v13
	v_addc_co_u32_e32 v27, vcc, v17, v14, vcc
	v_mov_b32_e32 v14, v15
	v_add_u32_e32 v6, 64, v6
	s_waitcnt vmcnt(0)
	v_subrev_u32_e32 v7, s2, v7
	v_mul_lo_u32 v13, v7, 11
	v_lshlrev_b64 v[22:23], 3, v[13:14]
	v_add_u32_e32 v14, 1, v13
	v_add_co_u32_e32 v22, vcc, s14, v22
	v_addc_co_u32_e32 v23, vcc, v19, v23, vcc
	global_load_dwordx2 v[30:31], v[20:21], off
	global_load_dwordx2 v[32:33], v[22:23], off
	v_lshlrev_b64 v[28:29], 3, v[14:15]
	global_load_dwordx4 v[20:23], v[24:25], off
	v_add_co_u32_e32 v28, vcc, s14, v28
	v_addc_co_u32_e32 v29, vcc, v19, v29, vcc
	v_add_u32_e32 v14, -9, v12
	s_waitcnt vmcnt(1)
	v_fma_f64 v[10:11], v[30:31], v[32:33], v[10:11]
	s_waitcnt vmcnt(0)
	v_fma_f64 v[7:8], v[20:21], v[32:33], v[8:9]
	global_load_dwordx2 v[20:21], v[28:29], off
	s_waitcnt vmcnt(0)
	v_fma_f64 v[7:8], v[22:23], v[20:21], v[7:8]
	v_lshlrev_b64 v[22:23], 3, v[14:15]
	v_subrev_u32_e32 v14, 19, v12
	v_add_co_u32_e32 v22, vcc, s12, v22
	v_lshlrev_b64 v[24:25], 3, v[14:15]
	v_addc_co_u32_e32 v23, vcc, v17, v23, vcc
	v_add_co_u32_e32 v24, vcc, s12, v24
	v_addc_co_u32_e32 v25, vcc, v17, v25, vcc
	global_load_dwordx2 v[28:29], v[22:23], off
	global_load_dwordx2 v[30:31], v[24:25], off
	v_add_u32_e32 v14, 2, v13
	s_waitcnt vmcnt(1)
	v_fma_f64 v[9:10], v[28:29], v[20:21], v[10:11]
	v_lshlrev_b64 v[20:21], 3, v[14:15]
	v_add_u32_e32 v14, -8, v12
	v_add_co_u32_e32 v20, vcc, s14, v20
	v_addc_co_u32_e32 v21, vcc, v19, v21, vcc
	global_load_dwordx2 v[20:21], v[20:21], off
	v_lshlrev_b64 v[22:23], 3, v[14:15]
	v_subrev_u32_e32 v14, 18, v12
	v_add_co_u32_e32 v22, vcc, s12, v22
	v_lshlrev_b64 v[24:25], 3, v[14:15]
	v_addc_co_u32_e32 v23, vcc, v17, v23, vcc
	v_add_co_u32_e32 v24, vcc, s12, v24
	v_addc_co_u32_e32 v25, vcc, v17, v25, vcc
	v_add_u32_e32 v14, 3, v13
	s_waitcnt vmcnt(0)
	v_fma_f64 v[7:8], v[30:31], v[20:21], v[7:8]
	global_load_dwordx2 v[28:29], v[22:23], off
	global_load_dwordx2 v[30:31], v[24:25], off
	s_waitcnt vmcnt(1)
	v_fma_f64 v[9:10], v[28:29], v[20:21], v[9:10]
	v_lshlrev_b64 v[20:21], 3, v[14:15]
	v_add_u32_e32 v14, -7, v12
	v_add_co_u32_e32 v20, vcc, s14, v20
	v_addc_co_u32_e32 v21, vcc, v19, v21, vcc
	global_load_dwordx2 v[20:21], v[20:21], off
	v_lshlrev_b64 v[22:23], 3, v[14:15]
	v_subrev_u32_e32 v14, 17, v12
	v_add_co_u32_e32 v22, vcc, s12, v22
	v_lshlrev_b64 v[24:25], 3, v[14:15]
	v_addc_co_u32_e32 v23, vcc, v17, v23, vcc
	v_add_co_u32_e32 v24, vcc, s12, v24
	v_addc_co_u32_e32 v25, vcc, v17, v25, vcc
	v_add_u32_e32 v14, 4, v13
	s_waitcnt vmcnt(0)
	v_fma_f64 v[7:8], v[30:31], v[20:21], v[7:8]
	global_load_dwordx2 v[28:29], v[22:23], off
	global_load_dwordx2 v[30:31], v[24:25], off
	s_waitcnt vmcnt(1)
	v_fma_f64 v[9:10], v[28:29], v[20:21], v[9:10]
	v_lshlrev_b64 v[20:21], 3, v[14:15]
	v_add_u32_e32 v14, -6, v12
	v_add_co_u32_e32 v20, vcc, s14, v20
	v_addc_co_u32_e32 v21, vcc, v19, v21, vcc
	global_load_dwordx2 v[20:21], v[20:21], off
	v_lshlrev_b64 v[22:23], 3, v[14:15]
	v_add_u32_e32 v14, -16, v12
	v_add_co_u32_e32 v22, vcc, s12, v22
	v_lshlrev_b64 v[24:25], 3, v[14:15]
	v_addc_co_u32_e32 v23, vcc, v17, v23, vcc
	v_add_co_u32_e32 v24, vcc, s12, v24
	v_addc_co_u32_e32 v25, vcc, v17, v25, vcc
	v_add_u32_e32 v14, 5, v13
	s_waitcnt vmcnt(0)
	v_fma_f64 v[7:8], v[30:31], v[20:21], v[7:8]
	global_load_dwordx2 v[28:29], v[22:23], off
	global_load_dwordx2 v[30:31], v[24:25], off
	s_waitcnt vmcnt(1)
	v_fma_f64 v[9:10], v[28:29], v[20:21], v[9:10]
	v_lshlrev_b64 v[20:21], 3, v[14:15]
	v_add_u32_e32 v14, -5, v12
	v_add_co_u32_e32 v20, vcc, s14, v20
	v_addc_co_u32_e32 v21, vcc, v19, v21, vcc
	global_load_dwordx2 v[20:21], v[20:21], off
	v_lshlrev_b64 v[22:23], 3, v[14:15]
	v_add_u32_e32 v14, -15, v12
	;; [unrolled: 19-line block ×6, first 2 shown]
	v_lshlrev_b64 v[24:25], 3, v[14:15]
	v_add_co_u32_e32 v22, vcc, s12, v22
	v_add_u32_e32 v14, 10, v13
	v_addc_co_u32_e32 v23, vcc, v17, v23, vcc
	v_add_co_u32_e32 v24, vcc, s12, v24
	v_lshlrev_b64 v[13:14], 3, v[14:15]
	v_addc_co_u32_e32 v25, vcc, v17, v25, vcc
	v_add_co_u32_e32 v13, vcc, s14, v13
	v_addc_co_u32_e32 v14, vcc, v19, v14, vcc
	v_cmp_ge_i32_e32 vcc, v6, v18
	s_or_b64 s[0:1], vcc, s[0:1]
	v_add_u32_e32 v12, 0x580, v12
	s_waitcnt vmcnt(0)
	v_fma_f64 v[7:8], v[30:31], v[20:21], v[7:8]
	global_load_dwordx2 v[28:29], v[22:23], off
	global_load_dwordx2 v[30:31], v[26:27], off
	;; [unrolled: 1-line block ×4, first 2 shown]
	s_waitcnt vmcnt(3)
	v_fma_f64 v[10:11], v[28:29], v[20:21], v[9:10]
	s_waitcnt vmcnt(0)
	v_fma_f64 v[8:9], v[32:33], v[34:35], v[7:8]
	v_fma_f64 v[10:11], v[30:31], v[34:35], v[10:11]
	s_andn2_b64 exec, exec, s[0:1]
	s_cbranch_execnz .LBB125_15
; %bb.16:
	s_or_b64 exec, exec, s[0:1]
.LBB125_17:
	s_or_b64 exec, exec, s[6:7]
.LBB125_18:
	v_mov_b32_dpp v6, v8 row_shr:1 row_mask:0xf bank_mask:0xf
	v_mov_b32_dpp v7, v9 row_shr:1 row_mask:0xf bank_mask:0xf
	v_add_f64 v[6:7], v[8:9], v[6:7]
	v_mov_b32_dpp v8, v10 row_shr:1 row_mask:0xf bank_mask:0xf
	v_mov_b32_dpp v9, v11 row_shr:1 row_mask:0xf bank_mask:0xf
	v_add_f64 v[8:9], v[10:11], v[8:9]
	v_cmp_eq_u32_e32 vcc, 63, v0
	v_mov_b32_dpp v10, v6 row_shr:2 row_mask:0xf bank_mask:0xf
	v_mov_b32_dpp v11, v7 row_shr:2 row_mask:0xf bank_mask:0xf
	v_add_f64 v[6:7], v[6:7], v[10:11]
	v_mov_b32_dpp v12, v8 row_shr:2 row_mask:0xf bank_mask:0xf
	v_mov_b32_dpp v13, v9 row_shr:2 row_mask:0xf bank_mask:0xf
	v_add_f64 v[8:9], v[8:9], v[12:13]
	v_mov_b32_dpp v10, v6 row_shr:4 row_mask:0xf bank_mask:0xe
	v_mov_b32_dpp v11, v7 row_shr:4 row_mask:0xf bank_mask:0xe
	v_add_f64 v[6:7], v[6:7], v[10:11]
	v_mov_b32_dpp v12, v8 row_shr:4 row_mask:0xf bank_mask:0xe
	v_mov_b32_dpp v13, v9 row_shr:4 row_mask:0xf bank_mask:0xe
	v_add_f64 v[8:9], v[8:9], v[12:13]
	v_mov_b32_dpp v10, v6 row_shr:8 row_mask:0xf bank_mask:0xc
	v_mov_b32_dpp v11, v7 row_shr:8 row_mask:0xf bank_mask:0xc
	v_add_f64 v[6:7], v[6:7], v[10:11]
	v_mov_b32_dpp v12, v8 row_shr:8 row_mask:0xf bank_mask:0xc
	v_mov_b32_dpp v13, v9 row_shr:8 row_mask:0xf bank_mask:0xc
	v_add_f64 v[8:9], v[8:9], v[12:13]
	v_mov_b32_dpp v10, v6 row_bcast:15 row_mask:0xa bank_mask:0xf
	v_mov_b32_dpp v11, v7 row_bcast:15 row_mask:0xa bank_mask:0xf
	v_add_f64 v[6:7], v[6:7], v[10:11]
	v_mov_b32_dpp v12, v8 row_bcast:15 row_mask:0xa bank_mask:0xf
	v_mov_b32_dpp v13, v9 row_bcast:15 row_mask:0xa bank_mask:0xf
	v_add_f64 v[10:11], v[8:9], v[12:13]
	v_mov_b32_dpp v8, v6 row_bcast:31 row_mask:0xc bank_mask:0xf
	v_mov_b32_dpp v9, v7 row_bcast:31 row_mask:0xc bank_mask:0xf
	v_mov_b32_dpp v12, v10 row_bcast:31 row_mask:0xc bank_mask:0xf
	v_mov_b32_dpp v13, v11 row_bcast:31 row_mask:0xc bank_mask:0xf
	s_and_b64 exec, exec, vcc
	s_cbranch_execz .LBB125_23
; %bb.19:
	v_add_f64 v[8:9], v[6:7], v[8:9]
	v_add_f64 v[6:7], v[10:11], v[12:13]
	v_cmp_eq_f64_e32 vcc, 0, v[3:4]
	s_load_dwordx2 s[0:1], s[4:5], 0x38
	s_and_saveexec_b64 s[2:3], vcc
	s_xor_b64 s[2:3], exec, s[2:3]
	s_cbranch_execz .LBB125_21
; %bb.20:
	v_mul_f64 v[3:4], v[1:2], v[8:9]
	v_lshlrev_b32_e32 v0, 1, v5
	v_mul_f64 v[5:6], v[1:2], v[6:7]
	v_ashrrev_i32_e32 v1, 31, v0
	v_lshlrev_b64 v[0:1], 3, v[0:1]
	s_waitcnt lgkmcnt(0)
	v_mov_b32_e32 v2, s1
	v_add_co_u32_e32 v0, vcc, s0, v0
	v_addc_co_u32_e32 v1, vcc, v2, v1, vcc
	global_store_dwordx4 v[0:1], v[3:6], off
                                        ; implicit-def: $vgpr5
                                        ; implicit-def: $vgpr1_vgpr2
                                        ; implicit-def: $vgpr8_vgpr9
                                        ; implicit-def: $vgpr3_vgpr4
                                        ; implicit-def: $vgpr6_vgpr7
.LBB125_21:
	s_andn2_saveexec_b64 s[2:3], s[2:3]
	s_cbranch_execz .LBB125_23
; %bb.22:
	v_lshlrev_b32_e32 v10, 1, v5
	v_ashrrev_i32_e32 v11, 31, v10
	v_lshlrev_b64 v[10:11], 3, v[10:11]
	s_waitcnt lgkmcnt(0)
	v_mov_b32_e32 v0, s1
	v_add_co_u32_e32 v14, vcc, s0, v10
	v_addc_co_u32_e32 v15, vcc, v0, v11, vcc
	global_load_dwordx4 v[10:13], v[14:15], off
	v_mul_f64 v[8:9], v[1:2], v[8:9]
	v_mul_f64 v[5:6], v[1:2], v[6:7]
	s_waitcnt vmcnt(0)
	v_fma_f64 v[0:1], v[3:4], v[10:11], v[8:9]
	v_fma_f64 v[2:3], v[3:4], v[12:13], v[5:6]
	global_store_dwordx4 v[14:15], v[0:3], off
.LBB125_23:
	s_endpgm
	.section	.rodata,"a",@progbits
	.p2align	6, 0x0
	.amdhsa_kernel _ZN9rocsparseL19gebsrmvn_2xn_kernelILj128ELj11ELj64EdEEvi20rocsparse_direction_NS_24const_host_device_scalarIT2_EEPKiS6_PKS3_S8_S4_PS3_21rocsparse_index_base_b
		.amdhsa_group_segment_fixed_size 0
		.amdhsa_private_segment_fixed_size 0
		.amdhsa_kernarg_size 72
		.amdhsa_user_sgpr_count 6
		.amdhsa_user_sgpr_private_segment_buffer 1
		.amdhsa_user_sgpr_dispatch_ptr 0
		.amdhsa_user_sgpr_queue_ptr 0
		.amdhsa_user_sgpr_kernarg_segment_ptr 1
		.amdhsa_user_sgpr_dispatch_id 0
		.amdhsa_user_sgpr_flat_scratch_init 0
		.amdhsa_user_sgpr_private_segment_size 0
		.amdhsa_uses_dynamic_stack 0
		.amdhsa_system_sgpr_private_segment_wavefront_offset 0
		.amdhsa_system_sgpr_workgroup_id_x 1
		.amdhsa_system_sgpr_workgroup_id_y 0
		.amdhsa_system_sgpr_workgroup_id_z 0
		.amdhsa_system_sgpr_workgroup_info 0
		.amdhsa_system_vgpr_workitem_id 0
		.amdhsa_next_free_vgpr 38
		.amdhsa_next_free_sgpr 16
		.amdhsa_reserve_vcc 1
		.amdhsa_reserve_flat_scratch 0
		.amdhsa_float_round_mode_32 0
		.amdhsa_float_round_mode_16_64 0
		.amdhsa_float_denorm_mode_32 3
		.amdhsa_float_denorm_mode_16_64 3
		.amdhsa_dx10_clamp 1
		.amdhsa_ieee_mode 1
		.amdhsa_fp16_overflow 0
		.amdhsa_exception_fp_ieee_invalid_op 0
		.amdhsa_exception_fp_denorm_src 0
		.amdhsa_exception_fp_ieee_div_zero 0
		.amdhsa_exception_fp_ieee_overflow 0
		.amdhsa_exception_fp_ieee_underflow 0
		.amdhsa_exception_fp_ieee_inexact 0
		.amdhsa_exception_int_div_zero 0
	.end_amdhsa_kernel
	.section	.text._ZN9rocsparseL19gebsrmvn_2xn_kernelILj128ELj11ELj64EdEEvi20rocsparse_direction_NS_24const_host_device_scalarIT2_EEPKiS6_PKS3_S8_S4_PS3_21rocsparse_index_base_b,"axG",@progbits,_ZN9rocsparseL19gebsrmvn_2xn_kernelILj128ELj11ELj64EdEEvi20rocsparse_direction_NS_24const_host_device_scalarIT2_EEPKiS6_PKS3_S8_S4_PS3_21rocsparse_index_base_b,comdat
.Lfunc_end125:
	.size	_ZN9rocsparseL19gebsrmvn_2xn_kernelILj128ELj11ELj64EdEEvi20rocsparse_direction_NS_24const_host_device_scalarIT2_EEPKiS6_PKS3_S8_S4_PS3_21rocsparse_index_base_b, .Lfunc_end125-_ZN9rocsparseL19gebsrmvn_2xn_kernelILj128ELj11ELj64EdEEvi20rocsparse_direction_NS_24const_host_device_scalarIT2_EEPKiS6_PKS3_S8_S4_PS3_21rocsparse_index_base_b
                                        ; -- End function
	.set _ZN9rocsparseL19gebsrmvn_2xn_kernelILj128ELj11ELj64EdEEvi20rocsparse_direction_NS_24const_host_device_scalarIT2_EEPKiS6_PKS3_S8_S4_PS3_21rocsparse_index_base_b.num_vgpr, 38
	.set _ZN9rocsparseL19gebsrmvn_2xn_kernelILj128ELj11ELj64EdEEvi20rocsparse_direction_NS_24const_host_device_scalarIT2_EEPKiS6_PKS3_S8_S4_PS3_21rocsparse_index_base_b.num_agpr, 0
	.set _ZN9rocsparseL19gebsrmvn_2xn_kernelILj128ELj11ELj64EdEEvi20rocsparse_direction_NS_24const_host_device_scalarIT2_EEPKiS6_PKS3_S8_S4_PS3_21rocsparse_index_base_b.numbered_sgpr, 16
	.set _ZN9rocsparseL19gebsrmvn_2xn_kernelILj128ELj11ELj64EdEEvi20rocsparse_direction_NS_24const_host_device_scalarIT2_EEPKiS6_PKS3_S8_S4_PS3_21rocsparse_index_base_b.num_named_barrier, 0
	.set _ZN9rocsparseL19gebsrmvn_2xn_kernelILj128ELj11ELj64EdEEvi20rocsparse_direction_NS_24const_host_device_scalarIT2_EEPKiS6_PKS3_S8_S4_PS3_21rocsparse_index_base_b.private_seg_size, 0
	.set _ZN9rocsparseL19gebsrmvn_2xn_kernelILj128ELj11ELj64EdEEvi20rocsparse_direction_NS_24const_host_device_scalarIT2_EEPKiS6_PKS3_S8_S4_PS3_21rocsparse_index_base_b.uses_vcc, 1
	.set _ZN9rocsparseL19gebsrmvn_2xn_kernelILj128ELj11ELj64EdEEvi20rocsparse_direction_NS_24const_host_device_scalarIT2_EEPKiS6_PKS3_S8_S4_PS3_21rocsparse_index_base_b.uses_flat_scratch, 0
	.set _ZN9rocsparseL19gebsrmvn_2xn_kernelILj128ELj11ELj64EdEEvi20rocsparse_direction_NS_24const_host_device_scalarIT2_EEPKiS6_PKS3_S8_S4_PS3_21rocsparse_index_base_b.has_dyn_sized_stack, 0
	.set _ZN9rocsparseL19gebsrmvn_2xn_kernelILj128ELj11ELj64EdEEvi20rocsparse_direction_NS_24const_host_device_scalarIT2_EEPKiS6_PKS3_S8_S4_PS3_21rocsparse_index_base_b.has_recursion, 0
	.set _ZN9rocsparseL19gebsrmvn_2xn_kernelILj128ELj11ELj64EdEEvi20rocsparse_direction_NS_24const_host_device_scalarIT2_EEPKiS6_PKS3_S8_S4_PS3_21rocsparse_index_base_b.has_indirect_call, 0
	.section	.AMDGPU.csdata,"",@progbits
; Kernel info:
; codeLenInByte = 3028
; TotalNumSgprs: 20
; NumVgprs: 38
; ScratchSize: 0
; MemoryBound: 0
; FloatMode: 240
; IeeeMode: 1
; LDSByteSize: 0 bytes/workgroup (compile time only)
; SGPRBlocks: 2
; VGPRBlocks: 9
; NumSGPRsForWavesPerEU: 20
; NumVGPRsForWavesPerEU: 38
; Occupancy: 6
; WaveLimiterHint : 1
; COMPUTE_PGM_RSRC2:SCRATCH_EN: 0
; COMPUTE_PGM_RSRC2:USER_SGPR: 6
; COMPUTE_PGM_RSRC2:TRAP_HANDLER: 0
; COMPUTE_PGM_RSRC2:TGID_X_EN: 1
; COMPUTE_PGM_RSRC2:TGID_Y_EN: 0
; COMPUTE_PGM_RSRC2:TGID_Z_EN: 0
; COMPUTE_PGM_RSRC2:TIDIG_COMP_CNT: 0
	.section	.text._ZN9rocsparseL19gebsrmvn_2xn_kernelILj128ELj12ELj4EdEEvi20rocsparse_direction_NS_24const_host_device_scalarIT2_EEPKiS6_PKS3_S8_S4_PS3_21rocsparse_index_base_b,"axG",@progbits,_ZN9rocsparseL19gebsrmvn_2xn_kernelILj128ELj12ELj4EdEEvi20rocsparse_direction_NS_24const_host_device_scalarIT2_EEPKiS6_PKS3_S8_S4_PS3_21rocsparse_index_base_b,comdat
	.globl	_ZN9rocsparseL19gebsrmvn_2xn_kernelILj128ELj12ELj4EdEEvi20rocsparse_direction_NS_24const_host_device_scalarIT2_EEPKiS6_PKS3_S8_S4_PS3_21rocsparse_index_base_b ; -- Begin function _ZN9rocsparseL19gebsrmvn_2xn_kernelILj128ELj12ELj4EdEEvi20rocsparse_direction_NS_24const_host_device_scalarIT2_EEPKiS6_PKS3_S8_S4_PS3_21rocsparse_index_base_b
	.p2align	8
	.type	_ZN9rocsparseL19gebsrmvn_2xn_kernelILj128ELj12ELj4EdEEvi20rocsparse_direction_NS_24const_host_device_scalarIT2_EEPKiS6_PKS3_S8_S4_PS3_21rocsparse_index_base_b,@function
_ZN9rocsparseL19gebsrmvn_2xn_kernelILj128ELj12ELj4EdEEvi20rocsparse_direction_NS_24const_host_device_scalarIT2_EEPKiS6_PKS3_S8_S4_PS3_21rocsparse_index_base_b: ; @_ZN9rocsparseL19gebsrmvn_2xn_kernelILj128ELj12ELj4EdEEvi20rocsparse_direction_NS_24const_host_device_scalarIT2_EEPKiS6_PKS3_S8_S4_PS3_21rocsparse_index_base_b
; %bb.0:
	s_load_dwordx2 s[2:3], s[4:5], 0x40
	s_load_dwordx2 s[10:11], s[4:5], 0x8
	;; [unrolled: 1-line block ×3, first 2 shown]
	s_waitcnt lgkmcnt(0)
	s_bitcmp1_b32 s3, 0
	s_cselect_b64 s[12:13], -1, 0
	v_mov_b32_e32 v1, s10
	s_xor_b64 s[8:9], s[12:13], -1
	s_and_b64 vcc, exec, s[12:13]
	v_mov_b32_e32 v2, s11
	s_cbranch_vccnz .LBB126_2
; %bb.1:
	v_mov_b32_e32 v1, s10
	v_mov_b32_e32 v2, s11
	flat_load_dwordx2 v[1:2], v[1:2]
.LBB126_2:
	v_mov_b32_e32 v4, s1
	s_andn2_b64 vcc, exec, s[8:9]
	v_mov_b32_e32 v3, s0
	s_cbranch_vccnz .LBB126_4
; %bb.3:
	v_mov_b32_e32 v4, s1
	v_mov_b32_e32 v3, s0
	flat_load_dwordx2 v[3:4], v[3:4]
.LBB126_4:
	s_waitcnt vmcnt(0) lgkmcnt(0)
	v_cmp_neq_f64_e32 vcc, 0, v[1:2]
	v_cmp_neq_f64_e64 s[0:1], 1.0, v[3:4]
	s_or_b64 s[0:1], vcc, s[0:1]
	s_and_saveexec_b64 s[8:9], s[0:1]
	s_cbranch_execz .LBB126_23
; %bb.5:
	s_load_dwordx2 s[0:1], s[4:5], 0x0
	v_lshrrev_b32_e32 v5, 2, v0
	v_lshl_or_b32 v5, s6, 5, v5
	s_waitcnt lgkmcnt(0)
	v_cmp_gt_i32_e32 vcc, s0, v5
	s_and_b64 exec, exec, vcc
	s_cbranch_execz .LBB126_23
; %bb.6:
	s_load_dwordx8 s[8:15], s[4:5], 0x10
	v_ashrrev_i32_e32 v6, 31, v5
	v_lshlrev_b64 v[6:7], 2, v[5:6]
	v_and_b32_e32 v0, 3, v0
	s_cmp_lg_u32 s1, 0
	s_waitcnt lgkmcnt(0)
	v_mov_b32_e32 v8, s9
	v_add_co_u32_e32 v6, vcc, s8, v6
	v_addc_co_u32_e32 v7, vcc, v8, v7, vcc
	global_load_dwordx2 v[6:7], v[6:7], off
	s_waitcnt vmcnt(0)
	v_subrev_u32_e32 v6, s2, v6
	v_subrev_u32_e32 v18, s2, v7
	v_add_u32_e32 v6, v6, v0
	v_cmp_lt_i32_e64 s[0:1], v6, v18
	s_cbranch_scc0 .LBB126_12
; %bb.7:
	v_mov_b32_e32 v10, 0
	v_mov_b32_e32 v8, 0
	;; [unrolled: 1-line block ×4, first 2 shown]
	s_and_saveexec_b64 s[6:7], s[0:1]
	s_cbranch_execz .LBB126_11
; %bb.8:
	v_mad_u64_u32 v[12:13], s[8:9], v6, 24, 22
	v_mov_b32_e32 v10, 0
	v_mov_b32_e32 v8, 0
	;; [unrolled: 1-line block ×3, first 2 shown]
	s_mov_b64 s[8:9], 0
	v_mov_b32_e32 v7, s11
	v_mov_b32_e32 v15, 0
	;; [unrolled: 1-line block ×6, first 2 shown]
.LBB126_9:                              ; =>This Inner Loop Header: Depth=1
	v_ashrrev_i32_e32 v17, 31, v16
	v_lshlrev_b64 v[21:22], 2, v[16:17]
	v_subrev_u32_e32 v14, 22, v12
	v_lshlrev_b64 v[23:24], 3, v[14:15]
	v_add_co_u32_e32 v37, vcc, s10, v21
	v_mov_b32_e32 v13, v15
	v_addc_co_u32_e32 v38, vcc, v7, v22, vcc
	v_lshlrev_b64 v[25:26], 3, v[12:13]
	v_add_co_u32_e32 v39, vcc, s12, v23
	v_addc_co_u32_e32 v40, vcc, v19, v24, vcc
	v_add_co_u32_e32 v47, vcc, s12, v25
	v_addc_co_u32_e32 v48, vcc, v19, v26, vcc
	global_load_dword v17, v[37:38], off
	global_load_dwordx4 v[21:24], v[39:40], off
	global_load_dwordx4 v[25:28], v[39:40], off offset:16
	global_load_dwordx4 v[29:32], v[39:40], off offset:32
	;; [unrolled: 1-line block ×3, first 2 shown]
	v_add_u32_e32 v14, -14, v12
	v_lshlrev_b64 v[13:14], 3, v[14:15]
	v_mov_b32_e32 v46, v15
	v_add_co_u32_e32 v13, vcc, s12, v13
	v_addc_co_u32_e32 v14, vcc, v19, v14, vcc
	v_add_u32_e32 v16, 4, v16
	s_waitcnt vmcnt(4)
	v_subrev_u32_e32 v17, s2, v17
	v_mul_lo_u32 v45, v17, 12
	v_lshlrev_b64 v[37:38], 3, v[45:46]
	v_add_co_u32_e32 v49, vcc, s14, v37
	v_addc_co_u32_e32 v50, vcc, v20, v38, vcc
	global_load_dwordx4 v[37:40], v[49:50], off
	global_load_dwordx4 v[41:44], v[49:50], off offset:16
	s_waitcnt vmcnt(1)
	v_fma_f64 v[21:22], v[21:22], v[37:38], v[10:11]
	v_fma_f64 v[23:24], v[23:24], v[37:38], v[8:9]
	global_load_dwordx4 v[8:11], v[13:14], off
	v_add_u32_e32 v14, 4, v45
	v_lshlrev_b64 v[37:38], 3, v[14:15]
	v_add_u32_e32 v14, -12, v12
	v_add_co_u32_e32 v37, vcc, s14, v37
	v_fma_f64 v[25:26], v[25:26], v[39:40], v[21:22]
	v_fma_f64 v[27:28], v[27:28], v[39:40], v[23:24]
	v_lshlrev_b64 v[21:22], 3, v[14:15]
	v_addc_co_u32_e32 v38, vcc, v20, v38, vcc
	v_add_co_u32_e32 v49, vcc, s12, v21
	v_addc_co_u32_e32 v50, vcc, v19, v22, vcc
	global_load_dwordx4 v[21:24], v[37:38], off
	s_waitcnt vmcnt(2)
	v_fma_f64 v[29:30], v[29:30], v[41:42], v[25:26]
	v_fma_f64 v[31:32], v[31:32], v[41:42], v[27:28]
	v_add_u32_e32 v14, -10, v12
	v_lshlrev_b64 v[39:40], 3, v[14:15]
	global_load_dwordx4 v[25:28], v[37:38], off offset:16
	v_add_u32_e32 v14, -8, v12
	v_lshlrev_b64 v[37:38], 3, v[14:15]
	v_add_u32_e32 v14, -6, v12
	v_fma_f64 v[41:42], v[33:34], v[43:44], v[29:30]
	v_fma_f64 v[43:44], v[35:36], v[43:44], v[31:32]
	global_load_dwordx4 v[29:32], v[49:50], off
	v_add_co_u32_e32 v33, vcc, s12, v39
	v_addc_co_u32_e32 v34, vcc, v19, v40, vcc
	global_load_dwordx4 v[33:36], v[33:34], off
	v_lshlrev_b64 v[39:40], 3, v[14:15]
	v_add_co_u32_e32 v37, vcc, s12, v37
	v_addc_co_u32_e32 v38, vcc, v19, v38, vcc
	v_add_co_u32_e32 v49, vcc, s12, v39
	v_addc_co_u32_e32 v50, vcc, v19, v40, vcc
	global_load_dwordx4 v[37:40], v[37:38], off
	v_add_u32_e32 v14, 8, v45
	v_lshlrev_b64 v[45:46], 3, v[14:15]
	v_add_u32_e32 v14, -4, v12
	v_add_co_u32_e32 v45, vcc, s14, v45
	v_addc_co_u32_e32 v46, vcc, v20, v46, vcc
	s_waitcnt vmcnt(4)
	v_fma_f64 v[41:42], v[8:9], v[21:22], v[41:42]
	v_fma_f64 v[21:22], v[10:11], v[21:22], v[43:44]
	global_load_dwordx4 v[8:11], v[49:50], off
	v_lshlrev_b64 v[43:44], 3, v[14:15]
	v_add_u32_e32 v14, -2, v12
	v_lshlrev_b64 v[13:14], 3, v[14:15]
	v_add_u32_e32 v12, 0x60, v12
	s_waitcnt vmcnt(3)
	v_fma_f64 v[41:42], v[29:30], v[23:24], v[41:42]
	v_fma_f64 v[49:50], v[31:32], v[23:24], v[21:22]
	global_load_dwordx4 v[21:24], v[45:46], off
	v_add_co_u32_e32 v29, vcc, s12, v43
	v_addc_co_u32_e32 v30, vcc, v19, v44, vcc
	global_load_dwordx4 v[29:32], v[29:30], off
	v_add_co_u32_e32 v13, vcc, s12, v13
	v_addc_co_u32_e32 v14, vcc, v19, v14, vcc
	s_waitcnt vmcnt(4)
	v_fma_f64 v[51:52], v[33:34], v[25:26], v[41:42]
	v_fma_f64 v[25:26], v[35:36], v[25:26], v[49:50]
	global_load_dwordx4 v[33:36], v[45:46], off offset:16
	global_load_dwordx4 v[41:44], v[13:14], off
	v_cmp_ge_i32_e32 vcc, v16, v18
	s_or_b64 s[8:9], vcc, s[8:9]
	s_waitcnt vmcnt(5)
	v_fma_f64 v[13:14], v[37:38], v[27:28], v[51:52]
	v_fma_f64 v[37:38], v[39:40], v[27:28], v[25:26]
	global_load_dwordx4 v[25:28], v[47:48], off
	s_waitcnt vmcnt(4)
	v_fma_f64 v[8:9], v[8:9], v[21:22], v[13:14]
	v_fma_f64 v[10:11], v[10:11], v[21:22], v[37:38]
	s_waitcnt vmcnt(3)
	v_fma_f64 v[8:9], v[29:30], v[23:24], v[8:9]
	v_fma_f64 v[10:11], v[31:32], v[23:24], v[10:11]
	;; [unrolled: 3-line block ×4, first 2 shown]
	s_andn2_b64 exec, exec, s[8:9]
	s_cbranch_execnz .LBB126_9
; %bb.10:
	s_or_b64 exec, exec, s[8:9]
.LBB126_11:
	s_or_b64 exec, exec, s[6:7]
	s_cbranch_execz .LBB126_13
	s_branch .LBB126_18
.LBB126_12:
                                        ; implicit-def: $vgpr10_vgpr11
                                        ; implicit-def: $vgpr8_vgpr9
.LBB126_13:
	v_mov_b32_e32 v10, 0
	v_mov_b32_e32 v8, 0
	;; [unrolled: 1-line block ×4, first 2 shown]
	s_and_saveexec_b64 s[6:7], s[0:1]
	s_cbranch_execz .LBB126_17
; %bb.14:
	v_mad_u64_u32 v[12:13], s[0:1], v6, 24, 23
	v_mov_b32_e32 v10, 0
	v_mov_b32_e32 v8, 0
	;; [unrolled: 1-line block ×3, first 2 shown]
	s_mov_b64 s[0:1], 0
	v_mov_b32_e32 v15, s11
	v_mov_b32_e32 v14, 0
	;; [unrolled: 1-line block ×5, first 2 shown]
.LBB126_15:                             ; =>This Inner Loop Header: Depth=1
	v_ashrrev_i32_e32 v7, 31, v6
	v_lshlrev_b64 v[19:20], 2, v[6:7]
	v_subrev_u32_e32 v13, 23, v12
	v_lshlrev_b64 v[21:22], 3, v[13:14]
	v_add_co_u32_e32 v27, vcc, s10, v19
	v_addc_co_u32_e32 v28, vcc, v15, v20, vcc
	v_add_co_u32_e32 v37, vcc, s12, v21
	v_addc_co_u32_e32 v38, vcc, v16, v22, vcc
	global_load_dword v7, v[27:28], off
	global_load_dwordx4 v[19:22], v[37:38], off
	global_load_dwordx4 v[23:26], v[37:38], off offset:16
	v_mov_b32_e32 v36, v14
	v_add_u32_e32 v13, -10, v12
	v_add_u32_e32 v6, 4, v6
	s_waitcnt vmcnt(2)
	v_subrev_u32_e32 v7, s2, v7
	v_mul_lo_u32 v35, v7, 12
	v_lshlrev_b64 v[27:28], 3, v[35:36]
	v_add_co_u32_e32 v39, vcc, s14, v27
	v_addc_co_u32_e32 v40, vcc, v17, v28, vcc
	global_load_dwordx4 v[27:30], v[39:40], off
	global_load_dwordx4 v[31:34], v[39:40], off offset:16
	s_waitcnt vmcnt(1)
	v_fma_f64 v[10:11], v[19:20], v[27:28], v[10:11]
	v_add_u32_e32 v19, -11, v12
	v_mov_b32_e32 v20, v14
	v_lshlrev_b64 v[19:20], 3, v[19:20]
	v_add_co_u32_e32 v19, vcc, s12, v19
	v_addc_co_u32_e32 v20, vcc, v16, v20, vcc
	v_fma_f64 v[10:11], v[21:22], v[29:30], v[10:11]
	v_lshlrev_b64 v[21:22], 3, v[13:14]
	v_add_u32_e32 v13, -9, v12
	v_add_co_u32_e32 v21, vcc, s12, v21
	v_lshlrev_b64 v[39:40], 3, v[13:14]
	v_addc_co_u32_e32 v22, vcc, v16, v22, vcc
	v_add_u32_e32 v13, -8, v12
	v_add_co_u32_e32 v39, vcc, s12, v39
	v_lshlrev_b64 v[41:42], 3, v[13:14]
	v_addc_co_u32_e32 v40, vcc, v16, v40, vcc
	v_add_co_u32_e32 v41, vcc, s12, v41
	v_addc_co_u32_e32 v42, vcc, v16, v42, vcc
	global_load_dwordx2 v[43:44], v[19:20], off
	global_load_dwordx2 v[45:46], v[21:22], off
	;; [unrolled: 1-line block ×4, first 2 shown]
	v_add_u32_e32 v13, 4, v35
	s_waitcnt vmcnt(3)
	v_fma_f64 v[7:8], v[43:44], v[27:28], v[8:9]
	s_waitcnt vmcnt(2)
	v_fma_f64 v[19:20], v[45:46], v[29:30], v[7:8]
	v_lshlrev_b64 v[7:8], 3, v[13:14]
	v_add_u32_e32 v13, -7, v12
	v_add_co_u32_e32 v39, vcc, s14, v7
	v_addc_co_u32_e32 v40, vcc, v17, v8, vcc
	v_fma_f64 v[7:8], v[23:24], v[31:32], v[10:11]
	s_waitcnt vmcnt(1)
	v_fma_f64 v[23:24], v[47:48], v[31:32], v[19:20]
	global_load_dwordx4 v[19:22], v[37:38], off offset:48
	v_fma_f64 v[41:42], v[25:26], v[33:34], v[7:8]
	global_load_dwordx4 v[7:10], v[37:38], off offset:32
	s_waitcnt vmcnt(2)
	v_fma_f64 v[31:32], v[49:50], v[33:34], v[23:24]
	global_load_dwordx4 v[23:26], v[39:40], off
	global_load_dwordx4 v[27:30], v[39:40], off offset:16
	s_waitcnt vmcnt(1)
	v_fma_f64 v[7:8], v[7:8], v[23:24], v[41:42]
	v_fma_f64 v[7:8], v[9:10], v[25:26], v[7:8]
	v_lshlrev_b64 v[9:10], 3, v[13:14]
	v_add_u32_e32 v13, -6, v12
	v_add_co_u32_e32 v9, vcc, s12, v9
	v_lshlrev_b64 v[33:34], 3, v[13:14]
	v_addc_co_u32_e32 v10, vcc, v16, v10, vcc
	v_add_u32_e32 v13, -5, v12
	v_add_co_u32_e32 v33, vcc, s12, v33
	v_lshlrev_b64 v[36:37], 3, v[13:14]
	v_addc_co_u32_e32 v34, vcc, v16, v34, vcc
	v_add_u32_e32 v13, -4, v12
	v_add_co_u32_e32 v36, vcc, s12, v36
	v_lshlrev_b64 v[38:39], 3, v[13:14]
	v_addc_co_u32_e32 v37, vcc, v16, v37, vcc
	v_add_co_u32_e32 v38, vcc, s12, v38
	v_addc_co_u32_e32 v39, vcc, v16, v39, vcc
	global_load_dwordx2 v[40:41], v[9:10], off
	global_load_dwordx2 v[42:43], v[33:34], off
	;; [unrolled: 1-line block ×4, first 2 shown]
	s_waitcnt vmcnt(4)
	v_fma_f64 v[7:8], v[19:20], v[27:28], v[7:8]
	v_mov_b32_e32 v13, v14
	v_fma_f64 v[33:34], v[21:22], v[29:30], v[7:8]
	s_waitcnt vmcnt(3)
	v_fma_f64 v[9:10], v[40:41], v[23:24], v[31:32]
	v_lshlrev_b64 v[23:24], 3, v[12:13]
	v_add_u32_e32 v13, -15, v12
	v_add_co_u32_e32 v23, vcc, s12, v23
	v_addc_co_u32_e32 v24, vcc, v16, v24, vcc
	s_waitcnt vmcnt(2)
	v_fma_f64 v[9:10], v[42:43], v[25:26], v[9:10]
	v_lshlrev_b64 v[25:26], 3, v[13:14]
	v_add_u32_e32 v13, 8, v35
	v_add_co_u32_e32 v25, vcc, s12, v25
	v_lshlrev_b64 v[31:32], 3, v[13:14]
	v_addc_co_u32_e32 v26, vcc, v16, v26, vcc
	v_add_u32_e32 v13, -3, v12
	v_lshlrev_b64 v[7:8], 3, v[13:14]
	v_add_co_u32_e32 v31, vcc, s14, v31
	v_addc_co_u32_e32 v32, vcc, v17, v32, vcc
	v_add_u32_e32 v13, -14, v12
	v_add_co_u32_e32 v35, vcc, s12, v7
	v_addc_co_u32_e32 v36, vcc, v16, v8, vcc
	v_lshlrev_b64 v[7:8], 3, v[13:14]
	v_add_u32_e32 v13, -2, v12
	v_add_co_u32_e32 v37, vcc, s12, v7
	v_addc_co_u32_e32 v38, vcc, v16, v8, vcc
	s_waitcnt vmcnt(1)
	v_fma_f64 v[7:8], v[44:45], v[27:28], v[9:10]
	v_lshlrev_b64 v[9:10], 3, v[13:14]
	v_add_u32_e32 v13, -13, v12
	s_waitcnt vmcnt(0)
	v_fma_f64 v[27:28], v[46:47], v[29:30], v[7:8]
	v_lshlrev_b64 v[7:8], 3, v[13:14]
	v_add_co_u32_e32 v29, vcc, s12, v9
	v_add_u32_e32 v13, -1, v12
	v_addc_co_u32_e32 v30, vcc, v16, v10, vcc
	v_lshlrev_b64 v[9:10], 3, v[13:14]
	v_add_co_u32_e32 v39, vcc, s12, v7
	v_add_u32_e32 v13, -12, v12
	v_addc_co_u32_e32 v40, vcc, v16, v8, vcc
	v_add_co_u32_e32 v41, vcc, s12, v9
	v_lshlrev_b64 v[7:8], 3, v[13:14]
	v_addc_co_u32_e32 v42, vcc, v16, v10, vcc
	v_add_co_u32_e32 v43, vcc, s12, v7
	v_addc_co_u32_e32 v44, vcc, v16, v8, vcc
	global_load_dwordx2 v[45:46], v[25:26], off
	global_load_dwordx4 v[7:10], v[31:32], off
	global_load_dwordx4 v[19:22], v[31:32], off offset:16
	v_cmp_ge_i32_e32 vcc, v6, v18
	s_or_b64 s[0:1], vcc, s[0:1]
	v_add_u32_e32 v12, 0x60, v12
	s_waitcnt vmcnt(1)
	v_fma_f64 v[25:26], v[45:46], v[7:8], v[33:34]
	global_load_dwordx2 v[31:32], v[35:36], off
	global_load_dwordx2 v[33:34], v[37:38], off
	;; [unrolled: 1-line block ×4, first 2 shown]
	s_waitcnt vmcnt(3)
	v_fma_f64 v[7:8], v[31:32], v[7:8], v[27:28]
	global_load_dwordx2 v[27:28], v[41:42], off
	global_load_dwordx2 v[29:30], v[43:44], off
	global_load_dwordx2 v[31:32], v[23:24], off
	s_waitcnt vmcnt(5)
	v_fma_f64 v[25:26], v[33:34], v[9:10], v[25:26]
	s_waitcnt vmcnt(4)
	v_fma_f64 v[7:8], v[45:46], v[9:10], v[7:8]
	;; [unrolled: 2-line block ×6, first 2 shown]
	s_andn2_b64 exec, exec, s[0:1]
	s_cbranch_execnz .LBB126_15
; %bb.16:
	s_or_b64 exec, exec, s[0:1]
.LBB126_17:
	s_or_b64 exec, exec, s[6:7]
.LBB126_18:
	v_mov_b32_dpp v6, v10 row_shr:1 row_mask:0xf bank_mask:0xf
	v_mov_b32_dpp v7, v11 row_shr:1 row_mask:0xf bank_mask:0xf
	v_add_f64 v[6:7], v[10:11], v[6:7]
	v_mov_b32_dpp v10, v8 row_shr:1 row_mask:0xf bank_mask:0xf
	v_mov_b32_dpp v11, v9 row_shr:1 row_mask:0xf bank_mask:0xf
	v_add_f64 v[10:11], v[8:9], v[10:11]
	v_cmp_eq_u32_e32 vcc, 3, v0
	v_mov_b32_dpp v8, v6 row_shr:2 row_mask:0xf bank_mask:0xf
	v_mov_b32_dpp v9, v7 row_shr:2 row_mask:0xf bank_mask:0xf
	;; [unrolled: 1-line block ×4, first 2 shown]
	s_and_b64 exec, exec, vcc
	s_cbranch_execz .LBB126_23
; %bb.19:
	v_add_f64 v[8:9], v[6:7], v[8:9]
	v_add_f64 v[6:7], v[10:11], v[12:13]
	v_cmp_eq_f64_e32 vcc, 0, v[3:4]
	s_load_dwordx2 s[0:1], s[4:5], 0x38
	s_and_saveexec_b64 s[2:3], vcc
	s_xor_b64 s[2:3], exec, s[2:3]
	s_cbranch_execz .LBB126_21
; %bb.20:
	v_mul_f64 v[3:4], v[1:2], v[8:9]
	v_lshlrev_b32_e32 v0, 1, v5
	v_mul_f64 v[5:6], v[1:2], v[6:7]
	v_ashrrev_i32_e32 v1, 31, v0
	v_lshlrev_b64 v[0:1], 3, v[0:1]
	s_waitcnt lgkmcnt(0)
	v_mov_b32_e32 v2, s1
	v_add_co_u32_e32 v0, vcc, s0, v0
	v_addc_co_u32_e32 v1, vcc, v2, v1, vcc
	global_store_dwordx4 v[0:1], v[3:6], off
                                        ; implicit-def: $vgpr5
                                        ; implicit-def: $vgpr1_vgpr2
                                        ; implicit-def: $vgpr8_vgpr9
                                        ; implicit-def: $vgpr3_vgpr4
                                        ; implicit-def: $vgpr6_vgpr7
.LBB126_21:
	s_andn2_saveexec_b64 s[2:3], s[2:3]
	s_cbranch_execz .LBB126_23
; %bb.22:
	v_lshlrev_b32_e32 v10, 1, v5
	v_ashrrev_i32_e32 v11, 31, v10
	v_lshlrev_b64 v[10:11], 3, v[10:11]
	s_waitcnt lgkmcnt(0)
	v_mov_b32_e32 v0, s1
	v_add_co_u32_e32 v14, vcc, s0, v10
	v_addc_co_u32_e32 v15, vcc, v0, v11, vcc
	global_load_dwordx4 v[10:13], v[14:15], off
	v_mul_f64 v[8:9], v[1:2], v[8:9]
	v_mul_f64 v[5:6], v[1:2], v[6:7]
	s_waitcnt vmcnt(0)
	v_fma_f64 v[0:1], v[3:4], v[10:11], v[8:9]
	v_fma_f64 v[2:3], v[3:4], v[12:13], v[5:6]
	global_store_dwordx4 v[14:15], v[0:3], off
.LBB126_23:
	s_endpgm
	.section	.rodata,"a",@progbits
	.p2align	6, 0x0
	.amdhsa_kernel _ZN9rocsparseL19gebsrmvn_2xn_kernelILj128ELj12ELj4EdEEvi20rocsparse_direction_NS_24const_host_device_scalarIT2_EEPKiS6_PKS3_S8_S4_PS3_21rocsparse_index_base_b
		.amdhsa_group_segment_fixed_size 0
		.amdhsa_private_segment_fixed_size 0
		.amdhsa_kernarg_size 72
		.amdhsa_user_sgpr_count 6
		.amdhsa_user_sgpr_private_segment_buffer 1
		.amdhsa_user_sgpr_dispatch_ptr 0
		.amdhsa_user_sgpr_queue_ptr 0
		.amdhsa_user_sgpr_kernarg_segment_ptr 1
		.amdhsa_user_sgpr_dispatch_id 0
		.amdhsa_user_sgpr_flat_scratch_init 0
		.amdhsa_user_sgpr_private_segment_size 0
		.amdhsa_uses_dynamic_stack 0
		.amdhsa_system_sgpr_private_segment_wavefront_offset 0
		.amdhsa_system_sgpr_workgroup_id_x 1
		.amdhsa_system_sgpr_workgroup_id_y 0
		.amdhsa_system_sgpr_workgroup_id_z 0
		.amdhsa_system_sgpr_workgroup_info 0
		.amdhsa_system_vgpr_workitem_id 0
		.amdhsa_next_free_vgpr 53
		.amdhsa_next_free_sgpr 16
		.amdhsa_reserve_vcc 1
		.amdhsa_reserve_flat_scratch 0
		.amdhsa_float_round_mode_32 0
		.amdhsa_float_round_mode_16_64 0
		.amdhsa_float_denorm_mode_32 3
		.amdhsa_float_denorm_mode_16_64 3
		.amdhsa_dx10_clamp 1
		.amdhsa_ieee_mode 1
		.amdhsa_fp16_overflow 0
		.amdhsa_exception_fp_ieee_invalid_op 0
		.amdhsa_exception_fp_denorm_src 0
		.amdhsa_exception_fp_ieee_div_zero 0
		.amdhsa_exception_fp_ieee_overflow 0
		.amdhsa_exception_fp_ieee_underflow 0
		.amdhsa_exception_fp_ieee_inexact 0
		.amdhsa_exception_int_div_zero 0
	.end_amdhsa_kernel
	.section	.text._ZN9rocsparseL19gebsrmvn_2xn_kernelILj128ELj12ELj4EdEEvi20rocsparse_direction_NS_24const_host_device_scalarIT2_EEPKiS6_PKS3_S8_S4_PS3_21rocsparse_index_base_b,"axG",@progbits,_ZN9rocsparseL19gebsrmvn_2xn_kernelILj128ELj12ELj4EdEEvi20rocsparse_direction_NS_24const_host_device_scalarIT2_EEPKiS6_PKS3_S8_S4_PS3_21rocsparse_index_base_b,comdat
.Lfunc_end126:
	.size	_ZN9rocsparseL19gebsrmvn_2xn_kernelILj128ELj12ELj4EdEEvi20rocsparse_direction_NS_24const_host_device_scalarIT2_EEPKiS6_PKS3_S8_S4_PS3_21rocsparse_index_base_b, .Lfunc_end126-_ZN9rocsparseL19gebsrmvn_2xn_kernelILj128ELj12ELj4EdEEvi20rocsparse_direction_NS_24const_host_device_scalarIT2_EEPKiS6_PKS3_S8_S4_PS3_21rocsparse_index_base_b
                                        ; -- End function
	.set _ZN9rocsparseL19gebsrmvn_2xn_kernelILj128ELj12ELj4EdEEvi20rocsparse_direction_NS_24const_host_device_scalarIT2_EEPKiS6_PKS3_S8_S4_PS3_21rocsparse_index_base_b.num_vgpr, 53
	.set _ZN9rocsparseL19gebsrmvn_2xn_kernelILj128ELj12ELj4EdEEvi20rocsparse_direction_NS_24const_host_device_scalarIT2_EEPKiS6_PKS3_S8_S4_PS3_21rocsparse_index_base_b.num_agpr, 0
	.set _ZN9rocsparseL19gebsrmvn_2xn_kernelILj128ELj12ELj4EdEEvi20rocsparse_direction_NS_24const_host_device_scalarIT2_EEPKiS6_PKS3_S8_S4_PS3_21rocsparse_index_base_b.numbered_sgpr, 16
	.set _ZN9rocsparseL19gebsrmvn_2xn_kernelILj128ELj12ELj4EdEEvi20rocsparse_direction_NS_24const_host_device_scalarIT2_EEPKiS6_PKS3_S8_S4_PS3_21rocsparse_index_base_b.num_named_barrier, 0
	.set _ZN9rocsparseL19gebsrmvn_2xn_kernelILj128ELj12ELj4EdEEvi20rocsparse_direction_NS_24const_host_device_scalarIT2_EEPKiS6_PKS3_S8_S4_PS3_21rocsparse_index_base_b.private_seg_size, 0
	.set _ZN9rocsparseL19gebsrmvn_2xn_kernelILj128ELj12ELj4EdEEvi20rocsparse_direction_NS_24const_host_device_scalarIT2_EEPKiS6_PKS3_S8_S4_PS3_21rocsparse_index_base_b.uses_vcc, 1
	.set _ZN9rocsparseL19gebsrmvn_2xn_kernelILj128ELj12ELj4EdEEvi20rocsparse_direction_NS_24const_host_device_scalarIT2_EEPKiS6_PKS3_S8_S4_PS3_21rocsparse_index_base_b.uses_flat_scratch, 0
	.set _ZN9rocsparseL19gebsrmvn_2xn_kernelILj128ELj12ELj4EdEEvi20rocsparse_direction_NS_24const_host_device_scalarIT2_EEPKiS6_PKS3_S8_S4_PS3_21rocsparse_index_base_b.has_dyn_sized_stack, 0
	.set _ZN9rocsparseL19gebsrmvn_2xn_kernelILj128ELj12ELj4EdEEvi20rocsparse_direction_NS_24const_host_device_scalarIT2_EEPKiS6_PKS3_S8_S4_PS3_21rocsparse_index_base_b.has_recursion, 0
	.set _ZN9rocsparseL19gebsrmvn_2xn_kernelILj128ELj12ELj4EdEEvi20rocsparse_direction_NS_24const_host_device_scalarIT2_EEPKiS6_PKS3_S8_S4_PS3_21rocsparse_index_base_b.has_indirect_call, 0
	.section	.AMDGPU.csdata,"",@progbits
; Kernel info:
; codeLenInByte = 2336
; TotalNumSgprs: 20
; NumVgprs: 53
; ScratchSize: 0
; MemoryBound: 1
; FloatMode: 240
; IeeeMode: 1
; LDSByteSize: 0 bytes/workgroup (compile time only)
; SGPRBlocks: 2
; VGPRBlocks: 13
; NumSGPRsForWavesPerEU: 20
; NumVGPRsForWavesPerEU: 53
; Occupancy: 4
; WaveLimiterHint : 1
; COMPUTE_PGM_RSRC2:SCRATCH_EN: 0
; COMPUTE_PGM_RSRC2:USER_SGPR: 6
; COMPUTE_PGM_RSRC2:TRAP_HANDLER: 0
; COMPUTE_PGM_RSRC2:TGID_X_EN: 1
; COMPUTE_PGM_RSRC2:TGID_Y_EN: 0
; COMPUTE_PGM_RSRC2:TGID_Z_EN: 0
; COMPUTE_PGM_RSRC2:TIDIG_COMP_CNT: 0
	.section	.text._ZN9rocsparseL19gebsrmvn_2xn_kernelILj128ELj12ELj8EdEEvi20rocsparse_direction_NS_24const_host_device_scalarIT2_EEPKiS6_PKS3_S8_S4_PS3_21rocsparse_index_base_b,"axG",@progbits,_ZN9rocsparseL19gebsrmvn_2xn_kernelILj128ELj12ELj8EdEEvi20rocsparse_direction_NS_24const_host_device_scalarIT2_EEPKiS6_PKS3_S8_S4_PS3_21rocsparse_index_base_b,comdat
	.globl	_ZN9rocsparseL19gebsrmvn_2xn_kernelILj128ELj12ELj8EdEEvi20rocsparse_direction_NS_24const_host_device_scalarIT2_EEPKiS6_PKS3_S8_S4_PS3_21rocsparse_index_base_b ; -- Begin function _ZN9rocsparseL19gebsrmvn_2xn_kernelILj128ELj12ELj8EdEEvi20rocsparse_direction_NS_24const_host_device_scalarIT2_EEPKiS6_PKS3_S8_S4_PS3_21rocsparse_index_base_b
	.p2align	8
	.type	_ZN9rocsparseL19gebsrmvn_2xn_kernelILj128ELj12ELj8EdEEvi20rocsparse_direction_NS_24const_host_device_scalarIT2_EEPKiS6_PKS3_S8_S4_PS3_21rocsparse_index_base_b,@function
_ZN9rocsparseL19gebsrmvn_2xn_kernelILj128ELj12ELj8EdEEvi20rocsparse_direction_NS_24const_host_device_scalarIT2_EEPKiS6_PKS3_S8_S4_PS3_21rocsparse_index_base_b: ; @_ZN9rocsparseL19gebsrmvn_2xn_kernelILj128ELj12ELj8EdEEvi20rocsparse_direction_NS_24const_host_device_scalarIT2_EEPKiS6_PKS3_S8_S4_PS3_21rocsparse_index_base_b
; %bb.0:
	s_load_dwordx2 s[2:3], s[4:5], 0x40
	s_load_dwordx2 s[10:11], s[4:5], 0x8
	;; [unrolled: 1-line block ×3, first 2 shown]
	s_waitcnt lgkmcnt(0)
	s_bitcmp1_b32 s3, 0
	s_cselect_b64 s[12:13], -1, 0
	v_mov_b32_e32 v1, s10
	s_xor_b64 s[8:9], s[12:13], -1
	s_and_b64 vcc, exec, s[12:13]
	v_mov_b32_e32 v2, s11
	s_cbranch_vccnz .LBB127_2
; %bb.1:
	v_mov_b32_e32 v1, s10
	v_mov_b32_e32 v2, s11
	flat_load_dwordx2 v[1:2], v[1:2]
.LBB127_2:
	v_mov_b32_e32 v4, s1
	s_andn2_b64 vcc, exec, s[8:9]
	v_mov_b32_e32 v3, s0
	s_cbranch_vccnz .LBB127_4
; %bb.3:
	v_mov_b32_e32 v4, s1
	v_mov_b32_e32 v3, s0
	flat_load_dwordx2 v[3:4], v[3:4]
.LBB127_4:
	s_waitcnt vmcnt(0) lgkmcnt(0)
	v_cmp_neq_f64_e32 vcc, 0, v[1:2]
	v_cmp_neq_f64_e64 s[0:1], 1.0, v[3:4]
	s_or_b64 s[0:1], vcc, s[0:1]
	s_and_saveexec_b64 s[8:9], s[0:1]
	s_cbranch_execz .LBB127_23
; %bb.5:
	s_load_dwordx2 s[0:1], s[4:5], 0x0
	v_lshrrev_b32_e32 v5, 3, v0
	v_lshl_or_b32 v5, s6, 4, v5
	s_waitcnt lgkmcnt(0)
	v_cmp_gt_i32_e32 vcc, s0, v5
	s_and_b64 exec, exec, vcc
	s_cbranch_execz .LBB127_23
; %bb.6:
	s_load_dwordx8 s[8:15], s[4:5], 0x10
	v_ashrrev_i32_e32 v6, 31, v5
	v_lshlrev_b64 v[6:7], 2, v[5:6]
	v_and_b32_e32 v0, 7, v0
	s_cmp_lg_u32 s1, 0
	s_waitcnt lgkmcnt(0)
	v_mov_b32_e32 v8, s9
	v_add_co_u32_e32 v6, vcc, s8, v6
	v_addc_co_u32_e32 v7, vcc, v8, v7, vcc
	global_load_dwordx2 v[6:7], v[6:7], off
	s_waitcnt vmcnt(0)
	v_subrev_u32_e32 v6, s2, v6
	v_subrev_u32_e32 v18, s2, v7
	v_add_u32_e32 v6, v6, v0
	v_cmp_lt_i32_e64 s[0:1], v6, v18
	s_cbranch_scc0 .LBB127_12
; %bb.7:
	v_mov_b32_e32 v10, 0
	v_mov_b32_e32 v8, 0
	;; [unrolled: 1-line block ×4, first 2 shown]
	s_and_saveexec_b64 s[6:7], s[0:1]
	s_cbranch_execz .LBB127_11
; %bb.8:
	v_mad_u64_u32 v[12:13], s[8:9], v6, 24, 22
	v_mov_b32_e32 v10, 0
	v_mov_b32_e32 v8, 0
	;; [unrolled: 1-line block ×3, first 2 shown]
	s_mov_b64 s[8:9], 0
	v_mov_b32_e32 v7, s11
	v_mov_b32_e32 v15, 0
	;; [unrolled: 1-line block ×6, first 2 shown]
.LBB127_9:                              ; =>This Inner Loop Header: Depth=1
	v_ashrrev_i32_e32 v17, 31, v16
	v_lshlrev_b64 v[21:22], 2, v[16:17]
	v_subrev_u32_e32 v14, 22, v12
	v_lshlrev_b64 v[23:24], 3, v[14:15]
	v_add_co_u32_e32 v37, vcc, s10, v21
	v_mov_b32_e32 v13, v15
	v_addc_co_u32_e32 v38, vcc, v7, v22, vcc
	v_lshlrev_b64 v[25:26], 3, v[12:13]
	v_add_co_u32_e32 v39, vcc, s12, v23
	v_addc_co_u32_e32 v40, vcc, v19, v24, vcc
	v_add_co_u32_e32 v47, vcc, s12, v25
	v_addc_co_u32_e32 v48, vcc, v19, v26, vcc
	global_load_dword v17, v[37:38], off
	global_load_dwordx4 v[21:24], v[39:40], off
	global_load_dwordx4 v[25:28], v[39:40], off offset:16
	global_load_dwordx4 v[29:32], v[39:40], off offset:32
	;; [unrolled: 1-line block ×3, first 2 shown]
	v_add_u32_e32 v14, -14, v12
	v_lshlrev_b64 v[13:14], 3, v[14:15]
	v_mov_b32_e32 v46, v15
	v_add_co_u32_e32 v13, vcc, s12, v13
	v_addc_co_u32_e32 v14, vcc, v19, v14, vcc
	v_add_u32_e32 v16, 8, v16
	s_waitcnt vmcnt(4)
	v_subrev_u32_e32 v17, s2, v17
	v_mul_lo_u32 v45, v17, 12
	v_lshlrev_b64 v[37:38], 3, v[45:46]
	v_add_co_u32_e32 v49, vcc, s14, v37
	v_addc_co_u32_e32 v50, vcc, v20, v38, vcc
	global_load_dwordx4 v[37:40], v[49:50], off
	global_load_dwordx4 v[41:44], v[49:50], off offset:16
	s_waitcnt vmcnt(1)
	v_fma_f64 v[21:22], v[21:22], v[37:38], v[10:11]
	v_fma_f64 v[23:24], v[23:24], v[37:38], v[8:9]
	global_load_dwordx4 v[8:11], v[13:14], off
	v_add_u32_e32 v14, 4, v45
	v_lshlrev_b64 v[37:38], 3, v[14:15]
	v_add_u32_e32 v14, -12, v12
	v_add_co_u32_e32 v37, vcc, s14, v37
	v_fma_f64 v[25:26], v[25:26], v[39:40], v[21:22]
	v_fma_f64 v[27:28], v[27:28], v[39:40], v[23:24]
	v_lshlrev_b64 v[21:22], 3, v[14:15]
	v_addc_co_u32_e32 v38, vcc, v20, v38, vcc
	v_add_co_u32_e32 v49, vcc, s12, v21
	v_addc_co_u32_e32 v50, vcc, v19, v22, vcc
	global_load_dwordx4 v[21:24], v[37:38], off
	s_waitcnt vmcnt(2)
	v_fma_f64 v[29:30], v[29:30], v[41:42], v[25:26]
	v_fma_f64 v[31:32], v[31:32], v[41:42], v[27:28]
	v_add_u32_e32 v14, -10, v12
	v_lshlrev_b64 v[39:40], 3, v[14:15]
	global_load_dwordx4 v[25:28], v[37:38], off offset:16
	v_add_u32_e32 v14, -8, v12
	v_lshlrev_b64 v[37:38], 3, v[14:15]
	v_add_u32_e32 v14, -6, v12
	v_fma_f64 v[41:42], v[33:34], v[43:44], v[29:30]
	v_fma_f64 v[43:44], v[35:36], v[43:44], v[31:32]
	global_load_dwordx4 v[29:32], v[49:50], off
	v_add_co_u32_e32 v33, vcc, s12, v39
	v_addc_co_u32_e32 v34, vcc, v19, v40, vcc
	global_load_dwordx4 v[33:36], v[33:34], off
	v_lshlrev_b64 v[39:40], 3, v[14:15]
	v_add_co_u32_e32 v37, vcc, s12, v37
	v_addc_co_u32_e32 v38, vcc, v19, v38, vcc
	v_add_co_u32_e32 v49, vcc, s12, v39
	v_addc_co_u32_e32 v50, vcc, v19, v40, vcc
	global_load_dwordx4 v[37:40], v[37:38], off
	v_add_u32_e32 v14, 8, v45
	v_lshlrev_b64 v[45:46], 3, v[14:15]
	v_add_u32_e32 v14, -4, v12
	v_add_co_u32_e32 v45, vcc, s14, v45
	v_addc_co_u32_e32 v46, vcc, v20, v46, vcc
	s_waitcnt vmcnt(4)
	v_fma_f64 v[41:42], v[8:9], v[21:22], v[41:42]
	v_fma_f64 v[21:22], v[10:11], v[21:22], v[43:44]
	global_load_dwordx4 v[8:11], v[49:50], off
	v_lshlrev_b64 v[43:44], 3, v[14:15]
	v_add_u32_e32 v14, -2, v12
	v_lshlrev_b64 v[13:14], 3, v[14:15]
	v_add_u32_e32 v12, 0xc0, v12
	s_waitcnt vmcnt(3)
	v_fma_f64 v[41:42], v[29:30], v[23:24], v[41:42]
	v_fma_f64 v[49:50], v[31:32], v[23:24], v[21:22]
	global_load_dwordx4 v[21:24], v[45:46], off
	v_add_co_u32_e32 v29, vcc, s12, v43
	v_addc_co_u32_e32 v30, vcc, v19, v44, vcc
	global_load_dwordx4 v[29:32], v[29:30], off
	v_add_co_u32_e32 v13, vcc, s12, v13
	v_addc_co_u32_e32 v14, vcc, v19, v14, vcc
	s_waitcnt vmcnt(4)
	v_fma_f64 v[51:52], v[33:34], v[25:26], v[41:42]
	v_fma_f64 v[25:26], v[35:36], v[25:26], v[49:50]
	global_load_dwordx4 v[33:36], v[45:46], off offset:16
	global_load_dwordx4 v[41:44], v[13:14], off
	v_cmp_ge_i32_e32 vcc, v16, v18
	s_or_b64 s[8:9], vcc, s[8:9]
	s_waitcnt vmcnt(5)
	v_fma_f64 v[13:14], v[37:38], v[27:28], v[51:52]
	v_fma_f64 v[37:38], v[39:40], v[27:28], v[25:26]
	global_load_dwordx4 v[25:28], v[47:48], off
	s_waitcnt vmcnt(4)
	v_fma_f64 v[8:9], v[8:9], v[21:22], v[13:14]
	v_fma_f64 v[10:11], v[10:11], v[21:22], v[37:38]
	s_waitcnt vmcnt(3)
	v_fma_f64 v[8:9], v[29:30], v[23:24], v[8:9]
	v_fma_f64 v[10:11], v[31:32], v[23:24], v[10:11]
	s_waitcnt vmcnt(1)
	v_fma_f64 v[8:9], v[41:42], v[33:34], v[8:9]
	v_fma_f64 v[13:14], v[43:44], v[33:34], v[10:11]
	s_waitcnt vmcnt(0)
	v_fma_f64 v[10:11], v[25:26], v[35:36], v[8:9]
	v_fma_f64 v[8:9], v[27:28], v[35:36], v[13:14]
	s_andn2_b64 exec, exec, s[8:9]
	s_cbranch_execnz .LBB127_9
; %bb.10:
	s_or_b64 exec, exec, s[8:9]
.LBB127_11:
	s_or_b64 exec, exec, s[6:7]
	s_cbranch_execz .LBB127_13
	s_branch .LBB127_18
.LBB127_12:
                                        ; implicit-def: $vgpr10_vgpr11
                                        ; implicit-def: $vgpr8_vgpr9
.LBB127_13:
	v_mov_b32_e32 v10, 0
	v_mov_b32_e32 v8, 0
	;; [unrolled: 1-line block ×4, first 2 shown]
	s_and_saveexec_b64 s[6:7], s[0:1]
	s_cbranch_execz .LBB127_17
; %bb.14:
	v_mad_u64_u32 v[12:13], s[0:1], v6, 24, 23
	v_mov_b32_e32 v10, 0
	v_mov_b32_e32 v8, 0
	;; [unrolled: 1-line block ×3, first 2 shown]
	s_mov_b64 s[0:1], 0
	v_mov_b32_e32 v15, s11
	v_mov_b32_e32 v14, 0
	;; [unrolled: 1-line block ×5, first 2 shown]
.LBB127_15:                             ; =>This Inner Loop Header: Depth=1
	v_ashrrev_i32_e32 v7, 31, v6
	v_lshlrev_b64 v[19:20], 2, v[6:7]
	v_subrev_u32_e32 v13, 23, v12
	v_lshlrev_b64 v[21:22], 3, v[13:14]
	v_add_co_u32_e32 v27, vcc, s10, v19
	v_addc_co_u32_e32 v28, vcc, v15, v20, vcc
	v_add_co_u32_e32 v37, vcc, s12, v21
	v_addc_co_u32_e32 v38, vcc, v16, v22, vcc
	global_load_dword v7, v[27:28], off
	global_load_dwordx4 v[19:22], v[37:38], off
	global_load_dwordx4 v[23:26], v[37:38], off offset:16
	v_mov_b32_e32 v36, v14
	v_add_u32_e32 v13, -10, v12
	v_add_u32_e32 v6, 8, v6
	s_waitcnt vmcnt(2)
	v_subrev_u32_e32 v7, s2, v7
	v_mul_lo_u32 v35, v7, 12
	v_lshlrev_b64 v[27:28], 3, v[35:36]
	v_add_co_u32_e32 v39, vcc, s14, v27
	v_addc_co_u32_e32 v40, vcc, v17, v28, vcc
	global_load_dwordx4 v[27:30], v[39:40], off
	global_load_dwordx4 v[31:34], v[39:40], off offset:16
	s_waitcnt vmcnt(1)
	v_fma_f64 v[10:11], v[19:20], v[27:28], v[10:11]
	v_add_u32_e32 v19, -11, v12
	v_mov_b32_e32 v20, v14
	v_lshlrev_b64 v[19:20], 3, v[19:20]
	v_add_co_u32_e32 v19, vcc, s12, v19
	v_addc_co_u32_e32 v20, vcc, v16, v20, vcc
	v_fma_f64 v[10:11], v[21:22], v[29:30], v[10:11]
	v_lshlrev_b64 v[21:22], 3, v[13:14]
	v_add_u32_e32 v13, -9, v12
	v_add_co_u32_e32 v21, vcc, s12, v21
	v_lshlrev_b64 v[39:40], 3, v[13:14]
	v_addc_co_u32_e32 v22, vcc, v16, v22, vcc
	v_add_u32_e32 v13, -8, v12
	v_add_co_u32_e32 v39, vcc, s12, v39
	v_lshlrev_b64 v[41:42], 3, v[13:14]
	v_addc_co_u32_e32 v40, vcc, v16, v40, vcc
	v_add_co_u32_e32 v41, vcc, s12, v41
	v_addc_co_u32_e32 v42, vcc, v16, v42, vcc
	global_load_dwordx2 v[43:44], v[19:20], off
	global_load_dwordx2 v[45:46], v[21:22], off
	;; [unrolled: 1-line block ×4, first 2 shown]
	v_add_u32_e32 v13, 4, v35
	s_waitcnt vmcnt(3)
	v_fma_f64 v[7:8], v[43:44], v[27:28], v[8:9]
	s_waitcnt vmcnt(2)
	v_fma_f64 v[19:20], v[45:46], v[29:30], v[7:8]
	v_lshlrev_b64 v[7:8], 3, v[13:14]
	v_add_u32_e32 v13, -7, v12
	v_add_co_u32_e32 v39, vcc, s14, v7
	v_addc_co_u32_e32 v40, vcc, v17, v8, vcc
	v_fma_f64 v[7:8], v[23:24], v[31:32], v[10:11]
	s_waitcnt vmcnt(1)
	v_fma_f64 v[23:24], v[47:48], v[31:32], v[19:20]
	global_load_dwordx4 v[19:22], v[37:38], off offset:48
	v_fma_f64 v[41:42], v[25:26], v[33:34], v[7:8]
	global_load_dwordx4 v[7:10], v[37:38], off offset:32
	s_waitcnt vmcnt(2)
	v_fma_f64 v[31:32], v[49:50], v[33:34], v[23:24]
	global_load_dwordx4 v[23:26], v[39:40], off
	global_load_dwordx4 v[27:30], v[39:40], off offset:16
	s_waitcnt vmcnt(1)
	v_fma_f64 v[7:8], v[7:8], v[23:24], v[41:42]
	v_fma_f64 v[7:8], v[9:10], v[25:26], v[7:8]
	v_lshlrev_b64 v[9:10], 3, v[13:14]
	v_add_u32_e32 v13, -6, v12
	v_add_co_u32_e32 v9, vcc, s12, v9
	v_lshlrev_b64 v[33:34], 3, v[13:14]
	v_addc_co_u32_e32 v10, vcc, v16, v10, vcc
	v_add_u32_e32 v13, -5, v12
	v_add_co_u32_e32 v33, vcc, s12, v33
	v_lshlrev_b64 v[36:37], 3, v[13:14]
	v_addc_co_u32_e32 v34, vcc, v16, v34, vcc
	;; [unrolled: 4-line block ×3, first 2 shown]
	v_add_co_u32_e32 v38, vcc, s12, v38
	v_addc_co_u32_e32 v39, vcc, v16, v39, vcc
	global_load_dwordx2 v[40:41], v[9:10], off
	global_load_dwordx2 v[42:43], v[33:34], off
	global_load_dwordx2 v[44:45], v[36:37], off
	global_load_dwordx2 v[46:47], v[38:39], off
	s_waitcnt vmcnt(4)
	v_fma_f64 v[7:8], v[19:20], v[27:28], v[7:8]
	v_mov_b32_e32 v13, v14
	v_fma_f64 v[33:34], v[21:22], v[29:30], v[7:8]
	s_waitcnt vmcnt(3)
	v_fma_f64 v[9:10], v[40:41], v[23:24], v[31:32]
	v_lshlrev_b64 v[23:24], 3, v[12:13]
	v_add_u32_e32 v13, -15, v12
	v_add_co_u32_e32 v23, vcc, s12, v23
	v_addc_co_u32_e32 v24, vcc, v16, v24, vcc
	s_waitcnt vmcnt(2)
	v_fma_f64 v[9:10], v[42:43], v[25:26], v[9:10]
	v_lshlrev_b64 v[25:26], 3, v[13:14]
	v_add_u32_e32 v13, 8, v35
	v_add_co_u32_e32 v25, vcc, s12, v25
	v_lshlrev_b64 v[31:32], 3, v[13:14]
	v_addc_co_u32_e32 v26, vcc, v16, v26, vcc
	v_add_u32_e32 v13, -3, v12
	v_lshlrev_b64 v[7:8], 3, v[13:14]
	v_add_co_u32_e32 v31, vcc, s14, v31
	v_addc_co_u32_e32 v32, vcc, v17, v32, vcc
	v_add_u32_e32 v13, -14, v12
	v_add_co_u32_e32 v35, vcc, s12, v7
	v_addc_co_u32_e32 v36, vcc, v16, v8, vcc
	v_lshlrev_b64 v[7:8], 3, v[13:14]
	v_add_u32_e32 v13, -2, v12
	v_add_co_u32_e32 v37, vcc, s12, v7
	v_addc_co_u32_e32 v38, vcc, v16, v8, vcc
	s_waitcnt vmcnt(1)
	v_fma_f64 v[7:8], v[44:45], v[27:28], v[9:10]
	v_lshlrev_b64 v[9:10], 3, v[13:14]
	v_add_u32_e32 v13, -13, v12
	s_waitcnt vmcnt(0)
	v_fma_f64 v[27:28], v[46:47], v[29:30], v[7:8]
	v_lshlrev_b64 v[7:8], 3, v[13:14]
	v_add_co_u32_e32 v29, vcc, s12, v9
	v_add_u32_e32 v13, -1, v12
	v_addc_co_u32_e32 v30, vcc, v16, v10, vcc
	v_lshlrev_b64 v[9:10], 3, v[13:14]
	v_add_co_u32_e32 v39, vcc, s12, v7
	v_add_u32_e32 v13, -12, v12
	v_addc_co_u32_e32 v40, vcc, v16, v8, vcc
	v_add_co_u32_e32 v41, vcc, s12, v9
	v_lshlrev_b64 v[7:8], 3, v[13:14]
	v_addc_co_u32_e32 v42, vcc, v16, v10, vcc
	v_add_co_u32_e32 v43, vcc, s12, v7
	v_addc_co_u32_e32 v44, vcc, v16, v8, vcc
	global_load_dwordx2 v[45:46], v[25:26], off
	global_load_dwordx4 v[7:10], v[31:32], off
	global_load_dwordx4 v[19:22], v[31:32], off offset:16
	v_cmp_ge_i32_e32 vcc, v6, v18
	s_or_b64 s[0:1], vcc, s[0:1]
	v_add_u32_e32 v12, 0xc0, v12
	s_waitcnt vmcnt(1)
	v_fma_f64 v[25:26], v[45:46], v[7:8], v[33:34]
	global_load_dwordx2 v[31:32], v[35:36], off
	global_load_dwordx2 v[33:34], v[37:38], off
	;; [unrolled: 1-line block ×4, first 2 shown]
	s_waitcnt vmcnt(3)
	v_fma_f64 v[7:8], v[31:32], v[7:8], v[27:28]
	global_load_dwordx2 v[27:28], v[41:42], off
	global_load_dwordx2 v[29:30], v[43:44], off
	global_load_dwordx2 v[31:32], v[23:24], off
	s_waitcnt vmcnt(5)
	v_fma_f64 v[25:26], v[33:34], v[9:10], v[25:26]
	s_waitcnt vmcnt(4)
	v_fma_f64 v[7:8], v[45:46], v[9:10], v[7:8]
	;; [unrolled: 2-line block ×6, first 2 shown]
	s_andn2_b64 exec, exec, s[0:1]
	s_cbranch_execnz .LBB127_15
; %bb.16:
	s_or_b64 exec, exec, s[0:1]
.LBB127_17:
	s_or_b64 exec, exec, s[6:7]
.LBB127_18:
	v_mov_b32_dpp v6, v10 row_shr:1 row_mask:0xf bank_mask:0xf
	v_mov_b32_dpp v7, v11 row_shr:1 row_mask:0xf bank_mask:0xf
	v_add_f64 v[6:7], v[10:11], v[6:7]
	v_mov_b32_dpp v10, v8 row_shr:1 row_mask:0xf bank_mask:0xf
	v_mov_b32_dpp v11, v9 row_shr:1 row_mask:0xf bank_mask:0xf
	v_add_f64 v[8:9], v[8:9], v[10:11]
	v_cmp_eq_u32_e32 vcc, 7, v0
	v_mov_b32_dpp v10, v6 row_shr:2 row_mask:0xf bank_mask:0xf
	v_mov_b32_dpp v11, v7 row_shr:2 row_mask:0xf bank_mask:0xf
	v_add_f64 v[6:7], v[6:7], v[10:11]
	v_mov_b32_dpp v12, v8 row_shr:2 row_mask:0xf bank_mask:0xf
	v_mov_b32_dpp v13, v9 row_shr:2 row_mask:0xf bank_mask:0xf
	v_add_f64 v[10:11], v[8:9], v[12:13]
	v_mov_b32_dpp v8, v6 row_shr:4 row_mask:0xf bank_mask:0xe
	v_mov_b32_dpp v9, v7 row_shr:4 row_mask:0xf bank_mask:0xe
	;; [unrolled: 1-line block ×4, first 2 shown]
	s_and_b64 exec, exec, vcc
	s_cbranch_execz .LBB127_23
; %bb.19:
	v_add_f64 v[8:9], v[6:7], v[8:9]
	v_add_f64 v[6:7], v[10:11], v[12:13]
	v_cmp_eq_f64_e32 vcc, 0, v[3:4]
	s_load_dwordx2 s[0:1], s[4:5], 0x38
	s_and_saveexec_b64 s[2:3], vcc
	s_xor_b64 s[2:3], exec, s[2:3]
	s_cbranch_execz .LBB127_21
; %bb.20:
	v_mul_f64 v[3:4], v[1:2], v[8:9]
	v_lshlrev_b32_e32 v0, 1, v5
	v_mul_f64 v[5:6], v[1:2], v[6:7]
	v_ashrrev_i32_e32 v1, 31, v0
	v_lshlrev_b64 v[0:1], 3, v[0:1]
	s_waitcnt lgkmcnt(0)
	v_mov_b32_e32 v2, s1
	v_add_co_u32_e32 v0, vcc, s0, v0
	v_addc_co_u32_e32 v1, vcc, v2, v1, vcc
	global_store_dwordx4 v[0:1], v[3:6], off
                                        ; implicit-def: $vgpr5
                                        ; implicit-def: $vgpr1_vgpr2
                                        ; implicit-def: $vgpr8_vgpr9
                                        ; implicit-def: $vgpr3_vgpr4
                                        ; implicit-def: $vgpr6_vgpr7
.LBB127_21:
	s_andn2_saveexec_b64 s[2:3], s[2:3]
	s_cbranch_execz .LBB127_23
; %bb.22:
	v_lshlrev_b32_e32 v10, 1, v5
	v_ashrrev_i32_e32 v11, 31, v10
	v_lshlrev_b64 v[10:11], 3, v[10:11]
	s_waitcnt lgkmcnt(0)
	v_mov_b32_e32 v0, s1
	v_add_co_u32_e32 v14, vcc, s0, v10
	v_addc_co_u32_e32 v15, vcc, v0, v11, vcc
	global_load_dwordx4 v[10:13], v[14:15], off
	v_mul_f64 v[8:9], v[1:2], v[8:9]
	v_mul_f64 v[5:6], v[1:2], v[6:7]
	s_waitcnt vmcnt(0)
	v_fma_f64 v[0:1], v[3:4], v[10:11], v[8:9]
	v_fma_f64 v[2:3], v[3:4], v[12:13], v[5:6]
	global_store_dwordx4 v[14:15], v[0:3], off
.LBB127_23:
	s_endpgm
	.section	.rodata,"a",@progbits
	.p2align	6, 0x0
	.amdhsa_kernel _ZN9rocsparseL19gebsrmvn_2xn_kernelILj128ELj12ELj8EdEEvi20rocsparse_direction_NS_24const_host_device_scalarIT2_EEPKiS6_PKS3_S8_S4_PS3_21rocsparse_index_base_b
		.amdhsa_group_segment_fixed_size 0
		.amdhsa_private_segment_fixed_size 0
		.amdhsa_kernarg_size 72
		.amdhsa_user_sgpr_count 6
		.amdhsa_user_sgpr_private_segment_buffer 1
		.amdhsa_user_sgpr_dispatch_ptr 0
		.amdhsa_user_sgpr_queue_ptr 0
		.amdhsa_user_sgpr_kernarg_segment_ptr 1
		.amdhsa_user_sgpr_dispatch_id 0
		.amdhsa_user_sgpr_flat_scratch_init 0
		.amdhsa_user_sgpr_private_segment_size 0
		.amdhsa_uses_dynamic_stack 0
		.amdhsa_system_sgpr_private_segment_wavefront_offset 0
		.amdhsa_system_sgpr_workgroup_id_x 1
		.amdhsa_system_sgpr_workgroup_id_y 0
		.amdhsa_system_sgpr_workgroup_id_z 0
		.amdhsa_system_sgpr_workgroup_info 0
		.amdhsa_system_vgpr_workitem_id 0
		.amdhsa_next_free_vgpr 53
		.amdhsa_next_free_sgpr 16
		.amdhsa_reserve_vcc 1
		.amdhsa_reserve_flat_scratch 0
		.amdhsa_float_round_mode_32 0
		.amdhsa_float_round_mode_16_64 0
		.amdhsa_float_denorm_mode_32 3
		.amdhsa_float_denorm_mode_16_64 3
		.amdhsa_dx10_clamp 1
		.amdhsa_ieee_mode 1
		.amdhsa_fp16_overflow 0
		.amdhsa_exception_fp_ieee_invalid_op 0
		.amdhsa_exception_fp_denorm_src 0
		.amdhsa_exception_fp_ieee_div_zero 0
		.amdhsa_exception_fp_ieee_overflow 0
		.amdhsa_exception_fp_ieee_underflow 0
		.amdhsa_exception_fp_ieee_inexact 0
		.amdhsa_exception_int_div_zero 0
	.end_amdhsa_kernel
	.section	.text._ZN9rocsparseL19gebsrmvn_2xn_kernelILj128ELj12ELj8EdEEvi20rocsparse_direction_NS_24const_host_device_scalarIT2_EEPKiS6_PKS3_S8_S4_PS3_21rocsparse_index_base_b,"axG",@progbits,_ZN9rocsparseL19gebsrmvn_2xn_kernelILj128ELj12ELj8EdEEvi20rocsparse_direction_NS_24const_host_device_scalarIT2_EEPKiS6_PKS3_S8_S4_PS3_21rocsparse_index_base_b,comdat
.Lfunc_end127:
	.size	_ZN9rocsparseL19gebsrmvn_2xn_kernelILj128ELj12ELj8EdEEvi20rocsparse_direction_NS_24const_host_device_scalarIT2_EEPKiS6_PKS3_S8_S4_PS3_21rocsparse_index_base_b, .Lfunc_end127-_ZN9rocsparseL19gebsrmvn_2xn_kernelILj128ELj12ELj8EdEEvi20rocsparse_direction_NS_24const_host_device_scalarIT2_EEPKiS6_PKS3_S8_S4_PS3_21rocsparse_index_base_b
                                        ; -- End function
	.set _ZN9rocsparseL19gebsrmvn_2xn_kernelILj128ELj12ELj8EdEEvi20rocsparse_direction_NS_24const_host_device_scalarIT2_EEPKiS6_PKS3_S8_S4_PS3_21rocsparse_index_base_b.num_vgpr, 53
	.set _ZN9rocsparseL19gebsrmvn_2xn_kernelILj128ELj12ELj8EdEEvi20rocsparse_direction_NS_24const_host_device_scalarIT2_EEPKiS6_PKS3_S8_S4_PS3_21rocsparse_index_base_b.num_agpr, 0
	.set _ZN9rocsparseL19gebsrmvn_2xn_kernelILj128ELj12ELj8EdEEvi20rocsparse_direction_NS_24const_host_device_scalarIT2_EEPKiS6_PKS3_S8_S4_PS3_21rocsparse_index_base_b.numbered_sgpr, 16
	.set _ZN9rocsparseL19gebsrmvn_2xn_kernelILj128ELj12ELj8EdEEvi20rocsparse_direction_NS_24const_host_device_scalarIT2_EEPKiS6_PKS3_S8_S4_PS3_21rocsparse_index_base_b.num_named_barrier, 0
	.set _ZN9rocsparseL19gebsrmvn_2xn_kernelILj128ELj12ELj8EdEEvi20rocsparse_direction_NS_24const_host_device_scalarIT2_EEPKiS6_PKS3_S8_S4_PS3_21rocsparse_index_base_b.private_seg_size, 0
	.set _ZN9rocsparseL19gebsrmvn_2xn_kernelILj128ELj12ELj8EdEEvi20rocsparse_direction_NS_24const_host_device_scalarIT2_EEPKiS6_PKS3_S8_S4_PS3_21rocsparse_index_base_b.uses_vcc, 1
	.set _ZN9rocsparseL19gebsrmvn_2xn_kernelILj128ELj12ELj8EdEEvi20rocsparse_direction_NS_24const_host_device_scalarIT2_EEPKiS6_PKS3_S8_S4_PS3_21rocsparse_index_base_b.uses_flat_scratch, 0
	.set _ZN9rocsparseL19gebsrmvn_2xn_kernelILj128ELj12ELj8EdEEvi20rocsparse_direction_NS_24const_host_device_scalarIT2_EEPKiS6_PKS3_S8_S4_PS3_21rocsparse_index_base_b.has_dyn_sized_stack, 0
	.set _ZN9rocsparseL19gebsrmvn_2xn_kernelILj128ELj12ELj8EdEEvi20rocsparse_direction_NS_24const_host_device_scalarIT2_EEPKiS6_PKS3_S8_S4_PS3_21rocsparse_index_base_b.has_recursion, 0
	.set _ZN9rocsparseL19gebsrmvn_2xn_kernelILj128ELj12ELj8EdEEvi20rocsparse_direction_NS_24const_host_device_scalarIT2_EEPKiS6_PKS3_S8_S4_PS3_21rocsparse_index_base_b.has_indirect_call, 0
	.section	.AMDGPU.csdata,"",@progbits
; Kernel info:
; codeLenInByte = 2384
; TotalNumSgprs: 20
; NumVgprs: 53
; ScratchSize: 0
; MemoryBound: 1
; FloatMode: 240
; IeeeMode: 1
; LDSByteSize: 0 bytes/workgroup (compile time only)
; SGPRBlocks: 2
; VGPRBlocks: 13
; NumSGPRsForWavesPerEU: 20
; NumVGPRsForWavesPerEU: 53
; Occupancy: 4
; WaveLimiterHint : 1
; COMPUTE_PGM_RSRC2:SCRATCH_EN: 0
; COMPUTE_PGM_RSRC2:USER_SGPR: 6
; COMPUTE_PGM_RSRC2:TRAP_HANDLER: 0
; COMPUTE_PGM_RSRC2:TGID_X_EN: 1
; COMPUTE_PGM_RSRC2:TGID_Y_EN: 0
; COMPUTE_PGM_RSRC2:TGID_Z_EN: 0
; COMPUTE_PGM_RSRC2:TIDIG_COMP_CNT: 0
	.section	.text._ZN9rocsparseL19gebsrmvn_2xn_kernelILj128ELj12ELj16EdEEvi20rocsparse_direction_NS_24const_host_device_scalarIT2_EEPKiS6_PKS3_S8_S4_PS3_21rocsparse_index_base_b,"axG",@progbits,_ZN9rocsparseL19gebsrmvn_2xn_kernelILj128ELj12ELj16EdEEvi20rocsparse_direction_NS_24const_host_device_scalarIT2_EEPKiS6_PKS3_S8_S4_PS3_21rocsparse_index_base_b,comdat
	.globl	_ZN9rocsparseL19gebsrmvn_2xn_kernelILj128ELj12ELj16EdEEvi20rocsparse_direction_NS_24const_host_device_scalarIT2_EEPKiS6_PKS3_S8_S4_PS3_21rocsparse_index_base_b ; -- Begin function _ZN9rocsparseL19gebsrmvn_2xn_kernelILj128ELj12ELj16EdEEvi20rocsparse_direction_NS_24const_host_device_scalarIT2_EEPKiS6_PKS3_S8_S4_PS3_21rocsparse_index_base_b
	.p2align	8
	.type	_ZN9rocsparseL19gebsrmvn_2xn_kernelILj128ELj12ELj16EdEEvi20rocsparse_direction_NS_24const_host_device_scalarIT2_EEPKiS6_PKS3_S8_S4_PS3_21rocsparse_index_base_b,@function
_ZN9rocsparseL19gebsrmvn_2xn_kernelILj128ELj12ELj16EdEEvi20rocsparse_direction_NS_24const_host_device_scalarIT2_EEPKiS6_PKS3_S8_S4_PS3_21rocsparse_index_base_b: ; @_ZN9rocsparseL19gebsrmvn_2xn_kernelILj128ELj12ELj16EdEEvi20rocsparse_direction_NS_24const_host_device_scalarIT2_EEPKiS6_PKS3_S8_S4_PS3_21rocsparse_index_base_b
; %bb.0:
	s_load_dwordx2 s[2:3], s[4:5], 0x40
	s_load_dwordx2 s[10:11], s[4:5], 0x8
	s_load_dwordx2 s[0:1], s[4:5], 0x30
	s_waitcnt lgkmcnt(0)
	s_bitcmp1_b32 s3, 0
	s_cselect_b64 s[12:13], -1, 0
	v_mov_b32_e32 v1, s10
	s_xor_b64 s[8:9], s[12:13], -1
	s_and_b64 vcc, exec, s[12:13]
	v_mov_b32_e32 v2, s11
	s_cbranch_vccnz .LBB128_2
; %bb.1:
	v_mov_b32_e32 v1, s10
	v_mov_b32_e32 v2, s11
	flat_load_dwordx2 v[1:2], v[1:2]
.LBB128_2:
	v_mov_b32_e32 v4, s1
	s_andn2_b64 vcc, exec, s[8:9]
	v_mov_b32_e32 v3, s0
	s_cbranch_vccnz .LBB128_4
; %bb.3:
	v_mov_b32_e32 v4, s1
	v_mov_b32_e32 v3, s0
	flat_load_dwordx2 v[3:4], v[3:4]
.LBB128_4:
	s_waitcnt vmcnt(0) lgkmcnt(0)
	v_cmp_neq_f64_e32 vcc, 0, v[1:2]
	v_cmp_neq_f64_e64 s[0:1], 1.0, v[3:4]
	s_or_b64 s[0:1], vcc, s[0:1]
	s_and_saveexec_b64 s[8:9], s[0:1]
	s_cbranch_execz .LBB128_23
; %bb.5:
	s_load_dwordx2 s[0:1], s[4:5], 0x0
	v_lshrrev_b32_e32 v5, 4, v0
	v_lshl_or_b32 v5, s6, 3, v5
	s_waitcnt lgkmcnt(0)
	v_cmp_gt_i32_e32 vcc, s0, v5
	s_and_b64 exec, exec, vcc
	s_cbranch_execz .LBB128_23
; %bb.6:
	s_load_dwordx8 s[8:15], s[4:5], 0x10
	v_ashrrev_i32_e32 v6, 31, v5
	v_lshlrev_b64 v[6:7], 2, v[5:6]
	v_and_b32_e32 v0, 15, v0
	s_cmp_lg_u32 s1, 0
	s_waitcnt lgkmcnt(0)
	v_mov_b32_e32 v8, s9
	v_add_co_u32_e32 v6, vcc, s8, v6
	v_addc_co_u32_e32 v7, vcc, v8, v7, vcc
	global_load_dwordx2 v[6:7], v[6:7], off
	s_waitcnt vmcnt(0)
	v_subrev_u32_e32 v6, s2, v6
	v_subrev_u32_e32 v18, s2, v7
	v_add_u32_e32 v6, v6, v0
	v_cmp_lt_i32_e64 s[0:1], v6, v18
	s_cbranch_scc0 .LBB128_12
; %bb.7:
	v_mov_b32_e32 v10, 0
	v_mov_b32_e32 v8, 0
	;; [unrolled: 1-line block ×4, first 2 shown]
	s_and_saveexec_b64 s[6:7], s[0:1]
	s_cbranch_execz .LBB128_11
; %bb.8:
	v_mad_u64_u32 v[12:13], s[8:9], v6, 24, 22
	v_mov_b32_e32 v10, 0
	v_mov_b32_e32 v8, 0
	;; [unrolled: 1-line block ×3, first 2 shown]
	s_mov_b64 s[8:9], 0
	v_mov_b32_e32 v7, s11
	v_mov_b32_e32 v15, 0
	;; [unrolled: 1-line block ×6, first 2 shown]
.LBB128_9:                              ; =>This Inner Loop Header: Depth=1
	v_ashrrev_i32_e32 v17, 31, v16
	v_lshlrev_b64 v[21:22], 2, v[16:17]
	v_subrev_u32_e32 v14, 22, v12
	v_lshlrev_b64 v[23:24], 3, v[14:15]
	v_add_co_u32_e32 v37, vcc, s10, v21
	v_mov_b32_e32 v13, v15
	v_addc_co_u32_e32 v38, vcc, v7, v22, vcc
	v_lshlrev_b64 v[25:26], 3, v[12:13]
	v_add_co_u32_e32 v39, vcc, s12, v23
	v_addc_co_u32_e32 v40, vcc, v19, v24, vcc
	v_add_co_u32_e32 v47, vcc, s12, v25
	v_addc_co_u32_e32 v48, vcc, v19, v26, vcc
	global_load_dword v17, v[37:38], off
	global_load_dwordx4 v[21:24], v[39:40], off
	global_load_dwordx4 v[25:28], v[39:40], off offset:16
	global_load_dwordx4 v[29:32], v[39:40], off offset:32
	;; [unrolled: 1-line block ×3, first 2 shown]
	v_add_u32_e32 v14, -14, v12
	v_lshlrev_b64 v[13:14], 3, v[14:15]
	v_mov_b32_e32 v46, v15
	v_add_co_u32_e32 v13, vcc, s12, v13
	v_addc_co_u32_e32 v14, vcc, v19, v14, vcc
	v_add_u32_e32 v16, 16, v16
	s_waitcnt vmcnt(4)
	v_subrev_u32_e32 v17, s2, v17
	v_mul_lo_u32 v45, v17, 12
	v_lshlrev_b64 v[37:38], 3, v[45:46]
	v_add_co_u32_e32 v49, vcc, s14, v37
	v_addc_co_u32_e32 v50, vcc, v20, v38, vcc
	global_load_dwordx4 v[37:40], v[49:50], off
	global_load_dwordx4 v[41:44], v[49:50], off offset:16
	s_waitcnt vmcnt(1)
	v_fma_f64 v[21:22], v[21:22], v[37:38], v[10:11]
	v_fma_f64 v[23:24], v[23:24], v[37:38], v[8:9]
	global_load_dwordx4 v[8:11], v[13:14], off
	v_add_u32_e32 v14, 4, v45
	v_lshlrev_b64 v[37:38], 3, v[14:15]
	v_add_u32_e32 v14, -12, v12
	v_add_co_u32_e32 v37, vcc, s14, v37
	v_fma_f64 v[25:26], v[25:26], v[39:40], v[21:22]
	v_fma_f64 v[27:28], v[27:28], v[39:40], v[23:24]
	v_lshlrev_b64 v[21:22], 3, v[14:15]
	v_addc_co_u32_e32 v38, vcc, v20, v38, vcc
	v_add_co_u32_e32 v49, vcc, s12, v21
	v_addc_co_u32_e32 v50, vcc, v19, v22, vcc
	global_load_dwordx4 v[21:24], v[37:38], off
	s_waitcnt vmcnt(2)
	v_fma_f64 v[29:30], v[29:30], v[41:42], v[25:26]
	v_fma_f64 v[31:32], v[31:32], v[41:42], v[27:28]
	v_add_u32_e32 v14, -10, v12
	v_lshlrev_b64 v[39:40], 3, v[14:15]
	global_load_dwordx4 v[25:28], v[37:38], off offset:16
	v_add_u32_e32 v14, -8, v12
	v_lshlrev_b64 v[37:38], 3, v[14:15]
	v_add_u32_e32 v14, -6, v12
	v_fma_f64 v[41:42], v[33:34], v[43:44], v[29:30]
	v_fma_f64 v[43:44], v[35:36], v[43:44], v[31:32]
	global_load_dwordx4 v[29:32], v[49:50], off
	v_add_co_u32_e32 v33, vcc, s12, v39
	v_addc_co_u32_e32 v34, vcc, v19, v40, vcc
	global_load_dwordx4 v[33:36], v[33:34], off
	v_lshlrev_b64 v[39:40], 3, v[14:15]
	v_add_co_u32_e32 v37, vcc, s12, v37
	v_addc_co_u32_e32 v38, vcc, v19, v38, vcc
	v_add_co_u32_e32 v49, vcc, s12, v39
	v_addc_co_u32_e32 v50, vcc, v19, v40, vcc
	global_load_dwordx4 v[37:40], v[37:38], off
	v_add_u32_e32 v14, 8, v45
	v_lshlrev_b64 v[45:46], 3, v[14:15]
	v_add_u32_e32 v14, -4, v12
	v_add_co_u32_e32 v45, vcc, s14, v45
	v_addc_co_u32_e32 v46, vcc, v20, v46, vcc
	s_waitcnt vmcnt(4)
	v_fma_f64 v[41:42], v[8:9], v[21:22], v[41:42]
	v_fma_f64 v[21:22], v[10:11], v[21:22], v[43:44]
	global_load_dwordx4 v[8:11], v[49:50], off
	v_lshlrev_b64 v[43:44], 3, v[14:15]
	v_add_u32_e32 v14, -2, v12
	v_lshlrev_b64 v[13:14], 3, v[14:15]
	v_add_u32_e32 v12, 0x180, v12
	s_waitcnt vmcnt(3)
	v_fma_f64 v[41:42], v[29:30], v[23:24], v[41:42]
	v_fma_f64 v[49:50], v[31:32], v[23:24], v[21:22]
	global_load_dwordx4 v[21:24], v[45:46], off
	v_add_co_u32_e32 v29, vcc, s12, v43
	v_addc_co_u32_e32 v30, vcc, v19, v44, vcc
	global_load_dwordx4 v[29:32], v[29:30], off
	v_add_co_u32_e32 v13, vcc, s12, v13
	v_addc_co_u32_e32 v14, vcc, v19, v14, vcc
	s_waitcnt vmcnt(4)
	v_fma_f64 v[51:52], v[33:34], v[25:26], v[41:42]
	v_fma_f64 v[25:26], v[35:36], v[25:26], v[49:50]
	global_load_dwordx4 v[33:36], v[45:46], off offset:16
	global_load_dwordx4 v[41:44], v[13:14], off
	v_cmp_ge_i32_e32 vcc, v16, v18
	s_or_b64 s[8:9], vcc, s[8:9]
	s_waitcnt vmcnt(5)
	v_fma_f64 v[13:14], v[37:38], v[27:28], v[51:52]
	v_fma_f64 v[37:38], v[39:40], v[27:28], v[25:26]
	global_load_dwordx4 v[25:28], v[47:48], off
	s_waitcnt vmcnt(4)
	v_fma_f64 v[8:9], v[8:9], v[21:22], v[13:14]
	v_fma_f64 v[10:11], v[10:11], v[21:22], v[37:38]
	s_waitcnt vmcnt(3)
	v_fma_f64 v[8:9], v[29:30], v[23:24], v[8:9]
	v_fma_f64 v[10:11], v[31:32], v[23:24], v[10:11]
	;; [unrolled: 3-line block ×4, first 2 shown]
	s_andn2_b64 exec, exec, s[8:9]
	s_cbranch_execnz .LBB128_9
; %bb.10:
	s_or_b64 exec, exec, s[8:9]
.LBB128_11:
	s_or_b64 exec, exec, s[6:7]
	s_cbranch_execz .LBB128_13
	s_branch .LBB128_18
.LBB128_12:
                                        ; implicit-def: $vgpr10_vgpr11
                                        ; implicit-def: $vgpr8_vgpr9
.LBB128_13:
	v_mov_b32_e32 v10, 0
	v_mov_b32_e32 v8, 0
	;; [unrolled: 1-line block ×4, first 2 shown]
	s_and_saveexec_b64 s[6:7], s[0:1]
	s_cbranch_execz .LBB128_17
; %bb.14:
	v_mad_u64_u32 v[12:13], s[0:1], v6, 24, 23
	v_mov_b32_e32 v10, 0
	v_mov_b32_e32 v8, 0
	;; [unrolled: 1-line block ×3, first 2 shown]
	s_mov_b64 s[0:1], 0
	v_mov_b32_e32 v15, s11
	v_mov_b32_e32 v14, 0
	;; [unrolled: 1-line block ×5, first 2 shown]
.LBB128_15:                             ; =>This Inner Loop Header: Depth=1
	v_ashrrev_i32_e32 v7, 31, v6
	v_lshlrev_b64 v[19:20], 2, v[6:7]
	v_subrev_u32_e32 v13, 23, v12
	v_lshlrev_b64 v[21:22], 3, v[13:14]
	v_add_co_u32_e32 v27, vcc, s10, v19
	v_addc_co_u32_e32 v28, vcc, v15, v20, vcc
	v_add_co_u32_e32 v37, vcc, s12, v21
	v_addc_co_u32_e32 v38, vcc, v16, v22, vcc
	global_load_dword v7, v[27:28], off
	global_load_dwordx4 v[19:22], v[37:38], off
	global_load_dwordx4 v[23:26], v[37:38], off offset:16
	v_mov_b32_e32 v36, v14
	v_add_u32_e32 v13, -10, v12
	v_add_u32_e32 v6, 16, v6
	s_waitcnt vmcnt(2)
	v_subrev_u32_e32 v7, s2, v7
	v_mul_lo_u32 v35, v7, 12
	v_lshlrev_b64 v[27:28], 3, v[35:36]
	v_add_co_u32_e32 v39, vcc, s14, v27
	v_addc_co_u32_e32 v40, vcc, v17, v28, vcc
	global_load_dwordx4 v[27:30], v[39:40], off
	global_load_dwordx4 v[31:34], v[39:40], off offset:16
	s_waitcnt vmcnt(1)
	v_fma_f64 v[10:11], v[19:20], v[27:28], v[10:11]
	v_add_u32_e32 v19, -11, v12
	v_mov_b32_e32 v20, v14
	v_lshlrev_b64 v[19:20], 3, v[19:20]
	v_add_co_u32_e32 v19, vcc, s12, v19
	v_addc_co_u32_e32 v20, vcc, v16, v20, vcc
	v_fma_f64 v[10:11], v[21:22], v[29:30], v[10:11]
	v_lshlrev_b64 v[21:22], 3, v[13:14]
	v_add_u32_e32 v13, -9, v12
	v_add_co_u32_e32 v21, vcc, s12, v21
	v_lshlrev_b64 v[39:40], 3, v[13:14]
	v_addc_co_u32_e32 v22, vcc, v16, v22, vcc
	v_add_u32_e32 v13, -8, v12
	v_add_co_u32_e32 v39, vcc, s12, v39
	v_lshlrev_b64 v[41:42], 3, v[13:14]
	v_addc_co_u32_e32 v40, vcc, v16, v40, vcc
	v_add_co_u32_e32 v41, vcc, s12, v41
	v_addc_co_u32_e32 v42, vcc, v16, v42, vcc
	global_load_dwordx2 v[43:44], v[19:20], off
	global_load_dwordx2 v[45:46], v[21:22], off
	;; [unrolled: 1-line block ×4, first 2 shown]
	v_add_u32_e32 v13, 4, v35
	s_waitcnt vmcnt(3)
	v_fma_f64 v[7:8], v[43:44], v[27:28], v[8:9]
	s_waitcnt vmcnt(2)
	v_fma_f64 v[19:20], v[45:46], v[29:30], v[7:8]
	v_lshlrev_b64 v[7:8], 3, v[13:14]
	v_add_u32_e32 v13, -7, v12
	v_add_co_u32_e32 v39, vcc, s14, v7
	v_addc_co_u32_e32 v40, vcc, v17, v8, vcc
	v_fma_f64 v[7:8], v[23:24], v[31:32], v[10:11]
	s_waitcnt vmcnt(1)
	v_fma_f64 v[23:24], v[47:48], v[31:32], v[19:20]
	global_load_dwordx4 v[19:22], v[37:38], off offset:48
	v_fma_f64 v[41:42], v[25:26], v[33:34], v[7:8]
	global_load_dwordx4 v[7:10], v[37:38], off offset:32
	s_waitcnt vmcnt(2)
	v_fma_f64 v[31:32], v[49:50], v[33:34], v[23:24]
	global_load_dwordx4 v[23:26], v[39:40], off
	global_load_dwordx4 v[27:30], v[39:40], off offset:16
	s_waitcnt vmcnt(1)
	v_fma_f64 v[7:8], v[7:8], v[23:24], v[41:42]
	v_fma_f64 v[7:8], v[9:10], v[25:26], v[7:8]
	v_lshlrev_b64 v[9:10], 3, v[13:14]
	v_add_u32_e32 v13, -6, v12
	v_add_co_u32_e32 v9, vcc, s12, v9
	v_lshlrev_b64 v[33:34], 3, v[13:14]
	v_addc_co_u32_e32 v10, vcc, v16, v10, vcc
	v_add_u32_e32 v13, -5, v12
	v_add_co_u32_e32 v33, vcc, s12, v33
	v_lshlrev_b64 v[36:37], 3, v[13:14]
	v_addc_co_u32_e32 v34, vcc, v16, v34, vcc
	;; [unrolled: 4-line block ×3, first 2 shown]
	v_add_co_u32_e32 v38, vcc, s12, v38
	v_addc_co_u32_e32 v39, vcc, v16, v39, vcc
	global_load_dwordx2 v[40:41], v[9:10], off
	global_load_dwordx2 v[42:43], v[33:34], off
	;; [unrolled: 1-line block ×4, first 2 shown]
	s_waitcnt vmcnt(4)
	v_fma_f64 v[7:8], v[19:20], v[27:28], v[7:8]
	v_mov_b32_e32 v13, v14
	v_fma_f64 v[33:34], v[21:22], v[29:30], v[7:8]
	s_waitcnt vmcnt(3)
	v_fma_f64 v[9:10], v[40:41], v[23:24], v[31:32]
	v_lshlrev_b64 v[23:24], 3, v[12:13]
	v_add_u32_e32 v13, -15, v12
	v_add_co_u32_e32 v23, vcc, s12, v23
	v_addc_co_u32_e32 v24, vcc, v16, v24, vcc
	s_waitcnt vmcnt(2)
	v_fma_f64 v[9:10], v[42:43], v[25:26], v[9:10]
	v_lshlrev_b64 v[25:26], 3, v[13:14]
	v_add_u32_e32 v13, 8, v35
	v_add_co_u32_e32 v25, vcc, s12, v25
	v_lshlrev_b64 v[31:32], 3, v[13:14]
	v_addc_co_u32_e32 v26, vcc, v16, v26, vcc
	v_add_u32_e32 v13, -3, v12
	v_lshlrev_b64 v[7:8], 3, v[13:14]
	v_add_co_u32_e32 v31, vcc, s14, v31
	v_addc_co_u32_e32 v32, vcc, v17, v32, vcc
	v_add_u32_e32 v13, -14, v12
	v_add_co_u32_e32 v35, vcc, s12, v7
	v_addc_co_u32_e32 v36, vcc, v16, v8, vcc
	v_lshlrev_b64 v[7:8], 3, v[13:14]
	v_add_u32_e32 v13, -2, v12
	v_add_co_u32_e32 v37, vcc, s12, v7
	v_addc_co_u32_e32 v38, vcc, v16, v8, vcc
	s_waitcnt vmcnt(1)
	v_fma_f64 v[7:8], v[44:45], v[27:28], v[9:10]
	v_lshlrev_b64 v[9:10], 3, v[13:14]
	v_add_u32_e32 v13, -13, v12
	s_waitcnt vmcnt(0)
	v_fma_f64 v[27:28], v[46:47], v[29:30], v[7:8]
	v_lshlrev_b64 v[7:8], 3, v[13:14]
	v_add_co_u32_e32 v29, vcc, s12, v9
	v_add_u32_e32 v13, -1, v12
	v_addc_co_u32_e32 v30, vcc, v16, v10, vcc
	v_lshlrev_b64 v[9:10], 3, v[13:14]
	v_add_co_u32_e32 v39, vcc, s12, v7
	v_add_u32_e32 v13, -12, v12
	v_addc_co_u32_e32 v40, vcc, v16, v8, vcc
	v_add_co_u32_e32 v41, vcc, s12, v9
	v_lshlrev_b64 v[7:8], 3, v[13:14]
	v_addc_co_u32_e32 v42, vcc, v16, v10, vcc
	v_add_co_u32_e32 v43, vcc, s12, v7
	v_addc_co_u32_e32 v44, vcc, v16, v8, vcc
	global_load_dwordx2 v[45:46], v[25:26], off
	global_load_dwordx4 v[7:10], v[31:32], off
	global_load_dwordx4 v[19:22], v[31:32], off offset:16
	v_cmp_ge_i32_e32 vcc, v6, v18
	s_or_b64 s[0:1], vcc, s[0:1]
	v_add_u32_e32 v12, 0x180, v12
	s_waitcnt vmcnt(1)
	v_fma_f64 v[25:26], v[45:46], v[7:8], v[33:34]
	global_load_dwordx2 v[31:32], v[35:36], off
	global_load_dwordx2 v[33:34], v[37:38], off
	;; [unrolled: 1-line block ×4, first 2 shown]
	s_waitcnt vmcnt(3)
	v_fma_f64 v[7:8], v[31:32], v[7:8], v[27:28]
	global_load_dwordx2 v[27:28], v[41:42], off
	global_load_dwordx2 v[29:30], v[43:44], off
	;; [unrolled: 1-line block ×3, first 2 shown]
	s_waitcnt vmcnt(5)
	v_fma_f64 v[25:26], v[33:34], v[9:10], v[25:26]
	s_waitcnt vmcnt(4)
	v_fma_f64 v[7:8], v[45:46], v[9:10], v[7:8]
	;; [unrolled: 2-line block ×6, first 2 shown]
	s_andn2_b64 exec, exec, s[0:1]
	s_cbranch_execnz .LBB128_15
; %bb.16:
	s_or_b64 exec, exec, s[0:1]
.LBB128_17:
	s_or_b64 exec, exec, s[6:7]
.LBB128_18:
	v_mov_b32_dpp v6, v10 row_shr:1 row_mask:0xf bank_mask:0xf
	v_mov_b32_dpp v7, v11 row_shr:1 row_mask:0xf bank_mask:0xf
	v_add_f64 v[6:7], v[10:11], v[6:7]
	v_mov_b32_dpp v10, v8 row_shr:1 row_mask:0xf bank_mask:0xf
	v_mov_b32_dpp v11, v9 row_shr:1 row_mask:0xf bank_mask:0xf
	v_add_f64 v[8:9], v[8:9], v[10:11]
	v_cmp_eq_u32_e32 vcc, 15, v0
	v_mov_b32_dpp v10, v6 row_shr:2 row_mask:0xf bank_mask:0xf
	v_mov_b32_dpp v11, v7 row_shr:2 row_mask:0xf bank_mask:0xf
	v_add_f64 v[6:7], v[6:7], v[10:11]
	v_mov_b32_dpp v12, v8 row_shr:2 row_mask:0xf bank_mask:0xf
	v_mov_b32_dpp v13, v9 row_shr:2 row_mask:0xf bank_mask:0xf
	v_add_f64 v[8:9], v[8:9], v[12:13]
	;; [unrolled: 3-line block ×4, first 2 shown]
	v_mov_b32_dpp v8, v6 row_shr:8 row_mask:0xf bank_mask:0xc
	v_mov_b32_dpp v9, v7 row_shr:8 row_mask:0xf bank_mask:0xc
	;; [unrolled: 1-line block ×4, first 2 shown]
	s_and_b64 exec, exec, vcc
	s_cbranch_execz .LBB128_23
; %bb.19:
	v_add_f64 v[8:9], v[6:7], v[8:9]
	v_add_f64 v[6:7], v[10:11], v[12:13]
	v_cmp_eq_f64_e32 vcc, 0, v[3:4]
	s_load_dwordx2 s[0:1], s[4:5], 0x38
	s_and_saveexec_b64 s[2:3], vcc
	s_xor_b64 s[2:3], exec, s[2:3]
	s_cbranch_execz .LBB128_21
; %bb.20:
	v_mul_f64 v[3:4], v[1:2], v[8:9]
	v_lshlrev_b32_e32 v0, 1, v5
	v_mul_f64 v[5:6], v[1:2], v[6:7]
	v_ashrrev_i32_e32 v1, 31, v0
	v_lshlrev_b64 v[0:1], 3, v[0:1]
	s_waitcnt lgkmcnt(0)
	v_mov_b32_e32 v2, s1
	v_add_co_u32_e32 v0, vcc, s0, v0
	v_addc_co_u32_e32 v1, vcc, v2, v1, vcc
	global_store_dwordx4 v[0:1], v[3:6], off
                                        ; implicit-def: $vgpr5
                                        ; implicit-def: $vgpr1_vgpr2
                                        ; implicit-def: $vgpr8_vgpr9
                                        ; implicit-def: $vgpr3_vgpr4
                                        ; implicit-def: $vgpr6_vgpr7
.LBB128_21:
	s_andn2_saveexec_b64 s[2:3], s[2:3]
	s_cbranch_execz .LBB128_23
; %bb.22:
	v_lshlrev_b32_e32 v10, 1, v5
	v_ashrrev_i32_e32 v11, 31, v10
	v_lshlrev_b64 v[10:11], 3, v[10:11]
	s_waitcnt lgkmcnt(0)
	v_mov_b32_e32 v0, s1
	v_add_co_u32_e32 v14, vcc, s0, v10
	v_addc_co_u32_e32 v15, vcc, v0, v11, vcc
	global_load_dwordx4 v[10:13], v[14:15], off
	v_mul_f64 v[8:9], v[1:2], v[8:9]
	v_mul_f64 v[5:6], v[1:2], v[6:7]
	s_waitcnt vmcnt(0)
	v_fma_f64 v[0:1], v[3:4], v[10:11], v[8:9]
	v_fma_f64 v[2:3], v[3:4], v[12:13], v[5:6]
	global_store_dwordx4 v[14:15], v[0:3], off
.LBB128_23:
	s_endpgm
	.section	.rodata,"a",@progbits
	.p2align	6, 0x0
	.amdhsa_kernel _ZN9rocsparseL19gebsrmvn_2xn_kernelILj128ELj12ELj16EdEEvi20rocsparse_direction_NS_24const_host_device_scalarIT2_EEPKiS6_PKS3_S8_S4_PS3_21rocsparse_index_base_b
		.amdhsa_group_segment_fixed_size 0
		.amdhsa_private_segment_fixed_size 0
		.amdhsa_kernarg_size 72
		.amdhsa_user_sgpr_count 6
		.amdhsa_user_sgpr_private_segment_buffer 1
		.amdhsa_user_sgpr_dispatch_ptr 0
		.amdhsa_user_sgpr_queue_ptr 0
		.amdhsa_user_sgpr_kernarg_segment_ptr 1
		.amdhsa_user_sgpr_dispatch_id 0
		.amdhsa_user_sgpr_flat_scratch_init 0
		.amdhsa_user_sgpr_private_segment_size 0
		.amdhsa_uses_dynamic_stack 0
		.amdhsa_system_sgpr_private_segment_wavefront_offset 0
		.amdhsa_system_sgpr_workgroup_id_x 1
		.amdhsa_system_sgpr_workgroup_id_y 0
		.amdhsa_system_sgpr_workgroup_id_z 0
		.amdhsa_system_sgpr_workgroup_info 0
		.amdhsa_system_vgpr_workitem_id 0
		.amdhsa_next_free_vgpr 53
		.amdhsa_next_free_sgpr 16
		.amdhsa_reserve_vcc 1
		.amdhsa_reserve_flat_scratch 0
		.amdhsa_float_round_mode_32 0
		.amdhsa_float_round_mode_16_64 0
		.amdhsa_float_denorm_mode_32 3
		.amdhsa_float_denorm_mode_16_64 3
		.amdhsa_dx10_clamp 1
		.amdhsa_ieee_mode 1
		.amdhsa_fp16_overflow 0
		.amdhsa_exception_fp_ieee_invalid_op 0
		.amdhsa_exception_fp_denorm_src 0
		.amdhsa_exception_fp_ieee_div_zero 0
		.amdhsa_exception_fp_ieee_overflow 0
		.amdhsa_exception_fp_ieee_underflow 0
		.amdhsa_exception_fp_ieee_inexact 0
		.amdhsa_exception_int_div_zero 0
	.end_amdhsa_kernel
	.section	.text._ZN9rocsparseL19gebsrmvn_2xn_kernelILj128ELj12ELj16EdEEvi20rocsparse_direction_NS_24const_host_device_scalarIT2_EEPKiS6_PKS3_S8_S4_PS3_21rocsparse_index_base_b,"axG",@progbits,_ZN9rocsparseL19gebsrmvn_2xn_kernelILj128ELj12ELj16EdEEvi20rocsparse_direction_NS_24const_host_device_scalarIT2_EEPKiS6_PKS3_S8_S4_PS3_21rocsparse_index_base_b,comdat
.Lfunc_end128:
	.size	_ZN9rocsparseL19gebsrmvn_2xn_kernelILj128ELj12ELj16EdEEvi20rocsparse_direction_NS_24const_host_device_scalarIT2_EEPKiS6_PKS3_S8_S4_PS3_21rocsparse_index_base_b, .Lfunc_end128-_ZN9rocsparseL19gebsrmvn_2xn_kernelILj128ELj12ELj16EdEEvi20rocsparse_direction_NS_24const_host_device_scalarIT2_EEPKiS6_PKS3_S8_S4_PS3_21rocsparse_index_base_b
                                        ; -- End function
	.set _ZN9rocsparseL19gebsrmvn_2xn_kernelILj128ELj12ELj16EdEEvi20rocsparse_direction_NS_24const_host_device_scalarIT2_EEPKiS6_PKS3_S8_S4_PS3_21rocsparse_index_base_b.num_vgpr, 53
	.set _ZN9rocsparseL19gebsrmvn_2xn_kernelILj128ELj12ELj16EdEEvi20rocsparse_direction_NS_24const_host_device_scalarIT2_EEPKiS6_PKS3_S8_S4_PS3_21rocsparse_index_base_b.num_agpr, 0
	.set _ZN9rocsparseL19gebsrmvn_2xn_kernelILj128ELj12ELj16EdEEvi20rocsparse_direction_NS_24const_host_device_scalarIT2_EEPKiS6_PKS3_S8_S4_PS3_21rocsparse_index_base_b.numbered_sgpr, 16
	.set _ZN9rocsparseL19gebsrmvn_2xn_kernelILj128ELj12ELj16EdEEvi20rocsparse_direction_NS_24const_host_device_scalarIT2_EEPKiS6_PKS3_S8_S4_PS3_21rocsparse_index_base_b.num_named_barrier, 0
	.set _ZN9rocsparseL19gebsrmvn_2xn_kernelILj128ELj12ELj16EdEEvi20rocsparse_direction_NS_24const_host_device_scalarIT2_EEPKiS6_PKS3_S8_S4_PS3_21rocsparse_index_base_b.private_seg_size, 0
	.set _ZN9rocsparseL19gebsrmvn_2xn_kernelILj128ELj12ELj16EdEEvi20rocsparse_direction_NS_24const_host_device_scalarIT2_EEPKiS6_PKS3_S8_S4_PS3_21rocsparse_index_base_b.uses_vcc, 1
	.set _ZN9rocsparseL19gebsrmvn_2xn_kernelILj128ELj12ELj16EdEEvi20rocsparse_direction_NS_24const_host_device_scalarIT2_EEPKiS6_PKS3_S8_S4_PS3_21rocsparse_index_base_b.uses_flat_scratch, 0
	.set _ZN9rocsparseL19gebsrmvn_2xn_kernelILj128ELj12ELj16EdEEvi20rocsparse_direction_NS_24const_host_device_scalarIT2_EEPKiS6_PKS3_S8_S4_PS3_21rocsparse_index_base_b.has_dyn_sized_stack, 0
	.set _ZN9rocsparseL19gebsrmvn_2xn_kernelILj128ELj12ELj16EdEEvi20rocsparse_direction_NS_24const_host_device_scalarIT2_EEPKiS6_PKS3_S8_S4_PS3_21rocsparse_index_base_b.has_recursion, 0
	.set _ZN9rocsparseL19gebsrmvn_2xn_kernelILj128ELj12ELj16EdEEvi20rocsparse_direction_NS_24const_host_device_scalarIT2_EEPKiS6_PKS3_S8_S4_PS3_21rocsparse_index_base_b.has_indirect_call, 0
	.section	.AMDGPU.csdata,"",@progbits
; Kernel info:
; codeLenInByte = 2432
; TotalNumSgprs: 20
; NumVgprs: 53
; ScratchSize: 0
; MemoryBound: 1
; FloatMode: 240
; IeeeMode: 1
; LDSByteSize: 0 bytes/workgroup (compile time only)
; SGPRBlocks: 2
; VGPRBlocks: 13
; NumSGPRsForWavesPerEU: 20
; NumVGPRsForWavesPerEU: 53
; Occupancy: 4
; WaveLimiterHint : 1
; COMPUTE_PGM_RSRC2:SCRATCH_EN: 0
; COMPUTE_PGM_RSRC2:USER_SGPR: 6
; COMPUTE_PGM_RSRC2:TRAP_HANDLER: 0
; COMPUTE_PGM_RSRC2:TGID_X_EN: 1
; COMPUTE_PGM_RSRC2:TGID_Y_EN: 0
; COMPUTE_PGM_RSRC2:TGID_Z_EN: 0
; COMPUTE_PGM_RSRC2:TIDIG_COMP_CNT: 0
	.section	.text._ZN9rocsparseL19gebsrmvn_2xn_kernelILj128ELj12ELj32EdEEvi20rocsparse_direction_NS_24const_host_device_scalarIT2_EEPKiS6_PKS3_S8_S4_PS3_21rocsparse_index_base_b,"axG",@progbits,_ZN9rocsparseL19gebsrmvn_2xn_kernelILj128ELj12ELj32EdEEvi20rocsparse_direction_NS_24const_host_device_scalarIT2_EEPKiS6_PKS3_S8_S4_PS3_21rocsparse_index_base_b,comdat
	.globl	_ZN9rocsparseL19gebsrmvn_2xn_kernelILj128ELj12ELj32EdEEvi20rocsparse_direction_NS_24const_host_device_scalarIT2_EEPKiS6_PKS3_S8_S4_PS3_21rocsparse_index_base_b ; -- Begin function _ZN9rocsparseL19gebsrmvn_2xn_kernelILj128ELj12ELj32EdEEvi20rocsparse_direction_NS_24const_host_device_scalarIT2_EEPKiS6_PKS3_S8_S4_PS3_21rocsparse_index_base_b
	.p2align	8
	.type	_ZN9rocsparseL19gebsrmvn_2xn_kernelILj128ELj12ELj32EdEEvi20rocsparse_direction_NS_24const_host_device_scalarIT2_EEPKiS6_PKS3_S8_S4_PS3_21rocsparse_index_base_b,@function
_ZN9rocsparseL19gebsrmvn_2xn_kernelILj128ELj12ELj32EdEEvi20rocsparse_direction_NS_24const_host_device_scalarIT2_EEPKiS6_PKS3_S8_S4_PS3_21rocsparse_index_base_b: ; @_ZN9rocsparseL19gebsrmvn_2xn_kernelILj128ELj12ELj32EdEEvi20rocsparse_direction_NS_24const_host_device_scalarIT2_EEPKiS6_PKS3_S8_S4_PS3_21rocsparse_index_base_b
; %bb.0:
	s_load_dwordx2 s[2:3], s[4:5], 0x40
	s_load_dwordx2 s[10:11], s[4:5], 0x8
	;; [unrolled: 1-line block ×3, first 2 shown]
	s_waitcnt lgkmcnt(0)
	s_bitcmp1_b32 s3, 0
	s_cselect_b64 s[12:13], -1, 0
	v_mov_b32_e32 v1, s10
	s_xor_b64 s[8:9], s[12:13], -1
	s_and_b64 vcc, exec, s[12:13]
	v_mov_b32_e32 v2, s11
	s_cbranch_vccnz .LBB129_2
; %bb.1:
	v_mov_b32_e32 v1, s10
	v_mov_b32_e32 v2, s11
	flat_load_dwordx2 v[1:2], v[1:2]
.LBB129_2:
	v_mov_b32_e32 v4, s1
	s_andn2_b64 vcc, exec, s[8:9]
	v_mov_b32_e32 v3, s0
	s_cbranch_vccnz .LBB129_4
; %bb.3:
	v_mov_b32_e32 v4, s1
	v_mov_b32_e32 v3, s0
	flat_load_dwordx2 v[3:4], v[3:4]
.LBB129_4:
	s_waitcnt vmcnt(0) lgkmcnt(0)
	v_cmp_neq_f64_e32 vcc, 0, v[1:2]
	v_cmp_neq_f64_e64 s[0:1], 1.0, v[3:4]
	s_or_b64 s[0:1], vcc, s[0:1]
	s_and_saveexec_b64 s[8:9], s[0:1]
	s_cbranch_execz .LBB129_23
; %bb.5:
	s_load_dwordx2 s[0:1], s[4:5], 0x0
	v_lshrrev_b32_e32 v5, 5, v0
	v_lshl_or_b32 v5, s6, 2, v5
	s_waitcnt lgkmcnt(0)
	v_cmp_gt_i32_e32 vcc, s0, v5
	s_and_b64 exec, exec, vcc
	s_cbranch_execz .LBB129_23
; %bb.6:
	s_load_dwordx8 s[8:15], s[4:5], 0x10
	v_ashrrev_i32_e32 v6, 31, v5
	v_lshlrev_b64 v[6:7], 2, v[5:6]
	v_and_b32_e32 v0, 31, v0
	s_cmp_lg_u32 s1, 0
	s_waitcnt lgkmcnt(0)
	v_mov_b32_e32 v8, s9
	v_add_co_u32_e32 v6, vcc, s8, v6
	v_addc_co_u32_e32 v7, vcc, v8, v7, vcc
	global_load_dwordx2 v[6:7], v[6:7], off
	s_waitcnt vmcnt(0)
	v_subrev_u32_e32 v6, s2, v6
	v_subrev_u32_e32 v18, s2, v7
	v_add_u32_e32 v6, v6, v0
	v_cmp_lt_i32_e64 s[0:1], v6, v18
	s_cbranch_scc0 .LBB129_12
; %bb.7:
	v_mov_b32_e32 v10, 0
	v_mov_b32_e32 v8, 0
	v_mov_b32_e32 v11, 0
	v_mov_b32_e32 v9, 0
	s_and_saveexec_b64 s[6:7], s[0:1]
	s_cbranch_execz .LBB129_11
; %bb.8:
	v_mad_u64_u32 v[12:13], s[8:9], v6, 24, 22
	v_mov_b32_e32 v10, 0
	v_mov_b32_e32 v8, 0
	;; [unrolled: 1-line block ×3, first 2 shown]
	s_mov_b64 s[8:9], 0
	v_mov_b32_e32 v7, s11
	v_mov_b32_e32 v15, 0
	;; [unrolled: 1-line block ×6, first 2 shown]
.LBB129_9:                              ; =>This Inner Loop Header: Depth=1
	v_ashrrev_i32_e32 v17, 31, v16
	v_lshlrev_b64 v[21:22], 2, v[16:17]
	v_subrev_u32_e32 v14, 22, v12
	v_lshlrev_b64 v[23:24], 3, v[14:15]
	v_add_co_u32_e32 v37, vcc, s10, v21
	v_mov_b32_e32 v13, v15
	v_addc_co_u32_e32 v38, vcc, v7, v22, vcc
	v_lshlrev_b64 v[25:26], 3, v[12:13]
	v_add_co_u32_e32 v39, vcc, s12, v23
	v_addc_co_u32_e32 v40, vcc, v19, v24, vcc
	v_add_co_u32_e32 v47, vcc, s12, v25
	v_addc_co_u32_e32 v48, vcc, v19, v26, vcc
	global_load_dword v17, v[37:38], off
	global_load_dwordx4 v[21:24], v[39:40], off
	global_load_dwordx4 v[25:28], v[39:40], off offset:16
	global_load_dwordx4 v[29:32], v[39:40], off offset:32
	;; [unrolled: 1-line block ×3, first 2 shown]
	v_add_u32_e32 v14, -14, v12
	v_lshlrev_b64 v[13:14], 3, v[14:15]
	v_mov_b32_e32 v46, v15
	v_add_co_u32_e32 v13, vcc, s12, v13
	v_addc_co_u32_e32 v14, vcc, v19, v14, vcc
	v_add_u32_e32 v16, 32, v16
	s_waitcnt vmcnt(4)
	v_subrev_u32_e32 v17, s2, v17
	v_mul_lo_u32 v45, v17, 12
	v_lshlrev_b64 v[37:38], 3, v[45:46]
	v_add_co_u32_e32 v49, vcc, s14, v37
	v_addc_co_u32_e32 v50, vcc, v20, v38, vcc
	global_load_dwordx4 v[37:40], v[49:50], off
	global_load_dwordx4 v[41:44], v[49:50], off offset:16
	s_waitcnt vmcnt(1)
	v_fma_f64 v[21:22], v[21:22], v[37:38], v[10:11]
	v_fma_f64 v[23:24], v[23:24], v[37:38], v[8:9]
	global_load_dwordx4 v[8:11], v[13:14], off
	v_add_u32_e32 v14, 4, v45
	v_lshlrev_b64 v[37:38], 3, v[14:15]
	v_add_u32_e32 v14, -12, v12
	v_add_co_u32_e32 v37, vcc, s14, v37
	v_fma_f64 v[25:26], v[25:26], v[39:40], v[21:22]
	v_fma_f64 v[27:28], v[27:28], v[39:40], v[23:24]
	v_lshlrev_b64 v[21:22], 3, v[14:15]
	v_addc_co_u32_e32 v38, vcc, v20, v38, vcc
	v_add_co_u32_e32 v49, vcc, s12, v21
	v_addc_co_u32_e32 v50, vcc, v19, v22, vcc
	global_load_dwordx4 v[21:24], v[37:38], off
	s_waitcnt vmcnt(2)
	v_fma_f64 v[29:30], v[29:30], v[41:42], v[25:26]
	v_fma_f64 v[31:32], v[31:32], v[41:42], v[27:28]
	v_add_u32_e32 v14, -10, v12
	v_lshlrev_b64 v[39:40], 3, v[14:15]
	global_load_dwordx4 v[25:28], v[37:38], off offset:16
	v_add_u32_e32 v14, -8, v12
	v_lshlrev_b64 v[37:38], 3, v[14:15]
	v_add_u32_e32 v14, -6, v12
	v_fma_f64 v[41:42], v[33:34], v[43:44], v[29:30]
	v_fma_f64 v[43:44], v[35:36], v[43:44], v[31:32]
	global_load_dwordx4 v[29:32], v[49:50], off
	v_add_co_u32_e32 v33, vcc, s12, v39
	v_addc_co_u32_e32 v34, vcc, v19, v40, vcc
	global_load_dwordx4 v[33:36], v[33:34], off
	v_lshlrev_b64 v[39:40], 3, v[14:15]
	v_add_co_u32_e32 v37, vcc, s12, v37
	v_addc_co_u32_e32 v38, vcc, v19, v38, vcc
	v_add_co_u32_e32 v49, vcc, s12, v39
	v_addc_co_u32_e32 v50, vcc, v19, v40, vcc
	global_load_dwordx4 v[37:40], v[37:38], off
	v_add_u32_e32 v14, 8, v45
	v_lshlrev_b64 v[45:46], 3, v[14:15]
	v_add_u32_e32 v14, -4, v12
	v_add_co_u32_e32 v45, vcc, s14, v45
	v_addc_co_u32_e32 v46, vcc, v20, v46, vcc
	s_waitcnt vmcnt(4)
	v_fma_f64 v[41:42], v[8:9], v[21:22], v[41:42]
	v_fma_f64 v[21:22], v[10:11], v[21:22], v[43:44]
	global_load_dwordx4 v[8:11], v[49:50], off
	v_lshlrev_b64 v[43:44], 3, v[14:15]
	v_add_u32_e32 v14, -2, v12
	v_lshlrev_b64 v[13:14], 3, v[14:15]
	v_add_u32_e32 v12, 0x300, v12
	s_waitcnt vmcnt(3)
	v_fma_f64 v[41:42], v[29:30], v[23:24], v[41:42]
	v_fma_f64 v[49:50], v[31:32], v[23:24], v[21:22]
	global_load_dwordx4 v[21:24], v[45:46], off
	v_add_co_u32_e32 v29, vcc, s12, v43
	v_addc_co_u32_e32 v30, vcc, v19, v44, vcc
	global_load_dwordx4 v[29:32], v[29:30], off
	v_add_co_u32_e32 v13, vcc, s12, v13
	v_addc_co_u32_e32 v14, vcc, v19, v14, vcc
	s_waitcnt vmcnt(4)
	v_fma_f64 v[51:52], v[33:34], v[25:26], v[41:42]
	v_fma_f64 v[25:26], v[35:36], v[25:26], v[49:50]
	global_load_dwordx4 v[33:36], v[45:46], off offset:16
	global_load_dwordx4 v[41:44], v[13:14], off
	v_cmp_ge_i32_e32 vcc, v16, v18
	s_or_b64 s[8:9], vcc, s[8:9]
	s_waitcnt vmcnt(5)
	v_fma_f64 v[13:14], v[37:38], v[27:28], v[51:52]
	v_fma_f64 v[37:38], v[39:40], v[27:28], v[25:26]
	global_load_dwordx4 v[25:28], v[47:48], off
	s_waitcnt vmcnt(4)
	v_fma_f64 v[8:9], v[8:9], v[21:22], v[13:14]
	v_fma_f64 v[10:11], v[10:11], v[21:22], v[37:38]
	s_waitcnt vmcnt(3)
	v_fma_f64 v[8:9], v[29:30], v[23:24], v[8:9]
	v_fma_f64 v[10:11], v[31:32], v[23:24], v[10:11]
	;; [unrolled: 3-line block ×4, first 2 shown]
	s_andn2_b64 exec, exec, s[8:9]
	s_cbranch_execnz .LBB129_9
; %bb.10:
	s_or_b64 exec, exec, s[8:9]
.LBB129_11:
	s_or_b64 exec, exec, s[6:7]
	s_cbranch_execz .LBB129_13
	s_branch .LBB129_18
.LBB129_12:
                                        ; implicit-def: $vgpr10_vgpr11
                                        ; implicit-def: $vgpr8_vgpr9
.LBB129_13:
	v_mov_b32_e32 v10, 0
	v_mov_b32_e32 v8, 0
	;; [unrolled: 1-line block ×4, first 2 shown]
	s_and_saveexec_b64 s[6:7], s[0:1]
	s_cbranch_execz .LBB129_17
; %bb.14:
	v_mad_u64_u32 v[12:13], s[0:1], v6, 24, 23
	v_mov_b32_e32 v10, 0
	v_mov_b32_e32 v8, 0
	;; [unrolled: 1-line block ×3, first 2 shown]
	s_mov_b64 s[0:1], 0
	v_mov_b32_e32 v15, s11
	v_mov_b32_e32 v14, 0
	;; [unrolled: 1-line block ×5, first 2 shown]
.LBB129_15:                             ; =>This Inner Loop Header: Depth=1
	v_ashrrev_i32_e32 v7, 31, v6
	v_lshlrev_b64 v[19:20], 2, v[6:7]
	v_subrev_u32_e32 v13, 23, v12
	v_lshlrev_b64 v[21:22], 3, v[13:14]
	v_add_co_u32_e32 v27, vcc, s10, v19
	v_addc_co_u32_e32 v28, vcc, v15, v20, vcc
	v_add_co_u32_e32 v37, vcc, s12, v21
	v_addc_co_u32_e32 v38, vcc, v16, v22, vcc
	global_load_dword v7, v[27:28], off
	global_load_dwordx4 v[19:22], v[37:38], off
	global_load_dwordx4 v[23:26], v[37:38], off offset:16
	v_mov_b32_e32 v36, v14
	v_add_u32_e32 v13, -10, v12
	v_add_u32_e32 v6, 32, v6
	s_waitcnt vmcnt(2)
	v_subrev_u32_e32 v7, s2, v7
	v_mul_lo_u32 v35, v7, 12
	v_lshlrev_b64 v[27:28], 3, v[35:36]
	v_add_co_u32_e32 v39, vcc, s14, v27
	v_addc_co_u32_e32 v40, vcc, v17, v28, vcc
	global_load_dwordx4 v[27:30], v[39:40], off
	global_load_dwordx4 v[31:34], v[39:40], off offset:16
	s_waitcnt vmcnt(1)
	v_fma_f64 v[10:11], v[19:20], v[27:28], v[10:11]
	v_add_u32_e32 v19, -11, v12
	v_mov_b32_e32 v20, v14
	v_lshlrev_b64 v[19:20], 3, v[19:20]
	v_add_co_u32_e32 v19, vcc, s12, v19
	v_addc_co_u32_e32 v20, vcc, v16, v20, vcc
	v_fma_f64 v[10:11], v[21:22], v[29:30], v[10:11]
	v_lshlrev_b64 v[21:22], 3, v[13:14]
	v_add_u32_e32 v13, -9, v12
	v_add_co_u32_e32 v21, vcc, s12, v21
	v_lshlrev_b64 v[39:40], 3, v[13:14]
	v_addc_co_u32_e32 v22, vcc, v16, v22, vcc
	v_add_u32_e32 v13, -8, v12
	v_add_co_u32_e32 v39, vcc, s12, v39
	v_lshlrev_b64 v[41:42], 3, v[13:14]
	v_addc_co_u32_e32 v40, vcc, v16, v40, vcc
	v_add_co_u32_e32 v41, vcc, s12, v41
	v_addc_co_u32_e32 v42, vcc, v16, v42, vcc
	global_load_dwordx2 v[43:44], v[19:20], off
	global_load_dwordx2 v[45:46], v[21:22], off
	;; [unrolled: 1-line block ×4, first 2 shown]
	v_add_u32_e32 v13, 4, v35
	s_waitcnt vmcnt(3)
	v_fma_f64 v[7:8], v[43:44], v[27:28], v[8:9]
	s_waitcnt vmcnt(2)
	v_fma_f64 v[19:20], v[45:46], v[29:30], v[7:8]
	v_lshlrev_b64 v[7:8], 3, v[13:14]
	v_add_u32_e32 v13, -7, v12
	v_add_co_u32_e32 v39, vcc, s14, v7
	v_addc_co_u32_e32 v40, vcc, v17, v8, vcc
	v_fma_f64 v[7:8], v[23:24], v[31:32], v[10:11]
	s_waitcnt vmcnt(1)
	v_fma_f64 v[23:24], v[47:48], v[31:32], v[19:20]
	global_load_dwordx4 v[19:22], v[37:38], off offset:48
	v_fma_f64 v[41:42], v[25:26], v[33:34], v[7:8]
	global_load_dwordx4 v[7:10], v[37:38], off offset:32
	s_waitcnt vmcnt(2)
	v_fma_f64 v[31:32], v[49:50], v[33:34], v[23:24]
	global_load_dwordx4 v[23:26], v[39:40], off
	global_load_dwordx4 v[27:30], v[39:40], off offset:16
	s_waitcnt vmcnt(1)
	v_fma_f64 v[7:8], v[7:8], v[23:24], v[41:42]
	v_fma_f64 v[7:8], v[9:10], v[25:26], v[7:8]
	v_lshlrev_b64 v[9:10], 3, v[13:14]
	v_add_u32_e32 v13, -6, v12
	v_add_co_u32_e32 v9, vcc, s12, v9
	v_lshlrev_b64 v[33:34], 3, v[13:14]
	v_addc_co_u32_e32 v10, vcc, v16, v10, vcc
	v_add_u32_e32 v13, -5, v12
	v_add_co_u32_e32 v33, vcc, s12, v33
	v_lshlrev_b64 v[36:37], 3, v[13:14]
	v_addc_co_u32_e32 v34, vcc, v16, v34, vcc
	;; [unrolled: 4-line block ×3, first 2 shown]
	v_add_co_u32_e32 v38, vcc, s12, v38
	v_addc_co_u32_e32 v39, vcc, v16, v39, vcc
	global_load_dwordx2 v[40:41], v[9:10], off
	global_load_dwordx2 v[42:43], v[33:34], off
	;; [unrolled: 1-line block ×4, first 2 shown]
	s_waitcnt vmcnt(4)
	v_fma_f64 v[7:8], v[19:20], v[27:28], v[7:8]
	v_mov_b32_e32 v13, v14
	v_fma_f64 v[33:34], v[21:22], v[29:30], v[7:8]
	s_waitcnt vmcnt(3)
	v_fma_f64 v[9:10], v[40:41], v[23:24], v[31:32]
	v_lshlrev_b64 v[23:24], 3, v[12:13]
	v_add_u32_e32 v13, -15, v12
	v_add_co_u32_e32 v23, vcc, s12, v23
	v_addc_co_u32_e32 v24, vcc, v16, v24, vcc
	s_waitcnt vmcnt(2)
	v_fma_f64 v[9:10], v[42:43], v[25:26], v[9:10]
	v_lshlrev_b64 v[25:26], 3, v[13:14]
	v_add_u32_e32 v13, 8, v35
	v_add_co_u32_e32 v25, vcc, s12, v25
	v_lshlrev_b64 v[31:32], 3, v[13:14]
	v_addc_co_u32_e32 v26, vcc, v16, v26, vcc
	v_add_u32_e32 v13, -3, v12
	v_lshlrev_b64 v[7:8], 3, v[13:14]
	v_add_co_u32_e32 v31, vcc, s14, v31
	v_addc_co_u32_e32 v32, vcc, v17, v32, vcc
	v_add_u32_e32 v13, -14, v12
	v_add_co_u32_e32 v35, vcc, s12, v7
	v_addc_co_u32_e32 v36, vcc, v16, v8, vcc
	v_lshlrev_b64 v[7:8], 3, v[13:14]
	v_add_u32_e32 v13, -2, v12
	v_add_co_u32_e32 v37, vcc, s12, v7
	v_addc_co_u32_e32 v38, vcc, v16, v8, vcc
	s_waitcnt vmcnt(1)
	v_fma_f64 v[7:8], v[44:45], v[27:28], v[9:10]
	v_lshlrev_b64 v[9:10], 3, v[13:14]
	v_add_u32_e32 v13, -13, v12
	s_waitcnt vmcnt(0)
	v_fma_f64 v[27:28], v[46:47], v[29:30], v[7:8]
	v_lshlrev_b64 v[7:8], 3, v[13:14]
	v_add_co_u32_e32 v29, vcc, s12, v9
	v_add_u32_e32 v13, -1, v12
	v_addc_co_u32_e32 v30, vcc, v16, v10, vcc
	v_lshlrev_b64 v[9:10], 3, v[13:14]
	v_add_co_u32_e32 v39, vcc, s12, v7
	v_add_u32_e32 v13, -12, v12
	v_addc_co_u32_e32 v40, vcc, v16, v8, vcc
	v_add_co_u32_e32 v41, vcc, s12, v9
	v_lshlrev_b64 v[7:8], 3, v[13:14]
	v_addc_co_u32_e32 v42, vcc, v16, v10, vcc
	v_add_co_u32_e32 v43, vcc, s12, v7
	v_addc_co_u32_e32 v44, vcc, v16, v8, vcc
	global_load_dwordx2 v[45:46], v[25:26], off
	global_load_dwordx4 v[7:10], v[31:32], off
	global_load_dwordx4 v[19:22], v[31:32], off offset:16
	v_cmp_ge_i32_e32 vcc, v6, v18
	s_or_b64 s[0:1], vcc, s[0:1]
	v_add_u32_e32 v12, 0x300, v12
	s_waitcnt vmcnt(1)
	v_fma_f64 v[25:26], v[45:46], v[7:8], v[33:34]
	global_load_dwordx2 v[31:32], v[35:36], off
	global_load_dwordx2 v[33:34], v[37:38], off
	;; [unrolled: 1-line block ×4, first 2 shown]
	s_waitcnt vmcnt(3)
	v_fma_f64 v[7:8], v[31:32], v[7:8], v[27:28]
	global_load_dwordx2 v[27:28], v[41:42], off
	global_load_dwordx2 v[29:30], v[43:44], off
	;; [unrolled: 1-line block ×3, first 2 shown]
	s_waitcnt vmcnt(5)
	v_fma_f64 v[25:26], v[33:34], v[9:10], v[25:26]
	s_waitcnt vmcnt(4)
	v_fma_f64 v[7:8], v[45:46], v[9:10], v[7:8]
	;; [unrolled: 2-line block ×6, first 2 shown]
	s_andn2_b64 exec, exec, s[0:1]
	s_cbranch_execnz .LBB129_15
; %bb.16:
	s_or_b64 exec, exec, s[0:1]
.LBB129_17:
	s_or_b64 exec, exec, s[6:7]
.LBB129_18:
	v_mov_b32_dpp v6, v10 row_shr:1 row_mask:0xf bank_mask:0xf
	v_mov_b32_dpp v7, v11 row_shr:1 row_mask:0xf bank_mask:0xf
	v_add_f64 v[6:7], v[10:11], v[6:7]
	v_mov_b32_dpp v10, v8 row_shr:1 row_mask:0xf bank_mask:0xf
	v_mov_b32_dpp v11, v9 row_shr:1 row_mask:0xf bank_mask:0xf
	v_add_f64 v[8:9], v[8:9], v[10:11]
	v_cmp_eq_u32_e32 vcc, 31, v0
	v_mov_b32_dpp v10, v6 row_shr:2 row_mask:0xf bank_mask:0xf
	v_mov_b32_dpp v11, v7 row_shr:2 row_mask:0xf bank_mask:0xf
	v_add_f64 v[6:7], v[6:7], v[10:11]
	v_mov_b32_dpp v12, v8 row_shr:2 row_mask:0xf bank_mask:0xf
	v_mov_b32_dpp v13, v9 row_shr:2 row_mask:0xf bank_mask:0xf
	v_add_f64 v[8:9], v[8:9], v[12:13]
	;; [unrolled: 3-line block ×6, first 2 shown]
	v_mov_b32_dpp v8, v6 row_bcast:15 row_mask:0xa bank_mask:0xf
	v_mov_b32_dpp v9, v7 row_bcast:15 row_mask:0xa bank_mask:0xf
	;; [unrolled: 1-line block ×4, first 2 shown]
	s_and_b64 exec, exec, vcc
	s_cbranch_execz .LBB129_23
; %bb.19:
	v_add_f64 v[8:9], v[6:7], v[8:9]
	v_add_f64 v[6:7], v[10:11], v[12:13]
	v_cmp_eq_f64_e32 vcc, 0, v[3:4]
	s_load_dwordx2 s[0:1], s[4:5], 0x38
	s_and_saveexec_b64 s[2:3], vcc
	s_xor_b64 s[2:3], exec, s[2:3]
	s_cbranch_execz .LBB129_21
; %bb.20:
	v_mul_f64 v[3:4], v[1:2], v[8:9]
	v_lshlrev_b32_e32 v0, 1, v5
	v_mul_f64 v[5:6], v[1:2], v[6:7]
	v_ashrrev_i32_e32 v1, 31, v0
	v_lshlrev_b64 v[0:1], 3, v[0:1]
	s_waitcnt lgkmcnt(0)
	v_mov_b32_e32 v2, s1
	v_add_co_u32_e32 v0, vcc, s0, v0
	v_addc_co_u32_e32 v1, vcc, v2, v1, vcc
	global_store_dwordx4 v[0:1], v[3:6], off
                                        ; implicit-def: $vgpr5
                                        ; implicit-def: $vgpr1_vgpr2
                                        ; implicit-def: $vgpr8_vgpr9
                                        ; implicit-def: $vgpr3_vgpr4
                                        ; implicit-def: $vgpr6_vgpr7
.LBB129_21:
	s_andn2_saveexec_b64 s[2:3], s[2:3]
	s_cbranch_execz .LBB129_23
; %bb.22:
	v_lshlrev_b32_e32 v10, 1, v5
	v_ashrrev_i32_e32 v11, 31, v10
	v_lshlrev_b64 v[10:11], 3, v[10:11]
	s_waitcnt lgkmcnt(0)
	v_mov_b32_e32 v0, s1
	v_add_co_u32_e32 v14, vcc, s0, v10
	v_addc_co_u32_e32 v15, vcc, v0, v11, vcc
	global_load_dwordx4 v[10:13], v[14:15], off
	v_mul_f64 v[8:9], v[1:2], v[8:9]
	v_mul_f64 v[5:6], v[1:2], v[6:7]
	s_waitcnt vmcnt(0)
	v_fma_f64 v[0:1], v[3:4], v[10:11], v[8:9]
	v_fma_f64 v[2:3], v[3:4], v[12:13], v[5:6]
	global_store_dwordx4 v[14:15], v[0:3], off
.LBB129_23:
	s_endpgm
	.section	.rodata,"a",@progbits
	.p2align	6, 0x0
	.amdhsa_kernel _ZN9rocsparseL19gebsrmvn_2xn_kernelILj128ELj12ELj32EdEEvi20rocsparse_direction_NS_24const_host_device_scalarIT2_EEPKiS6_PKS3_S8_S4_PS3_21rocsparse_index_base_b
		.amdhsa_group_segment_fixed_size 0
		.amdhsa_private_segment_fixed_size 0
		.amdhsa_kernarg_size 72
		.amdhsa_user_sgpr_count 6
		.amdhsa_user_sgpr_private_segment_buffer 1
		.amdhsa_user_sgpr_dispatch_ptr 0
		.amdhsa_user_sgpr_queue_ptr 0
		.amdhsa_user_sgpr_kernarg_segment_ptr 1
		.amdhsa_user_sgpr_dispatch_id 0
		.amdhsa_user_sgpr_flat_scratch_init 0
		.amdhsa_user_sgpr_private_segment_size 0
		.amdhsa_uses_dynamic_stack 0
		.amdhsa_system_sgpr_private_segment_wavefront_offset 0
		.amdhsa_system_sgpr_workgroup_id_x 1
		.amdhsa_system_sgpr_workgroup_id_y 0
		.amdhsa_system_sgpr_workgroup_id_z 0
		.amdhsa_system_sgpr_workgroup_info 0
		.amdhsa_system_vgpr_workitem_id 0
		.amdhsa_next_free_vgpr 53
		.amdhsa_next_free_sgpr 16
		.amdhsa_reserve_vcc 1
		.amdhsa_reserve_flat_scratch 0
		.amdhsa_float_round_mode_32 0
		.amdhsa_float_round_mode_16_64 0
		.amdhsa_float_denorm_mode_32 3
		.amdhsa_float_denorm_mode_16_64 3
		.amdhsa_dx10_clamp 1
		.amdhsa_ieee_mode 1
		.amdhsa_fp16_overflow 0
		.amdhsa_exception_fp_ieee_invalid_op 0
		.amdhsa_exception_fp_denorm_src 0
		.amdhsa_exception_fp_ieee_div_zero 0
		.amdhsa_exception_fp_ieee_overflow 0
		.amdhsa_exception_fp_ieee_underflow 0
		.amdhsa_exception_fp_ieee_inexact 0
		.amdhsa_exception_int_div_zero 0
	.end_amdhsa_kernel
	.section	.text._ZN9rocsparseL19gebsrmvn_2xn_kernelILj128ELj12ELj32EdEEvi20rocsparse_direction_NS_24const_host_device_scalarIT2_EEPKiS6_PKS3_S8_S4_PS3_21rocsparse_index_base_b,"axG",@progbits,_ZN9rocsparseL19gebsrmvn_2xn_kernelILj128ELj12ELj32EdEEvi20rocsparse_direction_NS_24const_host_device_scalarIT2_EEPKiS6_PKS3_S8_S4_PS3_21rocsparse_index_base_b,comdat
.Lfunc_end129:
	.size	_ZN9rocsparseL19gebsrmvn_2xn_kernelILj128ELj12ELj32EdEEvi20rocsparse_direction_NS_24const_host_device_scalarIT2_EEPKiS6_PKS3_S8_S4_PS3_21rocsparse_index_base_b, .Lfunc_end129-_ZN9rocsparseL19gebsrmvn_2xn_kernelILj128ELj12ELj32EdEEvi20rocsparse_direction_NS_24const_host_device_scalarIT2_EEPKiS6_PKS3_S8_S4_PS3_21rocsparse_index_base_b
                                        ; -- End function
	.set _ZN9rocsparseL19gebsrmvn_2xn_kernelILj128ELj12ELj32EdEEvi20rocsparse_direction_NS_24const_host_device_scalarIT2_EEPKiS6_PKS3_S8_S4_PS3_21rocsparse_index_base_b.num_vgpr, 53
	.set _ZN9rocsparseL19gebsrmvn_2xn_kernelILj128ELj12ELj32EdEEvi20rocsparse_direction_NS_24const_host_device_scalarIT2_EEPKiS6_PKS3_S8_S4_PS3_21rocsparse_index_base_b.num_agpr, 0
	.set _ZN9rocsparseL19gebsrmvn_2xn_kernelILj128ELj12ELj32EdEEvi20rocsparse_direction_NS_24const_host_device_scalarIT2_EEPKiS6_PKS3_S8_S4_PS3_21rocsparse_index_base_b.numbered_sgpr, 16
	.set _ZN9rocsparseL19gebsrmvn_2xn_kernelILj128ELj12ELj32EdEEvi20rocsparse_direction_NS_24const_host_device_scalarIT2_EEPKiS6_PKS3_S8_S4_PS3_21rocsparse_index_base_b.num_named_barrier, 0
	.set _ZN9rocsparseL19gebsrmvn_2xn_kernelILj128ELj12ELj32EdEEvi20rocsparse_direction_NS_24const_host_device_scalarIT2_EEPKiS6_PKS3_S8_S4_PS3_21rocsparse_index_base_b.private_seg_size, 0
	.set _ZN9rocsparseL19gebsrmvn_2xn_kernelILj128ELj12ELj32EdEEvi20rocsparse_direction_NS_24const_host_device_scalarIT2_EEPKiS6_PKS3_S8_S4_PS3_21rocsparse_index_base_b.uses_vcc, 1
	.set _ZN9rocsparseL19gebsrmvn_2xn_kernelILj128ELj12ELj32EdEEvi20rocsparse_direction_NS_24const_host_device_scalarIT2_EEPKiS6_PKS3_S8_S4_PS3_21rocsparse_index_base_b.uses_flat_scratch, 0
	.set _ZN9rocsparseL19gebsrmvn_2xn_kernelILj128ELj12ELj32EdEEvi20rocsparse_direction_NS_24const_host_device_scalarIT2_EEPKiS6_PKS3_S8_S4_PS3_21rocsparse_index_base_b.has_dyn_sized_stack, 0
	.set _ZN9rocsparseL19gebsrmvn_2xn_kernelILj128ELj12ELj32EdEEvi20rocsparse_direction_NS_24const_host_device_scalarIT2_EEPKiS6_PKS3_S8_S4_PS3_21rocsparse_index_base_b.has_recursion, 0
	.set _ZN9rocsparseL19gebsrmvn_2xn_kernelILj128ELj12ELj32EdEEvi20rocsparse_direction_NS_24const_host_device_scalarIT2_EEPKiS6_PKS3_S8_S4_PS3_21rocsparse_index_base_b.has_indirect_call, 0
	.section	.AMDGPU.csdata,"",@progbits
; Kernel info:
; codeLenInByte = 2480
; TotalNumSgprs: 20
; NumVgprs: 53
; ScratchSize: 0
; MemoryBound: 1
; FloatMode: 240
; IeeeMode: 1
; LDSByteSize: 0 bytes/workgroup (compile time only)
; SGPRBlocks: 2
; VGPRBlocks: 13
; NumSGPRsForWavesPerEU: 20
; NumVGPRsForWavesPerEU: 53
; Occupancy: 4
; WaveLimiterHint : 1
; COMPUTE_PGM_RSRC2:SCRATCH_EN: 0
; COMPUTE_PGM_RSRC2:USER_SGPR: 6
; COMPUTE_PGM_RSRC2:TRAP_HANDLER: 0
; COMPUTE_PGM_RSRC2:TGID_X_EN: 1
; COMPUTE_PGM_RSRC2:TGID_Y_EN: 0
; COMPUTE_PGM_RSRC2:TGID_Z_EN: 0
; COMPUTE_PGM_RSRC2:TIDIG_COMP_CNT: 0
	.section	.text._ZN9rocsparseL19gebsrmvn_2xn_kernelILj128ELj12ELj64EdEEvi20rocsparse_direction_NS_24const_host_device_scalarIT2_EEPKiS6_PKS3_S8_S4_PS3_21rocsparse_index_base_b,"axG",@progbits,_ZN9rocsparseL19gebsrmvn_2xn_kernelILj128ELj12ELj64EdEEvi20rocsparse_direction_NS_24const_host_device_scalarIT2_EEPKiS6_PKS3_S8_S4_PS3_21rocsparse_index_base_b,comdat
	.globl	_ZN9rocsparseL19gebsrmvn_2xn_kernelILj128ELj12ELj64EdEEvi20rocsparse_direction_NS_24const_host_device_scalarIT2_EEPKiS6_PKS3_S8_S4_PS3_21rocsparse_index_base_b ; -- Begin function _ZN9rocsparseL19gebsrmvn_2xn_kernelILj128ELj12ELj64EdEEvi20rocsparse_direction_NS_24const_host_device_scalarIT2_EEPKiS6_PKS3_S8_S4_PS3_21rocsparse_index_base_b
	.p2align	8
	.type	_ZN9rocsparseL19gebsrmvn_2xn_kernelILj128ELj12ELj64EdEEvi20rocsparse_direction_NS_24const_host_device_scalarIT2_EEPKiS6_PKS3_S8_S4_PS3_21rocsparse_index_base_b,@function
_ZN9rocsparseL19gebsrmvn_2xn_kernelILj128ELj12ELj64EdEEvi20rocsparse_direction_NS_24const_host_device_scalarIT2_EEPKiS6_PKS3_S8_S4_PS3_21rocsparse_index_base_b: ; @_ZN9rocsparseL19gebsrmvn_2xn_kernelILj128ELj12ELj64EdEEvi20rocsparse_direction_NS_24const_host_device_scalarIT2_EEPKiS6_PKS3_S8_S4_PS3_21rocsparse_index_base_b
; %bb.0:
	s_load_dwordx2 s[2:3], s[4:5], 0x40
	s_load_dwordx2 s[10:11], s[4:5], 0x8
	;; [unrolled: 1-line block ×3, first 2 shown]
	s_waitcnt lgkmcnt(0)
	s_bitcmp1_b32 s3, 0
	s_cselect_b64 s[12:13], -1, 0
	v_mov_b32_e32 v1, s10
	s_xor_b64 s[8:9], s[12:13], -1
	s_and_b64 vcc, exec, s[12:13]
	v_mov_b32_e32 v2, s11
	s_cbranch_vccnz .LBB130_2
; %bb.1:
	v_mov_b32_e32 v1, s10
	v_mov_b32_e32 v2, s11
	flat_load_dwordx2 v[1:2], v[1:2]
.LBB130_2:
	v_mov_b32_e32 v4, s1
	s_andn2_b64 vcc, exec, s[8:9]
	v_mov_b32_e32 v3, s0
	s_cbranch_vccnz .LBB130_4
; %bb.3:
	v_mov_b32_e32 v4, s1
	v_mov_b32_e32 v3, s0
	flat_load_dwordx2 v[3:4], v[3:4]
.LBB130_4:
	s_waitcnt vmcnt(0) lgkmcnt(0)
	v_cmp_neq_f64_e32 vcc, 0, v[1:2]
	v_cmp_neq_f64_e64 s[0:1], 1.0, v[3:4]
	s_or_b64 s[0:1], vcc, s[0:1]
	s_and_saveexec_b64 s[8:9], s[0:1]
	s_cbranch_execz .LBB130_23
; %bb.5:
	s_load_dwordx2 s[0:1], s[4:5], 0x0
	v_lshrrev_b32_e32 v5, 6, v0
	v_lshl_or_b32 v5, s6, 1, v5
	s_waitcnt lgkmcnt(0)
	v_cmp_gt_i32_e32 vcc, s0, v5
	s_and_b64 exec, exec, vcc
	s_cbranch_execz .LBB130_23
; %bb.6:
	s_load_dwordx8 s[8:15], s[4:5], 0x10
	v_ashrrev_i32_e32 v6, 31, v5
	v_lshlrev_b64 v[6:7], 2, v[5:6]
	v_and_b32_e32 v0, 63, v0
	s_cmp_lg_u32 s1, 0
	s_waitcnt lgkmcnt(0)
	v_mov_b32_e32 v8, s9
	v_add_co_u32_e32 v6, vcc, s8, v6
	v_addc_co_u32_e32 v7, vcc, v8, v7, vcc
	global_load_dwordx2 v[6:7], v[6:7], off
	s_waitcnt vmcnt(0)
	v_subrev_u32_e32 v6, s2, v6
	v_subrev_u32_e32 v18, s2, v7
	v_add_u32_e32 v6, v6, v0
	v_cmp_lt_i32_e64 s[0:1], v6, v18
	s_cbranch_scc0 .LBB130_12
; %bb.7:
	v_mov_b32_e32 v10, 0
	v_mov_b32_e32 v8, 0
	;; [unrolled: 1-line block ×4, first 2 shown]
	s_and_saveexec_b64 s[6:7], s[0:1]
	s_cbranch_execz .LBB130_11
; %bb.8:
	v_mad_u64_u32 v[12:13], s[8:9], v6, 24, 22
	v_mov_b32_e32 v10, 0
	v_mov_b32_e32 v8, 0
	;; [unrolled: 1-line block ×3, first 2 shown]
	s_mov_b64 s[8:9], 0
	v_mov_b32_e32 v7, s11
	v_mov_b32_e32 v15, 0
	;; [unrolled: 1-line block ×6, first 2 shown]
.LBB130_9:                              ; =>This Inner Loop Header: Depth=1
	v_ashrrev_i32_e32 v17, 31, v16
	v_lshlrev_b64 v[21:22], 2, v[16:17]
	v_subrev_u32_e32 v14, 22, v12
	v_lshlrev_b64 v[23:24], 3, v[14:15]
	v_add_co_u32_e32 v37, vcc, s10, v21
	v_mov_b32_e32 v13, v15
	v_addc_co_u32_e32 v38, vcc, v7, v22, vcc
	v_lshlrev_b64 v[25:26], 3, v[12:13]
	v_add_co_u32_e32 v39, vcc, s12, v23
	v_addc_co_u32_e32 v40, vcc, v19, v24, vcc
	v_add_co_u32_e32 v47, vcc, s12, v25
	v_addc_co_u32_e32 v48, vcc, v19, v26, vcc
	global_load_dword v17, v[37:38], off
	global_load_dwordx4 v[21:24], v[39:40], off
	global_load_dwordx4 v[25:28], v[39:40], off offset:16
	global_load_dwordx4 v[29:32], v[39:40], off offset:32
	;; [unrolled: 1-line block ×3, first 2 shown]
	v_add_u32_e32 v14, -14, v12
	v_lshlrev_b64 v[13:14], 3, v[14:15]
	v_mov_b32_e32 v46, v15
	v_add_co_u32_e32 v13, vcc, s12, v13
	v_addc_co_u32_e32 v14, vcc, v19, v14, vcc
	v_add_u32_e32 v16, 64, v16
	s_waitcnt vmcnt(4)
	v_subrev_u32_e32 v17, s2, v17
	v_mul_lo_u32 v45, v17, 12
	v_lshlrev_b64 v[37:38], 3, v[45:46]
	v_add_co_u32_e32 v49, vcc, s14, v37
	v_addc_co_u32_e32 v50, vcc, v20, v38, vcc
	global_load_dwordx4 v[37:40], v[49:50], off
	global_load_dwordx4 v[41:44], v[49:50], off offset:16
	s_waitcnt vmcnt(1)
	v_fma_f64 v[21:22], v[21:22], v[37:38], v[10:11]
	v_fma_f64 v[23:24], v[23:24], v[37:38], v[8:9]
	global_load_dwordx4 v[8:11], v[13:14], off
	v_add_u32_e32 v14, 4, v45
	v_lshlrev_b64 v[37:38], 3, v[14:15]
	v_add_u32_e32 v14, -12, v12
	v_add_co_u32_e32 v37, vcc, s14, v37
	v_fma_f64 v[25:26], v[25:26], v[39:40], v[21:22]
	v_fma_f64 v[27:28], v[27:28], v[39:40], v[23:24]
	v_lshlrev_b64 v[21:22], 3, v[14:15]
	v_addc_co_u32_e32 v38, vcc, v20, v38, vcc
	v_add_co_u32_e32 v49, vcc, s12, v21
	v_addc_co_u32_e32 v50, vcc, v19, v22, vcc
	global_load_dwordx4 v[21:24], v[37:38], off
	s_waitcnt vmcnt(2)
	v_fma_f64 v[29:30], v[29:30], v[41:42], v[25:26]
	v_fma_f64 v[31:32], v[31:32], v[41:42], v[27:28]
	v_add_u32_e32 v14, -10, v12
	v_lshlrev_b64 v[39:40], 3, v[14:15]
	global_load_dwordx4 v[25:28], v[37:38], off offset:16
	v_add_u32_e32 v14, -8, v12
	v_lshlrev_b64 v[37:38], 3, v[14:15]
	v_add_u32_e32 v14, -6, v12
	v_fma_f64 v[41:42], v[33:34], v[43:44], v[29:30]
	v_fma_f64 v[43:44], v[35:36], v[43:44], v[31:32]
	global_load_dwordx4 v[29:32], v[49:50], off
	v_add_co_u32_e32 v33, vcc, s12, v39
	v_addc_co_u32_e32 v34, vcc, v19, v40, vcc
	global_load_dwordx4 v[33:36], v[33:34], off
	v_lshlrev_b64 v[39:40], 3, v[14:15]
	v_add_co_u32_e32 v37, vcc, s12, v37
	v_addc_co_u32_e32 v38, vcc, v19, v38, vcc
	v_add_co_u32_e32 v49, vcc, s12, v39
	v_addc_co_u32_e32 v50, vcc, v19, v40, vcc
	global_load_dwordx4 v[37:40], v[37:38], off
	v_add_u32_e32 v14, 8, v45
	v_lshlrev_b64 v[45:46], 3, v[14:15]
	v_add_u32_e32 v14, -4, v12
	v_add_co_u32_e32 v45, vcc, s14, v45
	v_addc_co_u32_e32 v46, vcc, v20, v46, vcc
	s_waitcnt vmcnt(4)
	v_fma_f64 v[41:42], v[8:9], v[21:22], v[41:42]
	v_fma_f64 v[21:22], v[10:11], v[21:22], v[43:44]
	global_load_dwordx4 v[8:11], v[49:50], off
	v_lshlrev_b64 v[43:44], 3, v[14:15]
	v_add_u32_e32 v14, -2, v12
	v_lshlrev_b64 v[13:14], 3, v[14:15]
	v_add_u32_e32 v12, 0x600, v12
	s_waitcnt vmcnt(3)
	v_fma_f64 v[41:42], v[29:30], v[23:24], v[41:42]
	v_fma_f64 v[49:50], v[31:32], v[23:24], v[21:22]
	global_load_dwordx4 v[21:24], v[45:46], off
	v_add_co_u32_e32 v29, vcc, s12, v43
	v_addc_co_u32_e32 v30, vcc, v19, v44, vcc
	global_load_dwordx4 v[29:32], v[29:30], off
	v_add_co_u32_e32 v13, vcc, s12, v13
	v_addc_co_u32_e32 v14, vcc, v19, v14, vcc
	s_waitcnt vmcnt(4)
	v_fma_f64 v[51:52], v[33:34], v[25:26], v[41:42]
	v_fma_f64 v[25:26], v[35:36], v[25:26], v[49:50]
	global_load_dwordx4 v[33:36], v[45:46], off offset:16
	global_load_dwordx4 v[41:44], v[13:14], off
	v_cmp_ge_i32_e32 vcc, v16, v18
	s_or_b64 s[8:9], vcc, s[8:9]
	s_waitcnt vmcnt(5)
	v_fma_f64 v[13:14], v[37:38], v[27:28], v[51:52]
	v_fma_f64 v[37:38], v[39:40], v[27:28], v[25:26]
	global_load_dwordx4 v[25:28], v[47:48], off
	s_waitcnt vmcnt(4)
	v_fma_f64 v[8:9], v[8:9], v[21:22], v[13:14]
	v_fma_f64 v[10:11], v[10:11], v[21:22], v[37:38]
	s_waitcnt vmcnt(3)
	v_fma_f64 v[8:9], v[29:30], v[23:24], v[8:9]
	v_fma_f64 v[10:11], v[31:32], v[23:24], v[10:11]
	s_waitcnt vmcnt(1)
	v_fma_f64 v[8:9], v[41:42], v[33:34], v[8:9]
	v_fma_f64 v[13:14], v[43:44], v[33:34], v[10:11]
	s_waitcnt vmcnt(0)
	v_fma_f64 v[10:11], v[25:26], v[35:36], v[8:9]
	v_fma_f64 v[8:9], v[27:28], v[35:36], v[13:14]
	s_andn2_b64 exec, exec, s[8:9]
	s_cbranch_execnz .LBB130_9
; %bb.10:
	s_or_b64 exec, exec, s[8:9]
.LBB130_11:
	s_or_b64 exec, exec, s[6:7]
	s_cbranch_execz .LBB130_13
	s_branch .LBB130_18
.LBB130_12:
                                        ; implicit-def: $vgpr10_vgpr11
                                        ; implicit-def: $vgpr8_vgpr9
.LBB130_13:
	v_mov_b32_e32 v10, 0
	v_mov_b32_e32 v8, 0
	;; [unrolled: 1-line block ×4, first 2 shown]
	s_and_saveexec_b64 s[6:7], s[0:1]
	s_cbranch_execz .LBB130_17
; %bb.14:
	v_mad_u64_u32 v[12:13], s[0:1], v6, 24, 23
	v_mov_b32_e32 v10, 0
	v_mov_b32_e32 v8, 0
	;; [unrolled: 1-line block ×3, first 2 shown]
	s_mov_b64 s[0:1], 0
	v_mov_b32_e32 v15, s11
	v_mov_b32_e32 v14, 0
	;; [unrolled: 1-line block ×5, first 2 shown]
.LBB130_15:                             ; =>This Inner Loop Header: Depth=1
	v_ashrrev_i32_e32 v7, 31, v6
	v_lshlrev_b64 v[19:20], 2, v[6:7]
	v_subrev_u32_e32 v13, 23, v12
	v_lshlrev_b64 v[21:22], 3, v[13:14]
	v_add_co_u32_e32 v27, vcc, s10, v19
	v_addc_co_u32_e32 v28, vcc, v15, v20, vcc
	v_add_co_u32_e32 v37, vcc, s12, v21
	v_addc_co_u32_e32 v38, vcc, v16, v22, vcc
	global_load_dword v7, v[27:28], off
	global_load_dwordx4 v[19:22], v[37:38], off
	global_load_dwordx4 v[23:26], v[37:38], off offset:16
	v_mov_b32_e32 v36, v14
	v_add_u32_e32 v13, -10, v12
	v_add_u32_e32 v6, 64, v6
	s_waitcnt vmcnt(2)
	v_subrev_u32_e32 v7, s2, v7
	v_mul_lo_u32 v35, v7, 12
	v_lshlrev_b64 v[27:28], 3, v[35:36]
	v_add_co_u32_e32 v39, vcc, s14, v27
	v_addc_co_u32_e32 v40, vcc, v17, v28, vcc
	global_load_dwordx4 v[27:30], v[39:40], off
	global_load_dwordx4 v[31:34], v[39:40], off offset:16
	s_waitcnt vmcnt(1)
	v_fma_f64 v[10:11], v[19:20], v[27:28], v[10:11]
	v_add_u32_e32 v19, -11, v12
	v_mov_b32_e32 v20, v14
	v_lshlrev_b64 v[19:20], 3, v[19:20]
	v_add_co_u32_e32 v19, vcc, s12, v19
	v_addc_co_u32_e32 v20, vcc, v16, v20, vcc
	v_fma_f64 v[10:11], v[21:22], v[29:30], v[10:11]
	v_lshlrev_b64 v[21:22], 3, v[13:14]
	v_add_u32_e32 v13, -9, v12
	v_add_co_u32_e32 v21, vcc, s12, v21
	v_lshlrev_b64 v[39:40], 3, v[13:14]
	v_addc_co_u32_e32 v22, vcc, v16, v22, vcc
	v_add_u32_e32 v13, -8, v12
	v_add_co_u32_e32 v39, vcc, s12, v39
	v_lshlrev_b64 v[41:42], 3, v[13:14]
	v_addc_co_u32_e32 v40, vcc, v16, v40, vcc
	v_add_co_u32_e32 v41, vcc, s12, v41
	v_addc_co_u32_e32 v42, vcc, v16, v42, vcc
	global_load_dwordx2 v[43:44], v[19:20], off
	global_load_dwordx2 v[45:46], v[21:22], off
	;; [unrolled: 1-line block ×4, first 2 shown]
	v_add_u32_e32 v13, 4, v35
	s_waitcnt vmcnt(3)
	v_fma_f64 v[7:8], v[43:44], v[27:28], v[8:9]
	s_waitcnt vmcnt(2)
	v_fma_f64 v[19:20], v[45:46], v[29:30], v[7:8]
	v_lshlrev_b64 v[7:8], 3, v[13:14]
	v_add_u32_e32 v13, -7, v12
	v_add_co_u32_e32 v39, vcc, s14, v7
	v_addc_co_u32_e32 v40, vcc, v17, v8, vcc
	v_fma_f64 v[7:8], v[23:24], v[31:32], v[10:11]
	s_waitcnt vmcnt(1)
	v_fma_f64 v[23:24], v[47:48], v[31:32], v[19:20]
	global_load_dwordx4 v[19:22], v[37:38], off offset:48
	v_fma_f64 v[41:42], v[25:26], v[33:34], v[7:8]
	global_load_dwordx4 v[7:10], v[37:38], off offset:32
	s_waitcnt vmcnt(2)
	v_fma_f64 v[31:32], v[49:50], v[33:34], v[23:24]
	global_load_dwordx4 v[23:26], v[39:40], off
	global_load_dwordx4 v[27:30], v[39:40], off offset:16
	s_waitcnt vmcnt(1)
	v_fma_f64 v[7:8], v[7:8], v[23:24], v[41:42]
	v_fma_f64 v[7:8], v[9:10], v[25:26], v[7:8]
	v_lshlrev_b64 v[9:10], 3, v[13:14]
	v_add_u32_e32 v13, -6, v12
	v_add_co_u32_e32 v9, vcc, s12, v9
	v_lshlrev_b64 v[33:34], 3, v[13:14]
	v_addc_co_u32_e32 v10, vcc, v16, v10, vcc
	v_add_u32_e32 v13, -5, v12
	v_add_co_u32_e32 v33, vcc, s12, v33
	v_lshlrev_b64 v[36:37], 3, v[13:14]
	v_addc_co_u32_e32 v34, vcc, v16, v34, vcc
	v_add_u32_e32 v13, -4, v12
	v_add_co_u32_e32 v36, vcc, s12, v36
	v_lshlrev_b64 v[38:39], 3, v[13:14]
	v_addc_co_u32_e32 v37, vcc, v16, v37, vcc
	v_add_co_u32_e32 v38, vcc, s12, v38
	v_addc_co_u32_e32 v39, vcc, v16, v39, vcc
	global_load_dwordx2 v[40:41], v[9:10], off
	global_load_dwordx2 v[42:43], v[33:34], off
	;; [unrolled: 1-line block ×4, first 2 shown]
	s_waitcnt vmcnt(4)
	v_fma_f64 v[7:8], v[19:20], v[27:28], v[7:8]
	v_mov_b32_e32 v13, v14
	v_fma_f64 v[33:34], v[21:22], v[29:30], v[7:8]
	s_waitcnt vmcnt(3)
	v_fma_f64 v[9:10], v[40:41], v[23:24], v[31:32]
	v_lshlrev_b64 v[23:24], 3, v[12:13]
	v_add_u32_e32 v13, -15, v12
	v_add_co_u32_e32 v23, vcc, s12, v23
	v_addc_co_u32_e32 v24, vcc, v16, v24, vcc
	s_waitcnt vmcnt(2)
	v_fma_f64 v[9:10], v[42:43], v[25:26], v[9:10]
	v_lshlrev_b64 v[25:26], 3, v[13:14]
	v_add_u32_e32 v13, 8, v35
	v_add_co_u32_e32 v25, vcc, s12, v25
	v_lshlrev_b64 v[31:32], 3, v[13:14]
	v_addc_co_u32_e32 v26, vcc, v16, v26, vcc
	v_add_u32_e32 v13, -3, v12
	v_lshlrev_b64 v[7:8], 3, v[13:14]
	v_add_co_u32_e32 v31, vcc, s14, v31
	v_addc_co_u32_e32 v32, vcc, v17, v32, vcc
	v_add_u32_e32 v13, -14, v12
	v_add_co_u32_e32 v35, vcc, s12, v7
	v_addc_co_u32_e32 v36, vcc, v16, v8, vcc
	v_lshlrev_b64 v[7:8], 3, v[13:14]
	v_add_u32_e32 v13, -2, v12
	v_add_co_u32_e32 v37, vcc, s12, v7
	v_addc_co_u32_e32 v38, vcc, v16, v8, vcc
	s_waitcnt vmcnt(1)
	v_fma_f64 v[7:8], v[44:45], v[27:28], v[9:10]
	v_lshlrev_b64 v[9:10], 3, v[13:14]
	v_add_u32_e32 v13, -13, v12
	s_waitcnt vmcnt(0)
	v_fma_f64 v[27:28], v[46:47], v[29:30], v[7:8]
	v_lshlrev_b64 v[7:8], 3, v[13:14]
	v_add_co_u32_e32 v29, vcc, s12, v9
	v_add_u32_e32 v13, -1, v12
	v_addc_co_u32_e32 v30, vcc, v16, v10, vcc
	v_lshlrev_b64 v[9:10], 3, v[13:14]
	v_add_co_u32_e32 v39, vcc, s12, v7
	v_add_u32_e32 v13, -12, v12
	v_addc_co_u32_e32 v40, vcc, v16, v8, vcc
	v_add_co_u32_e32 v41, vcc, s12, v9
	v_lshlrev_b64 v[7:8], 3, v[13:14]
	v_addc_co_u32_e32 v42, vcc, v16, v10, vcc
	v_add_co_u32_e32 v43, vcc, s12, v7
	v_addc_co_u32_e32 v44, vcc, v16, v8, vcc
	global_load_dwordx2 v[45:46], v[25:26], off
	global_load_dwordx4 v[7:10], v[31:32], off
	global_load_dwordx4 v[19:22], v[31:32], off offset:16
	v_cmp_ge_i32_e32 vcc, v6, v18
	s_or_b64 s[0:1], vcc, s[0:1]
	v_add_u32_e32 v12, 0x600, v12
	s_waitcnt vmcnt(1)
	v_fma_f64 v[25:26], v[45:46], v[7:8], v[33:34]
	global_load_dwordx2 v[31:32], v[35:36], off
	global_load_dwordx2 v[33:34], v[37:38], off
	;; [unrolled: 1-line block ×4, first 2 shown]
	s_waitcnt vmcnt(3)
	v_fma_f64 v[7:8], v[31:32], v[7:8], v[27:28]
	global_load_dwordx2 v[27:28], v[41:42], off
	global_load_dwordx2 v[29:30], v[43:44], off
	;; [unrolled: 1-line block ×3, first 2 shown]
	s_waitcnt vmcnt(5)
	v_fma_f64 v[25:26], v[33:34], v[9:10], v[25:26]
	s_waitcnt vmcnt(4)
	v_fma_f64 v[7:8], v[45:46], v[9:10], v[7:8]
	;; [unrolled: 2-line block ×6, first 2 shown]
	s_andn2_b64 exec, exec, s[0:1]
	s_cbranch_execnz .LBB130_15
; %bb.16:
	s_or_b64 exec, exec, s[0:1]
.LBB130_17:
	s_or_b64 exec, exec, s[6:7]
.LBB130_18:
	v_mov_b32_dpp v6, v10 row_shr:1 row_mask:0xf bank_mask:0xf
	v_mov_b32_dpp v7, v11 row_shr:1 row_mask:0xf bank_mask:0xf
	v_add_f64 v[6:7], v[10:11], v[6:7]
	v_mov_b32_dpp v10, v8 row_shr:1 row_mask:0xf bank_mask:0xf
	v_mov_b32_dpp v11, v9 row_shr:1 row_mask:0xf bank_mask:0xf
	v_add_f64 v[8:9], v[8:9], v[10:11]
	v_cmp_eq_u32_e32 vcc, 63, v0
	v_mov_b32_dpp v10, v6 row_shr:2 row_mask:0xf bank_mask:0xf
	v_mov_b32_dpp v11, v7 row_shr:2 row_mask:0xf bank_mask:0xf
	v_add_f64 v[6:7], v[6:7], v[10:11]
	v_mov_b32_dpp v12, v8 row_shr:2 row_mask:0xf bank_mask:0xf
	v_mov_b32_dpp v13, v9 row_shr:2 row_mask:0xf bank_mask:0xf
	v_add_f64 v[8:9], v[8:9], v[12:13]
	;; [unrolled: 3-line block ×6, first 2 shown]
	v_mov_b32_dpp v10, v6 row_bcast:15 row_mask:0xa bank_mask:0xf
	v_mov_b32_dpp v11, v7 row_bcast:15 row_mask:0xa bank_mask:0xf
	v_add_f64 v[6:7], v[6:7], v[10:11]
	v_mov_b32_dpp v12, v8 row_bcast:15 row_mask:0xa bank_mask:0xf
	v_mov_b32_dpp v13, v9 row_bcast:15 row_mask:0xa bank_mask:0xf
	v_add_f64 v[10:11], v[8:9], v[12:13]
	v_mov_b32_dpp v8, v6 row_bcast:31 row_mask:0xc bank_mask:0xf
	v_mov_b32_dpp v9, v7 row_bcast:31 row_mask:0xc bank_mask:0xf
	;; [unrolled: 1-line block ×4, first 2 shown]
	s_and_b64 exec, exec, vcc
	s_cbranch_execz .LBB130_23
; %bb.19:
	v_add_f64 v[8:9], v[6:7], v[8:9]
	v_add_f64 v[6:7], v[10:11], v[12:13]
	v_cmp_eq_f64_e32 vcc, 0, v[3:4]
	s_load_dwordx2 s[0:1], s[4:5], 0x38
	s_and_saveexec_b64 s[2:3], vcc
	s_xor_b64 s[2:3], exec, s[2:3]
	s_cbranch_execz .LBB130_21
; %bb.20:
	v_mul_f64 v[3:4], v[1:2], v[8:9]
	v_lshlrev_b32_e32 v0, 1, v5
	v_mul_f64 v[5:6], v[1:2], v[6:7]
	v_ashrrev_i32_e32 v1, 31, v0
	v_lshlrev_b64 v[0:1], 3, v[0:1]
	s_waitcnt lgkmcnt(0)
	v_mov_b32_e32 v2, s1
	v_add_co_u32_e32 v0, vcc, s0, v0
	v_addc_co_u32_e32 v1, vcc, v2, v1, vcc
	global_store_dwordx4 v[0:1], v[3:6], off
                                        ; implicit-def: $vgpr5
                                        ; implicit-def: $vgpr1_vgpr2
                                        ; implicit-def: $vgpr8_vgpr9
                                        ; implicit-def: $vgpr3_vgpr4
                                        ; implicit-def: $vgpr6_vgpr7
.LBB130_21:
	s_andn2_saveexec_b64 s[2:3], s[2:3]
	s_cbranch_execz .LBB130_23
; %bb.22:
	v_lshlrev_b32_e32 v10, 1, v5
	v_ashrrev_i32_e32 v11, 31, v10
	v_lshlrev_b64 v[10:11], 3, v[10:11]
	s_waitcnt lgkmcnt(0)
	v_mov_b32_e32 v0, s1
	v_add_co_u32_e32 v14, vcc, s0, v10
	v_addc_co_u32_e32 v15, vcc, v0, v11, vcc
	global_load_dwordx4 v[10:13], v[14:15], off
	v_mul_f64 v[8:9], v[1:2], v[8:9]
	v_mul_f64 v[5:6], v[1:2], v[6:7]
	s_waitcnt vmcnt(0)
	v_fma_f64 v[0:1], v[3:4], v[10:11], v[8:9]
	v_fma_f64 v[2:3], v[3:4], v[12:13], v[5:6]
	global_store_dwordx4 v[14:15], v[0:3], off
.LBB130_23:
	s_endpgm
	.section	.rodata,"a",@progbits
	.p2align	6, 0x0
	.amdhsa_kernel _ZN9rocsparseL19gebsrmvn_2xn_kernelILj128ELj12ELj64EdEEvi20rocsparse_direction_NS_24const_host_device_scalarIT2_EEPKiS6_PKS3_S8_S4_PS3_21rocsparse_index_base_b
		.amdhsa_group_segment_fixed_size 0
		.amdhsa_private_segment_fixed_size 0
		.amdhsa_kernarg_size 72
		.amdhsa_user_sgpr_count 6
		.amdhsa_user_sgpr_private_segment_buffer 1
		.amdhsa_user_sgpr_dispatch_ptr 0
		.amdhsa_user_sgpr_queue_ptr 0
		.amdhsa_user_sgpr_kernarg_segment_ptr 1
		.amdhsa_user_sgpr_dispatch_id 0
		.amdhsa_user_sgpr_flat_scratch_init 0
		.amdhsa_user_sgpr_private_segment_size 0
		.amdhsa_uses_dynamic_stack 0
		.amdhsa_system_sgpr_private_segment_wavefront_offset 0
		.amdhsa_system_sgpr_workgroup_id_x 1
		.amdhsa_system_sgpr_workgroup_id_y 0
		.amdhsa_system_sgpr_workgroup_id_z 0
		.amdhsa_system_sgpr_workgroup_info 0
		.amdhsa_system_vgpr_workitem_id 0
		.amdhsa_next_free_vgpr 53
		.amdhsa_next_free_sgpr 16
		.amdhsa_reserve_vcc 1
		.amdhsa_reserve_flat_scratch 0
		.amdhsa_float_round_mode_32 0
		.amdhsa_float_round_mode_16_64 0
		.amdhsa_float_denorm_mode_32 3
		.amdhsa_float_denorm_mode_16_64 3
		.amdhsa_dx10_clamp 1
		.amdhsa_ieee_mode 1
		.amdhsa_fp16_overflow 0
		.amdhsa_exception_fp_ieee_invalid_op 0
		.amdhsa_exception_fp_denorm_src 0
		.amdhsa_exception_fp_ieee_div_zero 0
		.amdhsa_exception_fp_ieee_overflow 0
		.amdhsa_exception_fp_ieee_underflow 0
		.amdhsa_exception_fp_ieee_inexact 0
		.amdhsa_exception_int_div_zero 0
	.end_amdhsa_kernel
	.section	.text._ZN9rocsparseL19gebsrmvn_2xn_kernelILj128ELj12ELj64EdEEvi20rocsparse_direction_NS_24const_host_device_scalarIT2_EEPKiS6_PKS3_S8_S4_PS3_21rocsparse_index_base_b,"axG",@progbits,_ZN9rocsparseL19gebsrmvn_2xn_kernelILj128ELj12ELj64EdEEvi20rocsparse_direction_NS_24const_host_device_scalarIT2_EEPKiS6_PKS3_S8_S4_PS3_21rocsparse_index_base_b,comdat
.Lfunc_end130:
	.size	_ZN9rocsparseL19gebsrmvn_2xn_kernelILj128ELj12ELj64EdEEvi20rocsparse_direction_NS_24const_host_device_scalarIT2_EEPKiS6_PKS3_S8_S4_PS3_21rocsparse_index_base_b, .Lfunc_end130-_ZN9rocsparseL19gebsrmvn_2xn_kernelILj128ELj12ELj64EdEEvi20rocsparse_direction_NS_24const_host_device_scalarIT2_EEPKiS6_PKS3_S8_S4_PS3_21rocsparse_index_base_b
                                        ; -- End function
	.set _ZN9rocsparseL19gebsrmvn_2xn_kernelILj128ELj12ELj64EdEEvi20rocsparse_direction_NS_24const_host_device_scalarIT2_EEPKiS6_PKS3_S8_S4_PS3_21rocsparse_index_base_b.num_vgpr, 53
	.set _ZN9rocsparseL19gebsrmvn_2xn_kernelILj128ELj12ELj64EdEEvi20rocsparse_direction_NS_24const_host_device_scalarIT2_EEPKiS6_PKS3_S8_S4_PS3_21rocsparse_index_base_b.num_agpr, 0
	.set _ZN9rocsparseL19gebsrmvn_2xn_kernelILj128ELj12ELj64EdEEvi20rocsparse_direction_NS_24const_host_device_scalarIT2_EEPKiS6_PKS3_S8_S4_PS3_21rocsparse_index_base_b.numbered_sgpr, 16
	.set _ZN9rocsparseL19gebsrmvn_2xn_kernelILj128ELj12ELj64EdEEvi20rocsparse_direction_NS_24const_host_device_scalarIT2_EEPKiS6_PKS3_S8_S4_PS3_21rocsparse_index_base_b.num_named_barrier, 0
	.set _ZN9rocsparseL19gebsrmvn_2xn_kernelILj128ELj12ELj64EdEEvi20rocsparse_direction_NS_24const_host_device_scalarIT2_EEPKiS6_PKS3_S8_S4_PS3_21rocsparse_index_base_b.private_seg_size, 0
	.set _ZN9rocsparseL19gebsrmvn_2xn_kernelILj128ELj12ELj64EdEEvi20rocsparse_direction_NS_24const_host_device_scalarIT2_EEPKiS6_PKS3_S8_S4_PS3_21rocsparse_index_base_b.uses_vcc, 1
	.set _ZN9rocsparseL19gebsrmvn_2xn_kernelILj128ELj12ELj64EdEEvi20rocsparse_direction_NS_24const_host_device_scalarIT2_EEPKiS6_PKS3_S8_S4_PS3_21rocsparse_index_base_b.uses_flat_scratch, 0
	.set _ZN9rocsparseL19gebsrmvn_2xn_kernelILj128ELj12ELj64EdEEvi20rocsparse_direction_NS_24const_host_device_scalarIT2_EEPKiS6_PKS3_S8_S4_PS3_21rocsparse_index_base_b.has_dyn_sized_stack, 0
	.set _ZN9rocsparseL19gebsrmvn_2xn_kernelILj128ELj12ELj64EdEEvi20rocsparse_direction_NS_24const_host_device_scalarIT2_EEPKiS6_PKS3_S8_S4_PS3_21rocsparse_index_base_b.has_recursion, 0
	.set _ZN9rocsparseL19gebsrmvn_2xn_kernelILj128ELj12ELj64EdEEvi20rocsparse_direction_NS_24const_host_device_scalarIT2_EEPKiS6_PKS3_S8_S4_PS3_21rocsparse_index_base_b.has_indirect_call, 0
	.section	.AMDGPU.csdata,"",@progbits
; Kernel info:
; codeLenInByte = 2528
; TotalNumSgprs: 20
; NumVgprs: 53
; ScratchSize: 0
; MemoryBound: 1
; FloatMode: 240
; IeeeMode: 1
; LDSByteSize: 0 bytes/workgroup (compile time only)
; SGPRBlocks: 2
; VGPRBlocks: 13
; NumSGPRsForWavesPerEU: 20
; NumVGPRsForWavesPerEU: 53
; Occupancy: 4
; WaveLimiterHint : 1
; COMPUTE_PGM_RSRC2:SCRATCH_EN: 0
; COMPUTE_PGM_RSRC2:USER_SGPR: 6
; COMPUTE_PGM_RSRC2:TRAP_HANDLER: 0
; COMPUTE_PGM_RSRC2:TGID_X_EN: 1
; COMPUTE_PGM_RSRC2:TGID_Y_EN: 0
; COMPUTE_PGM_RSRC2:TGID_Z_EN: 0
; COMPUTE_PGM_RSRC2:TIDIG_COMP_CNT: 0
	.section	.text._ZN9rocsparseL19gebsrmvn_2xn_kernelILj128ELj13ELj4EdEEvi20rocsparse_direction_NS_24const_host_device_scalarIT2_EEPKiS6_PKS3_S8_S4_PS3_21rocsparse_index_base_b,"axG",@progbits,_ZN9rocsparseL19gebsrmvn_2xn_kernelILj128ELj13ELj4EdEEvi20rocsparse_direction_NS_24const_host_device_scalarIT2_EEPKiS6_PKS3_S8_S4_PS3_21rocsparse_index_base_b,comdat
	.globl	_ZN9rocsparseL19gebsrmvn_2xn_kernelILj128ELj13ELj4EdEEvi20rocsparse_direction_NS_24const_host_device_scalarIT2_EEPKiS6_PKS3_S8_S4_PS3_21rocsparse_index_base_b ; -- Begin function _ZN9rocsparseL19gebsrmvn_2xn_kernelILj128ELj13ELj4EdEEvi20rocsparse_direction_NS_24const_host_device_scalarIT2_EEPKiS6_PKS3_S8_S4_PS3_21rocsparse_index_base_b
	.p2align	8
	.type	_ZN9rocsparseL19gebsrmvn_2xn_kernelILj128ELj13ELj4EdEEvi20rocsparse_direction_NS_24const_host_device_scalarIT2_EEPKiS6_PKS3_S8_S4_PS3_21rocsparse_index_base_b,@function
_ZN9rocsparseL19gebsrmvn_2xn_kernelILj128ELj13ELj4EdEEvi20rocsparse_direction_NS_24const_host_device_scalarIT2_EEPKiS6_PKS3_S8_S4_PS3_21rocsparse_index_base_b: ; @_ZN9rocsparseL19gebsrmvn_2xn_kernelILj128ELj13ELj4EdEEvi20rocsparse_direction_NS_24const_host_device_scalarIT2_EEPKiS6_PKS3_S8_S4_PS3_21rocsparse_index_base_b
; %bb.0:
	s_load_dwordx2 s[2:3], s[4:5], 0x40
	s_load_dwordx2 s[10:11], s[4:5], 0x8
	;; [unrolled: 1-line block ×3, first 2 shown]
	s_waitcnt lgkmcnt(0)
	s_bitcmp1_b32 s3, 0
	s_cselect_b64 s[12:13], -1, 0
	v_mov_b32_e32 v1, s10
	s_xor_b64 s[8:9], s[12:13], -1
	s_and_b64 vcc, exec, s[12:13]
	v_mov_b32_e32 v2, s11
	s_cbranch_vccnz .LBB131_2
; %bb.1:
	v_mov_b32_e32 v1, s10
	v_mov_b32_e32 v2, s11
	flat_load_dwordx2 v[1:2], v[1:2]
.LBB131_2:
	v_mov_b32_e32 v4, s1
	s_andn2_b64 vcc, exec, s[8:9]
	v_mov_b32_e32 v3, s0
	s_cbranch_vccnz .LBB131_4
; %bb.3:
	v_mov_b32_e32 v4, s1
	v_mov_b32_e32 v3, s0
	flat_load_dwordx2 v[3:4], v[3:4]
.LBB131_4:
	s_waitcnt vmcnt(0) lgkmcnt(0)
	v_cmp_neq_f64_e32 vcc, 0, v[1:2]
	v_cmp_neq_f64_e64 s[0:1], 1.0, v[3:4]
	s_or_b64 s[0:1], vcc, s[0:1]
	s_and_saveexec_b64 s[8:9], s[0:1]
	s_cbranch_execz .LBB131_23
; %bb.5:
	s_load_dwordx2 s[0:1], s[4:5], 0x0
	v_lshrrev_b32_e32 v5, 2, v0
	v_lshl_or_b32 v5, s6, 5, v5
	s_waitcnt lgkmcnt(0)
	v_cmp_gt_i32_e32 vcc, s0, v5
	s_and_b64 exec, exec, vcc
	s_cbranch_execz .LBB131_23
; %bb.6:
	s_load_dwordx8 s[8:15], s[4:5], 0x10
	v_ashrrev_i32_e32 v6, 31, v5
	v_lshlrev_b64 v[6:7], 2, v[5:6]
	v_and_b32_e32 v0, 3, v0
	s_cmp_lg_u32 s1, 0
	s_waitcnt lgkmcnt(0)
	v_mov_b32_e32 v8, s9
	v_add_co_u32_e32 v6, vcc, s8, v6
	v_addc_co_u32_e32 v7, vcc, v8, v7, vcc
	global_load_dwordx2 v[6:7], v[6:7], off
	s_waitcnt vmcnt(0)
	v_subrev_u32_e32 v6, s2, v6
	v_subrev_u32_e32 v18, s2, v7
	v_add_u32_e32 v6, v6, v0
	v_cmp_lt_i32_e64 s[0:1], v6, v18
	s_cbranch_scc0 .LBB131_12
; %bb.7:
	v_mov_b32_e32 v8, 0
	v_mov_b32_e32 v10, 0
	;; [unrolled: 1-line block ×4, first 2 shown]
	s_and_saveexec_b64 s[6:7], s[0:1]
	s_cbranch_execz .LBB131_11
; %bb.8:
	v_mad_u64_u32 v[12:13], s[8:9], v6, 26, 24
	v_mov_b32_e32 v8, 0
	v_mov_b32_e32 v10, 0
	;; [unrolled: 1-line block ×3, first 2 shown]
	s_mov_b64 s[8:9], 0
	v_mov_b32_e32 v7, s11
	v_mov_b32_e32 v15, 0
	;; [unrolled: 1-line block ×6, first 2 shown]
.LBB131_9:                              ; =>This Inner Loop Header: Depth=1
	v_ashrrev_i32_e32 v17, 31, v16
	v_lshlrev_b64 v[21:22], 2, v[16:17]
	v_subrev_u32_e32 v14, 24, v12
	v_lshlrev_b64 v[23:24], 3, v[14:15]
	v_add_co_u32_e32 v27, vcc, s10, v21
	v_addc_co_u32_e32 v28, vcc, v7, v22, vcc
	v_add_co_u32_e32 v31, vcc, s12, v23
	v_addc_co_u32_e32 v32, vcc, v19, v24, vcc
	global_load_dword v17, v[27:28], off
	global_load_dwordx4 v[21:24], v[31:32], off
	v_mov_b32_e32 v13, v15
	v_lshlrev_b64 v[25:26], 3, v[12:13]
	v_subrev_u32_e32 v14, 22, v12
	v_lshlrev_b64 v[13:14], 3, v[14:15]
	v_add_co_u32_e32 v33, vcc, s12, v25
	v_mov_b32_e32 v30, v15
	v_addc_co_u32_e32 v34, vcc, v19, v26, vcc
	v_add_co_u32_e32 v13, vcc, s12, v13
	v_addc_co_u32_e32 v14, vcc, v19, v14, vcc
	v_add_u32_e32 v16, 4, v16
	s_waitcnt vmcnt(1)
	v_subrev_u32_e32 v17, s2, v17
	v_mul_lo_u32 v29, v17, 13
	v_lshlrev_b64 v[25:26], 3, v[29:30]
	v_add_co_u32_e32 v30, vcc, s14, v25
	v_addc_co_u32_e32 v31, vcc, v20, v26, vcc
	global_load_dwordx4 v[25:28], v[33:34], off
	global_load_dwordx2 v[35:36], v[30:31], off
	s_waitcnt vmcnt(0)
	v_fma_f64 v[21:22], v[21:22], v[35:36], v[8:9]
	v_fma_f64 v[23:24], v[23:24], v[35:36], v[10:11]
	global_load_dwordx4 v[8:11], v[13:14], off
	v_add_u32_e32 v14, 1, v29
	v_lshlrev_b64 v[30:31], 3, v[14:15]
	v_subrev_u32_e32 v14, 20, v12
	v_add_co_u32_e32 v30, vcc, s14, v30
	v_addc_co_u32_e32 v31, vcc, v20, v31, vcc
	global_load_dwordx2 v[30:31], v[30:31], off
	v_lshlrev_b64 v[32:33], 3, v[14:15]
	v_add_u32_e32 v14, 2, v29
	s_waitcnt vmcnt(0)
	v_fma_f64 v[21:22], v[8:9], v[30:31], v[21:22]
	v_fma_f64 v[23:24], v[10:11], v[30:31], v[23:24]
	v_lshlrev_b64 v[8:9], 3, v[14:15]
	v_add_co_u32_e32 v30, vcc, s12, v32
	v_addc_co_u32_e32 v31, vcc, v19, v33, vcc
	v_add_co_u32_e32 v34, vcc, s14, v8
	v_addc_co_u32_e32 v35, vcc, v20, v9, vcc
	global_load_dwordx4 v[8:11], v[30:31], off
	global_load_dwordx2 v[36:37], v[34:35], off
	v_subrev_u32_e32 v14, 18, v12
	v_lshlrev_b64 v[32:33], 3, v[14:15]
	v_add_u32_e32 v14, 3, v29
	v_add_co_u32_e32 v30, vcc, s12, v32
	v_addc_co_u32_e32 v31, vcc, v19, v33, vcc
	s_waitcnt vmcnt(0)
	v_fma_f64 v[21:22], v[8:9], v[36:37], v[21:22]
	v_lshlrev_b64 v[8:9], 3, v[14:15]
	v_fma_f64 v[23:24], v[10:11], v[36:37], v[23:24]
	v_add_co_u32_e32 v34, vcc, s14, v8
	v_addc_co_u32_e32 v35, vcc, v20, v9, vcc
	global_load_dwordx4 v[8:11], v[30:31], off
	global_load_dwordx2 v[36:37], v[34:35], off
	v_add_u32_e32 v14, -16, v12
	v_lshlrev_b64 v[32:33], 3, v[14:15]
	v_add_u32_e32 v14, 4, v29
	v_add_co_u32_e32 v30, vcc, s12, v32
	v_addc_co_u32_e32 v31, vcc, v19, v33, vcc
	s_waitcnt vmcnt(0)
	v_fma_f64 v[21:22], v[8:9], v[36:37], v[21:22]
	v_lshlrev_b64 v[8:9], 3, v[14:15]
	v_fma_f64 v[23:24], v[10:11], v[36:37], v[23:24]
	v_add_co_u32_e32 v34, vcc, s14, v8
	v_addc_co_u32_e32 v35, vcc, v20, v9, vcc
	global_load_dwordx4 v[8:11], v[30:31], off
	global_load_dwordx2 v[36:37], v[34:35], off
	v_add_u32_e32 v14, -14, v12
	;; [unrolled: 13-line block ×8, first 2 shown]
	v_lshlrev_b64 v[32:33], 3, v[14:15]
	v_add_u32_e32 v14, 11, v29
	v_add_co_u32_e32 v13, vcc, s12, v32
	v_add_u32_e32 v12, 0x68, v12
	s_waitcnt vmcnt(0)
	v_fma_f64 v[21:22], v[8:9], v[36:37], v[21:22]
	v_lshlrev_b64 v[8:9], 3, v[14:15]
	v_addc_co_u32_e32 v14, vcc, v19, v33, vcc
	v_add_co_u32_e32 v30, vcc, s14, v8
	v_fma_f64 v[23:24], v[10:11], v[36:37], v[23:24]
	v_addc_co_u32_e32 v31, vcc, v20, v9, vcc
	global_load_dwordx4 v[8:11], v[13:14], off
	global_load_dwordx2 v[32:33], v[30:31], off
	v_add_u32_e32 v14, 12, v29
	v_lshlrev_b64 v[13:14], 3, v[14:15]
	v_add_co_u32_e32 v13, vcc, s14, v13
	v_addc_co_u32_e32 v14, vcc, v20, v14, vcc
	global_load_dwordx2 v[13:14], v[13:14], off
	v_cmp_ge_i32_e32 vcc, v16, v18
	s_or_b64 s[8:9], vcc, s[8:9]
	s_waitcnt vmcnt(1)
	v_fma_f64 v[8:9], v[8:9], v[32:33], v[21:22]
	v_fma_f64 v[10:11], v[10:11], v[32:33], v[23:24]
	s_waitcnt vmcnt(0)
	v_fma_f64 v[8:9], v[25:26], v[13:14], v[8:9]
	v_fma_f64 v[10:11], v[27:28], v[13:14], v[10:11]
	s_andn2_b64 exec, exec, s[8:9]
	s_cbranch_execnz .LBB131_9
; %bb.10:
	s_or_b64 exec, exec, s[8:9]
.LBB131_11:
	s_or_b64 exec, exec, s[6:7]
	s_cbranch_execz .LBB131_13
	s_branch .LBB131_18
.LBB131_12:
                                        ; implicit-def: $vgpr8_vgpr9
                                        ; implicit-def: $vgpr10_vgpr11
.LBB131_13:
	v_mov_b32_e32 v8, 0
	v_mov_b32_e32 v10, 0
	;; [unrolled: 1-line block ×4, first 2 shown]
	s_and_saveexec_b64 s[6:7], s[0:1]
	s_cbranch_execz .LBB131_17
; %bb.14:
	v_mad_u64_u32 v[12:13], s[0:1], v6, 26, 25
	v_mov_b32_e32 v8, 0
	v_mov_b32_e32 v10, 0
	;; [unrolled: 1-line block ×3, first 2 shown]
	s_mov_b64 s[0:1], 0
	v_mov_b32_e32 v16, s11
	v_mov_b32_e32 v15, 0
	;; [unrolled: 1-line block ×5, first 2 shown]
.LBB131_15:                             ; =>This Inner Loop Header: Depth=1
	v_ashrrev_i32_e32 v7, 31, v6
	v_lshlrev_b64 v[22:23], 2, v[6:7]
	v_subrev_u32_e32 v14, 25, v12
	v_add_co_u32_e32 v22, vcc, s10, v22
	v_addc_co_u32_e32 v23, vcc, v16, v23, vcc
	global_load_dword v7, v[22:23], off
	v_lshlrev_b64 v[24:25], 3, v[14:15]
	v_add_u32_e32 v20, -12, v12
	v_mov_b32_e32 v21, v15
	v_lshlrev_b64 v[20:21], 3, v[20:21]
	v_add_co_u32_e32 v24, vcc, s12, v24
	v_mov_b32_e32 v13, v15
	v_addc_co_u32_e32 v25, vcc, v17, v25, vcc
	v_lshlrev_b64 v[13:14], 3, v[12:13]
	v_add_co_u32_e32 v20, vcc, s12, v20
	v_addc_co_u32_e32 v21, vcc, v17, v21, vcc
	v_add_co_u32_e32 v26, vcc, s12, v13
	v_addc_co_u32_e32 v27, vcc, v17, v14, vcc
	v_mov_b32_e32 v14, v15
	v_add_u32_e32 v6, 4, v6
	s_waitcnt vmcnt(0)
	v_subrev_u32_e32 v7, s2, v7
	v_mul_lo_u32 v13, v7, 13
	v_lshlrev_b64 v[22:23], 3, v[13:14]
	v_add_u32_e32 v14, 1, v13
	v_add_co_u32_e32 v22, vcc, s14, v22
	v_addc_co_u32_e32 v23, vcc, v19, v23, vcc
	global_load_dwordx2 v[30:31], v[20:21], off
	global_load_dwordx2 v[32:33], v[22:23], off
	v_lshlrev_b64 v[28:29], 3, v[14:15]
	global_load_dwordx4 v[20:23], v[24:25], off
	v_add_co_u32_e32 v28, vcc, s14, v28
	v_addc_co_u32_e32 v29, vcc, v19, v29, vcc
	v_add_u32_e32 v14, -11, v12
	s_waitcnt vmcnt(1)
	v_fma_f64 v[10:11], v[30:31], v[32:33], v[10:11]
	s_waitcnt vmcnt(0)
	v_fma_f64 v[7:8], v[20:21], v[32:33], v[8:9]
	global_load_dwordx2 v[20:21], v[28:29], off
	s_waitcnt vmcnt(0)
	v_fma_f64 v[7:8], v[22:23], v[20:21], v[7:8]
	v_lshlrev_b64 v[22:23], 3, v[14:15]
	v_subrev_u32_e32 v14, 23, v12
	v_add_co_u32_e32 v22, vcc, s12, v22
	v_lshlrev_b64 v[24:25], 3, v[14:15]
	v_addc_co_u32_e32 v23, vcc, v17, v23, vcc
	v_add_co_u32_e32 v24, vcc, s12, v24
	v_addc_co_u32_e32 v25, vcc, v17, v25, vcc
	global_load_dwordx2 v[28:29], v[22:23], off
	global_load_dwordx2 v[30:31], v[24:25], off
	v_add_u32_e32 v14, 2, v13
	s_waitcnt vmcnt(1)
	v_fma_f64 v[9:10], v[28:29], v[20:21], v[10:11]
	v_lshlrev_b64 v[20:21], 3, v[14:15]
	v_add_u32_e32 v14, -10, v12
	v_add_co_u32_e32 v20, vcc, s14, v20
	v_addc_co_u32_e32 v21, vcc, v19, v21, vcc
	global_load_dwordx2 v[20:21], v[20:21], off
	v_lshlrev_b64 v[22:23], 3, v[14:15]
	v_subrev_u32_e32 v14, 22, v12
	v_add_co_u32_e32 v22, vcc, s12, v22
	v_lshlrev_b64 v[24:25], 3, v[14:15]
	v_addc_co_u32_e32 v23, vcc, v17, v23, vcc
	v_add_co_u32_e32 v24, vcc, s12, v24
	v_addc_co_u32_e32 v25, vcc, v17, v25, vcc
	v_add_u32_e32 v14, 3, v13
	s_waitcnt vmcnt(0)
	v_fma_f64 v[7:8], v[30:31], v[20:21], v[7:8]
	global_load_dwordx2 v[28:29], v[22:23], off
	global_load_dwordx2 v[30:31], v[24:25], off
	s_waitcnt vmcnt(1)
	v_fma_f64 v[9:10], v[28:29], v[20:21], v[9:10]
	v_lshlrev_b64 v[20:21], 3, v[14:15]
	v_add_u32_e32 v14, -9, v12
	v_add_co_u32_e32 v20, vcc, s14, v20
	v_addc_co_u32_e32 v21, vcc, v19, v21, vcc
	global_load_dwordx2 v[20:21], v[20:21], off
	v_lshlrev_b64 v[22:23], 3, v[14:15]
	v_subrev_u32_e32 v14, 21, v12
	v_add_co_u32_e32 v22, vcc, s12, v22
	v_lshlrev_b64 v[24:25], 3, v[14:15]
	v_addc_co_u32_e32 v23, vcc, v17, v23, vcc
	v_add_co_u32_e32 v24, vcc, s12, v24
	v_addc_co_u32_e32 v25, vcc, v17, v25, vcc
	v_add_u32_e32 v14, 4, v13
	s_waitcnt vmcnt(0)
	v_fma_f64 v[7:8], v[30:31], v[20:21], v[7:8]
	global_load_dwordx2 v[28:29], v[22:23], off
	global_load_dwordx2 v[30:31], v[24:25], off
	;; [unrolled: 19-line block ×6, first 2 shown]
	s_waitcnt vmcnt(1)
	v_fma_f64 v[9:10], v[28:29], v[20:21], v[9:10]
	v_lshlrev_b64 v[20:21], 3, v[14:15]
	v_add_u32_e32 v14, -4, v12
	v_add_co_u32_e32 v20, vcc, s14, v20
	v_addc_co_u32_e32 v21, vcc, v19, v21, vcc
	global_load_dwordx2 v[20:21], v[20:21], off
	v_lshlrev_b64 v[22:23], 3, v[14:15]
	v_add_u32_e32 v14, -16, v12
	v_add_co_u32_e32 v22, vcc, s12, v22
	v_lshlrev_b64 v[24:25], 3, v[14:15]
	v_addc_co_u32_e32 v23, vcc, v17, v23, vcc
	v_add_co_u32_e32 v24, vcc, s12, v24
	v_addc_co_u32_e32 v25, vcc, v17, v25, vcc
	v_add_u32_e32 v14, 9, v13
	s_waitcnt vmcnt(0)
	v_fma_f64 v[7:8], v[30:31], v[20:21], v[7:8]
	global_load_dwordx2 v[28:29], v[22:23], off
	global_load_dwordx2 v[30:31], v[24:25], off
	s_waitcnt vmcnt(1)
	v_fma_f64 v[9:10], v[28:29], v[20:21], v[9:10]
	v_lshlrev_b64 v[20:21], 3, v[14:15]
	v_add_u32_e32 v14, -3, v12
	v_add_co_u32_e32 v20, vcc, s14, v20
	v_addc_co_u32_e32 v21, vcc, v19, v21, vcc
	global_load_dwordx2 v[20:21], v[20:21], off
	v_lshlrev_b64 v[22:23], 3, v[14:15]
	v_add_u32_e32 v14, -15, v12
	v_add_co_u32_e32 v22, vcc, s12, v22
	v_lshlrev_b64 v[24:25], 3, v[14:15]
	v_addc_co_u32_e32 v23, vcc, v17, v23, vcc
	v_add_co_u32_e32 v24, vcc, s12, v24
	v_addc_co_u32_e32 v25, vcc, v17, v25, vcc
	v_add_u32_e32 v14, 10, v13
	s_waitcnt vmcnt(0)
	v_fma_f64 v[7:8], v[30:31], v[20:21], v[7:8]
	global_load_dwordx2 v[28:29], v[22:23], off
	global_load_dwordx2 v[30:31], v[24:25], off
	;; [unrolled: 19-line block ×3, first 2 shown]
	s_waitcnt vmcnt(1)
	v_fma_f64 v[9:10], v[28:29], v[20:21], v[9:10]
	v_lshlrev_b64 v[20:21], 3, v[14:15]
	v_add_u32_e32 v14, -1, v12
	v_add_co_u32_e32 v20, vcc, s14, v20
	v_addc_co_u32_e32 v21, vcc, v19, v21, vcc
	global_load_dwordx2 v[20:21], v[20:21], off
	v_lshlrev_b64 v[22:23], 3, v[14:15]
	v_add_u32_e32 v14, -13, v12
	v_lshlrev_b64 v[24:25], 3, v[14:15]
	v_add_co_u32_e32 v22, vcc, s12, v22
	v_add_u32_e32 v14, 12, v13
	v_addc_co_u32_e32 v23, vcc, v17, v23, vcc
	v_add_co_u32_e32 v24, vcc, s12, v24
	v_lshlrev_b64 v[13:14], 3, v[14:15]
	v_addc_co_u32_e32 v25, vcc, v17, v25, vcc
	v_add_co_u32_e32 v13, vcc, s14, v13
	v_addc_co_u32_e32 v14, vcc, v19, v14, vcc
	v_cmp_ge_i32_e32 vcc, v6, v18
	s_or_b64 s[0:1], vcc, s[0:1]
	v_add_u32_e32 v12, 0x68, v12
	s_waitcnt vmcnt(0)
	v_fma_f64 v[7:8], v[30:31], v[20:21], v[7:8]
	global_load_dwordx2 v[28:29], v[22:23], off
	global_load_dwordx2 v[30:31], v[26:27], off
	;; [unrolled: 1-line block ×4, first 2 shown]
	s_waitcnt vmcnt(3)
	v_fma_f64 v[10:11], v[28:29], v[20:21], v[9:10]
	s_waitcnt vmcnt(0)
	v_fma_f64 v[8:9], v[32:33], v[34:35], v[7:8]
	v_fma_f64 v[10:11], v[30:31], v[34:35], v[10:11]
	s_andn2_b64 exec, exec, s[0:1]
	s_cbranch_execnz .LBB131_15
; %bb.16:
	s_or_b64 exec, exec, s[0:1]
.LBB131_17:
	s_or_b64 exec, exec, s[6:7]
.LBB131_18:
	v_mov_b32_dpp v6, v8 row_shr:1 row_mask:0xf bank_mask:0xf
	v_mov_b32_dpp v7, v9 row_shr:1 row_mask:0xf bank_mask:0xf
	v_add_f64 v[6:7], v[8:9], v[6:7]
	v_mov_b32_dpp v8, v10 row_shr:1 row_mask:0xf bank_mask:0xf
	v_mov_b32_dpp v9, v11 row_shr:1 row_mask:0xf bank_mask:0xf
	v_add_f64 v[10:11], v[10:11], v[8:9]
	v_cmp_eq_u32_e32 vcc, 3, v0
	v_mov_b32_dpp v8, v6 row_shr:2 row_mask:0xf bank_mask:0xf
	v_mov_b32_dpp v9, v7 row_shr:2 row_mask:0xf bank_mask:0xf
	;; [unrolled: 1-line block ×4, first 2 shown]
	s_and_b64 exec, exec, vcc
	s_cbranch_execz .LBB131_23
; %bb.19:
	v_add_f64 v[8:9], v[6:7], v[8:9]
	v_add_f64 v[6:7], v[10:11], v[12:13]
	v_cmp_eq_f64_e32 vcc, 0, v[3:4]
	s_load_dwordx2 s[0:1], s[4:5], 0x38
	s_and_saveexec_b64 s[2:3], vcc
	s_xor_b64 s[2:3], exec, s[2:3]
	s_cbranch_execz .LBB131_21
; %bb.20:
	v_mul_f64 v[3:4], v[1:2], v[8:9]
	v_lshlrev_b32_e32 v0, 1, v5
	v_mul_f64 v[5:6], v[1:2], v[6:7]
	v_ashrrev_i32_e32 v1, 31, v0
	v_lshlrev_b64 v[0:1], 3, v[0:1]
	s_waitcnt lgkmcnt(0)
	v_mov_b32_e32 v2, s1
	v_add_co_u32_e32 v0, vcc, s0, v0
	v_addc_co_u32_e32 v1, vcc, v2, v1, vcc
	global_store_dwordx4 v[0:1], v[3:6], off
                                        ; implicit-def: $vgpr5
                                        ; implicit-def: $vgpr1_vgpr2
                                        ; implicit-def: $vgpr8_vgpr9
                                        ; implicit-def: $vgpr3_vgpr4
                                        ; implicit-def: $vgpr6_vgpr7
.LBB131_21:
	s_andn2_saveexec_b64 s[2:3], s[2:3]
	s_cbranch_execz .LBB131_23
; %bb.22:
	v_lshlrev_b32_e32 v10, 1, v5
	v_ashrrev_i32_e32 v11, 31, v10
	v_lshlrev_b64 v[10:11], 3, v[10:11]
	s_waitcnt lgkmcnt(0)
	v_mov_b32_e32 v0, s1
	v_add_co_u32_e32 v14, vcc, s0, v10
	v_addc_co_u32_e32 v15, vcc, v0, v11, vcc
	global_load_dwordx4 v[10:13], v[14:15], off
	v_mul_f64 v[8:9], v[1:2], v[8:9]
	v_mul_f64 v[5:6], v[1:2], v[6:7]
	s_waitcnt vmcnt(0)
	v_fma_f64 v[0:1], v[3:4], v[10:11], v[8:9]
	v_fma_f64 v[2:3], v[3:4], v[12:13], v[5:6]
	global_store_dwordx4 v[14:15], v[0:3], off
.LBB131_23:
	s_endpgm
	.section	.rodata,"a",@progbits
	.p2align	6, 0x0
	.amdhsa_kernel _ZN9rocsparseL19gebsrmvn_2xn_kernelILj128ELj13ELj4EdEEvi20rocsparse_direction_NS_24const_host_device_scalarIT2_EEPKiS6_PKS3_S8_S4_PS3_21rocsparse_index_base_b
		.amdhsa_group_segment_fixed_size 0
		.amdhsa_private_segment_fixed_size 0
		.amdhsa_kernarg_size 72
		.amdhsa_user_sgpr_count 6
		.amdhsa_user_sgpr_private_segment_buffer 1
		.amdhsa_user_sgpr_dispatch_ptr 0
		.amdhsa_user_sgpr_queue_ptr 0
		.amdhsa_user_sgpr_kernarg_segment_ptr 1
		.amdhsa_user_sgpr_dispatch_id 0
		.amdhsa_user_sgpr_flat_scratch_init 0
		.amdhsa_user_sgpr_private_segment_size 0
		.amdhsa_uses_dynamic_stack 0
		.amdhsa_system_sgpr_private_segment_wavefront_offset 0
		.amdhsa_system_sgpr_workgroup_id_x 1
		.amdhsa_system_sgpr_workgroup_id_y 0
		.amdhsa_system_sgpr_workgroup_id_z 0
		.amdhsa_system_sgpr_workgroup_info 0
		.amdhsa_system_vgpr_workitem_id 0
		.amdhsa_next_free_vgpr 38
		.amdhsa_next_free_sgpr 16
		.amdhsa_reserve_vcc 1
		.amdhsa_reserve_flat_scratch 0
		.amdhsa_float_round_mode_32 0
		.amdhsa_float_round_mode_16_64 0
		.amdhsa_float_denorm_mode_32 3
		.amdhsa_float_denorm_mode_16_64 3
		.amdhsa_dx10_clamp 1
		.amdhsa_ieee_mode 1
		.amdhsa_fp16_overflow 0
		.amdhsa_exception_fp_ieee_invalid_op 0
		.amdhsa_exception_fp_denorm_src 0
		.amdhsa_exception_fp_ieee_div_zero 0
		.amdhsa_exception_fp_ieee_overflow 0
		.amdhsa_exception_fp_ieee_underflow 0
		.amdhsa_exception_fp_ieee_inexact 0
		.amdhsa_exception_int_div_zero 0
	.end_amdhsa_kernel
	.section	.text._ZN9rocsparseL19gebsrmvn_2xn_kernelILj128ELj13ELj4EdEEvi20rocsparse_direction_NS_24const_host_device_scalarIT2_EEPKiS6_PKS3_S8_S4_PS3_21rocsparse_index_base_b,"axG",@progbits,_ZN9rocsparseL19gebsrmvn_2xn_kernelILj128ELj13ELj4EdEEvi20rocsparse_direction_NS_24const_host_device_scalarIT2_EEPKiS6_PKS3_S8_S4_PS3_21rocsparse_index_base_b,comdat
.Lfunc_end131:
	.size	_ZN9rocsparseL19gebsrmvn_2xn_kernelILj128ELj13ELj4EdEEvi20rocsparse_direction_NS_24const_host_device_scalarIT2_EEPKiS6_PKS3_S8_S4_PS3_21rocsparse_index_base_b, .Lfunc_end131-_ZN9rocsparseL19gebsrmvn_2xn_kernelILj128ELj13ELj4EdEEvi20rocsparse_direction_NS_24const_host_device_scalarIT2_EEPKiS6_PKS3_S8_S4_PS3_21rocsparse_index_base_b
                                        ; -- End function
	.set _ZN9rocsparseL19gebsrmvn_2xn_kernelILj128ELj13ELj4EdEEvi20rocsparse_direction_NS_24const_host_device_scalarIT2_EEPKiS6_PKS3_S8_S4_PS3_21rocsparse_index_base_b.num_vgpr, 38
	.set _ZN9rocsparseL19gebsrmvn_2xn_kernelILj128ELj13ELj4EdEEvi20rocsparse_direction_NS_24const_host_device_scalarIT2_EEPKiS6_PKS3_S8_S4_PS3_21rocsparse_index_base_b.num_agpr, 0
	.set _ZN9rocsparseL19gebsrmvn_2xn_kernelILj128ELj13ELj4EdEEvi20rocsparse_direction_NS_24const_host_device_scalarIT2_EEPKiS6_PKS3_S8_S4_PS3_21rocsparse_index_base_b.numbered_sgpr, 16
	.set _ZN9rocsparseL19gebsrmvn_2xn_kernelILj128ELj13ELj4EdEEvi20rocsparse_direction_NS_24const_host_device_scalarIT2_EEPKiS6_PKS3_S8_S4_PS3_21rocsparse_index_base_b.num_named_barrier, 0
	.set _ZN9rocsparseL19gebsrmvn_2xn_kernelILj128ELj13ELj4EdEEvi20rocsparse_direction_NS_24const_host_device_scalarIT2_EEPKiS6_PKS3_S8_S4_PS3_21rocsparse_index_base_b.private_seg_size, 0
	.set _ZN9rocsparseL19gebsrmvn_2xn_kernelILj128ELj13ELj4EdEEvi20rocsparse_direction_NS_24const_host_device_scalarIT2_EEPKiS6_PKS3_S8_S4_PS3_21rocsparse_index_base_b.uses_vcc, 1
	.set _ZN9rocsparseL19gebsrmvn_2xn_kernelILj128ELj13ELj4EdEEvi20rocsparse_direction_NS_24const_host_device_scalarIT2_EEPKiS6_PKS3_S8_S4_PS3_21rocsparse_index_base_b.uses_flat_scratch, 0
	.set _ZN9rocsparseL19gebsrmvn_2xn_kernelILj128ELj13ELj4EdEEvi20rocsparse_direction_NS_24const_host_device_scalarIT2_EEPKiS6_PKS3_S8_S4_PS3_21rocsparse_index_base_b.has_dyn_sized_stack, 0
	.set _ZN9rocsparseL19gebsrmvn_2xn_kernelILj128ELj13ELj4EdEEvi20rocsparse_direction_NS_24const_host_device_scalarIT2_EEPKiS6_PKS3_S8_S4_PS3_21rocsparse_index_base_b.has_recursion, 0
	.set _ZN9rocsparseL19gebsrmvn_2xn_kernelILj128ELj13ELj4EdEEvi20rocsparse_direction_NS_24const_host_device_scalarIT2_EEPKiS6_PKS3_S8_S4_PS3_21rocsparse_index_base_b.has_indirect_call, 0
	.section	.AMDGPU.csdata,"",@progbits
; Kernel info:
; codeLenInByte = 3204
; TotalNumSgprs: 20
; NumVgprs: 38
; ScratchSize: 0
; MemoryBound: 0
; FloatMode: 240
; IeeeMode: 1
; LDSByteSize: 0 bytes/workgroup (compile time only)
; SGPRBlocks: 2
; VGPRBlocks: 9
; NumSGPRsForWavesPerEU: 20
; NumVGPRsForWavesPerEU: 38
; Occupancy: 6
; WaveLimiterHint : 1
; COMPUTE_PGM_RSRC2:SCRATCH_EN: 0
; COMPUTE_PGM_RSRC2:USER_SGPR: 6
; COMPUTE_PGM_RSRC2:TRAP_HANDLER: 0
; COMPUTE_PGM_RSRC2:TGID_X_EN: 1
; COMPUTE_PGM_RSRC2:TGID_Y_EN: 0
; COMPUTE_PGM_RSRC2:TGID_Z_EN: 0
; COMPUTE_PGM_RSRC2:TIDIG_COMP_CNT: 0
	.section	.text._ZN9rocsparseL19gebsrmvn_2xn_kernelILj128ELj13ELj8EdEEvi20rocsparse_direction_NS_24const_host_device_scalarIT2_EEPKiS6_PKS3_S8_S4_PS3_21rocsparse_index_base_b,"axG",@progbits,_ZN9rocsparseL19gebsrmvn_2xn_kernelILj128ELj13ELj8EdEEvi20rocsparse_direction_NS_24const_host_device_scalarIT2_EEPKiS6_PKS3_S8_S4_PS3_21rocsparse_index_base_b,comdat
	.globl	_ZN9rocsparseL19gebsrmvn_2xn_kernelILj128ELj13ELj8EdEEvi20rocsparse_direction_NS_24const_host_device_scalarIT2_EEPKiS6_PKS3_S8_S4_PS3_21rocsparse_index_base_b ; -- Begin function _ZN9rocsparseL19gebsrmvn_2xn_kernelILj128ELj13ELj8EdEEvi20rocsparse_direction_NS_24const_host_device_scalarIT2_EEPKiS6_PKS3_S8_S4_PS3_21rocsparse_index_base_b
	.p2align	8
	.type	_ZN9rocsparseL19gebsrmvn_2xn_kernelILj128ELj13ELj8EdEEvi20rocsparse_direction_NS_24const_host_device_scalarIT2_EEPKiS6_PKS3_S8_S4_PS3_21rocsparse_index_base_b,@function
_ZN9rocsparseL19gebsrmvn_2xn_kernelILj128ELj13ELj8EdEEvi20rocsparse_direction_NS_24const_host_device_scalarIT2_EEPKiS6_PKS3_S8_S4_PS3_21rocsparse_index_base_b: ; @_ZN9rocsparseL19gebsrmvn_2xn_kernelILj128ELj13ELj8EdEEvi20rocsparse_direction_NS_24const_host_device_scalarIT2_EEPKiS6_PKS3_S8_S4_PS3_21rocsparse_index_base_b
; %bb.0:
	s_load_dwordx2 s[2:3], s[4:5], 0x40
	s_load_dwordx2 s[10:11], s[4:5], 0x8
	;; [unrolled: 1-line block ×3, first 2 shown]
	s_waitcnt lgkmcnt(0)
	s_bitcmp1_b32 s3, 0
	s_cselect_b64 s[12:13], -1, 0
	v_mov_b32_e32 v1, s10
	s_xor_b64 s[8:9], s[12:13], -1
	s_and_b64 vcc, exec, s[12:13]
	v_mov_b32_e32 v2, s11
	s_cbranch_vccnz .LBB132_2
; %bb.1:
	v_mov_b32_e32 v1, s10
	v_mov_b32_e32 v2, s11
	flat_load_dwordx2 v[1:2], v[1:2]
.LBB132_2:
	v_mov_b32_e32 v4, s1
	s_andn2_b64 vcc, exec, s[8:9]
	v_mov_b32_e32 v3, s0
	s_cbranch_vccnz .LBB132_4
; %bb.3:
	v_mov_b32_e32 v4, s1
	v_mov_b32_e32 v3, s0
	flat_load_dwordx2 v[3:4], v[3:4]
.LBB132_4:
	s_waitcnt vmcnt(0) lgkmcnt(0)
	v_cmp_neq_f64_e32 vcc, 0, v[1:2]
	v_cmp_neq_f64_e64 s[0:1], 1.0, v[3:4]
	s_or_b64 s[0:1], vcc, s[0:1]
	s_and_saveexec_b64 s[8:9], s[0:1]
	s_cbranch_execz .LBB132_23
; %bb.5:
	s_load_dwordx2 s[0:1], s[4:5], 0x0
	v_lshrrev_b32_e32 v5, 3, v0
	v_lshl_or_b32 v5, s6, 4, v5
	s_waitcnt lgkmcnt(0)
	v_cmp_gt_i32_e32 vcc, s0, v5
	s_and_b64 exec, exec, vcc
	s_cbranch_execz .LBB132_23
; %bb.6:
	s_load_dwordx8 s[8:15], s[4:5], 0x10
	v_ashrrev_i32_e32 v6, 31, v5
	v_lshlrev_b64 v[6:7], 2, v[5:6]
	v_and_b32_e32 v0, 7, v0
	s_cmp_lg_u32 s1, 0
	s_waitcnt lgkmcnt(0)
	v_mov_b32_e32 v8, s9
	v_add_co_u32_e32 v6, vcc, s8, v6
	v_addc_co_u32_e32 v7, vcc, v8, v7, vcc
	global_load_dwordx2 v[6:7], v[6:7], off
	s_waitcnt vmcnt(0)
	v_subrev_u32_e32 v6, s2, v6
	v_subrev_u32_e32 v18, s2, v7
	v_add_u32_e32 v6, v6, v0
	v_cmp_lt_i32_e64 s[0:1], v6, v18
	s_cbranch_scc0 .LBB132_12
; %bb.7:
	v_mov_b32_e32 v8, 0
	v_mov_b32_e32 v10, 0
	;; [unrolled: 1-line block ×4, first 2 shown]
	s_and_saveexec_b64 s[6:7], s[0:1]
	s_cbranch_execz .LBB132_11
; %bb.8:
	v_mad_u64_u32 v[12:13], s[8:9], v6, 26, 24
	v_mov_b32_e32 v8, 0
	v_mov_b32_e32 v10, 0
	;; [unrolled: 1-line block ×3, first 2 shown]
	s_mov_b64 s[8:9], 0
	v_mov_b32_e32 v7, s11
	v_mov_b32_e32 v15, 0
	;; [unrolled: 1-line block ×6, first 2 shown]
.LBB132_9:                              ; =>This Inner Loop Header: Depth=1
	v_ashrrev_i32_e32 v17, 31, v16
	v_lshlrev_b64 v[21:22], 2, v[16:17]
	v_subrev_u32_e32 v14, 24, v12
	v_lshlrev_b64 v[23:24], 3, v[14:15]
	v_add_co_u32_e32 v27, vcc, s10, v21
	v_addc_co_u32_e32 v28, vcc, v7, v22, vcc
	v_add_co_u32_e32 v31, vcc, s12, v23
	v_addc_co_u32_e32 v32, vcc, v19, v24, vcc
	global_load_dword v17, v[27:28], off
	global_load_dwordx4 v[21:24], v[31:32], off
	v_mov_b32_e32 v13, v15
	v_lshlrev_b64 v[25:26], 3, v[12:13]
	v_subrev_u32_e32 v14, 22, v12
	v_lshlrev_b64 v[13:14], 3, v[14:15]
	v_add_co_u32_e32 v33, vcc, s12, v25
	v_mov_b32_e32 v30, v15
	v_addc_co_u32_e32 v34, vcc, v19, v26, vcc
	v_add_co_u32_e32 v13, vcc, s12, v13
	v_addc_co_u32_e32 v14, vcc, v19, v14, vcc
	v_add_u32_e32 v16, 8, v16
	s_waitcnt vmcnt(1)
	v_subrev_u32_e32 v17, s2, v17
	v_mul_lo_u32 v29, v17, 13
	v_lshlrev_b64 v[25:26], 3, v[29:30]
	v_add_co_u32_e32 v30, vcc, s14, v25
	v_addc_co_u32_e32 v31, vcc, v20, v26, vcc
	global_load_dwordx4 v[25:28], v[33:34], off
	global_load_dwordx2 v[35:36], v[30:31], off
	s_waitcnt vmcnt(0)
	v_fma_f64 v[21:22], v[21:22], v[35:36], v[8:9]
	v_fma_f64 v[23:24], v[23:24], v[35:36], v[10:11]
	global_load_dwordx4 v[8:11], v[13:14], off
	v_add_u32_e32 v14, 1, v29
	v_lshlrev_b64 v[30:31], 3, v[14:15]
	v_subrev_u32_e32 v14, 20, v12
	v_add_co_u32_e32 v30, vcc, s14, v30
	v_addc_co_u32_e32 v31, vcc, v20, v31, vcc
	global_load_dwordx2 v[30:31], v[30:31], off
	v_lshlrev_b64 v[32:33], 3, v[14:15]
	v_add_u32_e32 v14, 2, v29
	s_waitcnt vmcnt(0)
	v_fma_f64 v[21:22], v[8:9], v[30:31], v[21:22]
	v_fma_f64 v[23:24], v[10:11], v[30:31], v[23:24]
	v_lshlrev_b64 v[8:9], 3, v[14:15]
	v_add_co_u32_e32 v30, vcc, s12, v32
	v_addc_co_u32_e32 v31, vcc, v19, v33, vcc
	v_add_co_u32_e32 v34, vcc, s14, v8
	v_addc_co_u32_e32 v35, vcc, v20, v9, vcc
	global_load_dwordx4 v[8:11], v[30:31], off
	global_load_dwordx2 v[36:37], v[34:35], off
	v_subrev_u32_e32 v14, 18, v12
	v_lshlrev_b64 v[32:33], 3, v[14:15]
	v_add_u32_e32 v14, 3, v29
	v_add_co_u32_e32 v30, vcc, s12, v32
	v_addc_co_u32_e32 v31, vcc, v19, v33, vcc
	s_waitcnt vmcnt(0)
	v_fma_f64 v[21:22], v[8:9], v[36:37], v[21:22]
	v_lshlrev_b64 v[8:9], 3, v[14:15]
	v_fma_f64 v[23:24], v[10:11], v[36:37], v[23:24]
	v_add_co_u32_e32 v34, vcc, s14, v8
	v_addc_co_u32_e32 v35, vcc, v20, v9, vcc
	global_load_dwordx4 v[8:11], v[30:31], off
	global_load_dwordx2 v[36:37], v[34:35], off
	v_add_u32_e32 v14, -16, v12
	v_lshlrev_b64 v[32:33], 3, v[14:15]
	v_add_u32_e32 v14, 4, v29
	v_add_co_u32_e32 v30, vcc, s12, v32
	v_addc_co_u32_e32 v31, vcc, v19, v33, vcc
	s_waitcnt vmcnt(0)
	v_fma_f64 v[21:22], v[8:9], v[36:37], v[21:22]
	v_lshlrev_b64 v[8:9], 3, v[14:15]
	v_fma_f64 v[23:24], v[10:11], v[36:37], v[23:24]
	v_add_co_u32_e32 v34, vcc, s14, v8
	v_addc_co_u32_e32 v35, vcc, v20, v9, vcc
	global_load_dwordx4 v[8:11], v[30:31], off
	global_load_dwordx2 v[36:37], v[34:35], off
	v_add_u32_e32 v14, -14, v12
	;; [unrolled: 13-line block ×8, first 2 shown]
	v_lshlrev_b64 v[32:33], 3, v[14:15]
	v_add_u32_e32 v14, 11, v29
	v_add_co_u32_e32 v13, vcc, s12, v32
	v_add_u32_e32 v12, 0xd0, v12
	s_waitcnt vmcnt(0)
	v_fma_f64 v[21:22], v[8:9], v[36:37], v[21:22]
	v_lshlrev_b64 v[8:9], 3, v[14:15]
	v_addc_co_u32_e32 v14, vcc, v19, v33, vcc
	v_add_co_u32_e32 v30, vcc, s14, v8
	v_fma_f64 v[23:24], v[10:11], v[36:37], v[23:24]
	v_addc_co_u32_e32 v31, vcc, v20, v9, vcc
	global_load_dwordx4 v[8:11], v[13:14], off
	global_load_dwordx2 v[32:33], v[30:31], off
	v_add_u32_e32 v14, 12, v29
	v_lshlrev_b64 v[13:14], 3, v[14:15]
	v_add_co_u32_e32 v13, vcc, s14, v13
	v_addc_co_u32_e32 v14, vcc, v20, v14, vcc
	global_load_dwordx2 v[13:14], v[13:14], off
	v_cmp_ge_i32_e32 vcc, v16, v18
	s_or_b64 s[8:9], vcc, s[8:9]
	s_waitcnt vmcnt(1)
	v_fma_f64 v[8:9], v[8:9], v[32:33], v[21:22]
	v_fma_f64 v[10:11], v[10:11], v[32:33], v[23:24]
	s_waitcnt vmcnt(0)
	v_fma_f64 v[8:9], v[25:26], v[13:14], v[8:9]
	v_fma_f64 v[10:11], v[27:28], v[13:14], v[10:11]
	s_andn2_b64 exec, exec, s[8:9]
	s_cbranch_execnz .LBB132_9
; %bb.10:
	s_or_b64 exec, exec, s[8:9]
.LBB132_11:
	s_or_b64 exec, exec, s[6:7]
	s_cbranch_execz .LBB132_13
	s_branch .LBB132_18
.LBB132_12:
                                        ; implicit-def: $vgpr8_vgpr9
                                        ; implicit-def: $vgpr10_vgpr11
.LBB132_13:
	v_mov_b32_e32 v8, 0
	v_mov_b32_e32 v10, 0
	v_mov_b32_e32 v9, 0
	v_mov_b32_e32 v11, 0
	s_and_saveexec_b64 s[6:7], s[0:1]
	s_cbranch_execz .LBB132_17
; %bb.14:
	v_mad_u64_u32 v[12:13], s[0:1], v6, 26, 25
	v_mov_b32_e32 v8, 0
	v_mov_b32_e32 v10, 0
	;; [unrolled: 1-line block ×3, first 2 shown]
	s_mov_b64 s[0:1], 0
	v_mov_b32_e32 v16, s11
	v_mov_b32_e32 v15, 0
	;; [unrolled: 1-line block ×5, first 2 shown]
.LBB132_15:                             ; =>This Inner Loop Header: Depth=1
	v_ashrrev_i32_e32 v7, 31, v6
	v_lshlrev_b64 v[22:23], 2, v[6:7]
	v_subrev_u32_e32 v14, 25, v12
	v_add_co_u32_e32 v22, vcc, s10, v22
	v_addc_co_u32_e32 v23, vcc, v16, v23, vcc
	global_load_dword v7, v[22:23], off
	v_lshlrev_b64 v[24:25], 3, v[14:15]
	v_add_u32_e32 v20, -12, v12
	v_mov_b32_e32 v21, v15
	v_lshlrev_b64 v[20:21], 3, v[20:21]
	v_add_co_u32_e32 v24, vcc, s12, v24
	v_mov_b32_e32 v13, v15
	v_addc_co_u32_e32 v25, vcc, v17, v25, vcc
	v_lshlrev_b64 v[13:14], 3, v[12:13]
	v_add_co_u32_e32 v20, vcc, s12, v20
	v_addc_co_u32_e32 v21, vcc, v17, v21, vcc
	v_add_co_u32_e32 v26, vcc, s12, v13
	v_addc_co_u32_e32 v27, vcc, v17, v14, vcc
	v_mov_b32_e32 v14, v15
	v_add_u32_e32 v6, 8, v6
	s_waitcnt vmcnt(0)
	v_subrev_u32_e32 v7, s2, v7
	v_mul_lo_u32 v13, v7, 13
	v_lshlrev_b64 v[22:23], 3, v[13:14]
	v_add_u32_e32 v14, 1, v13
	v_add_co_u32_e32 v22, vcc, s14, v22
	v_addc_co_u32_e32 v23, vcc, v19, v23, vcc
	global_load_dwordx2 v[30:31], v[20:21], off
	global_load_dwordx2 v[32:33], v[22:23], off
	v_lshlrev_b64 v[28:29], 3, v[14:15]
	global_load_dwordx4 v[20:23], v[24:25], off
	v_add_co_u32_e32 v28, vcc, s14, v28
	v_addc_co_u32_e32 v29, vcc, v19, v29, vcc
	v_add_u32_e32 v14, -11, v12
	s_waitcnt vmcnt(1)
	v_fma_f64 v[10:11], v[30:31], v[32:33], v[10:11]
	s_waitcnt vmcnt(0)
	v_fma_f64 v[7:8], v[20:21], v[32:33], v[8:9]
	global_load_dwordx2 v[20:21], v[28:29], off
	s_waitcnt vmcnt(0)
	v_fma_f64 v[7:8], v[22:23], v[20:21], v[7:8]
	v_lshlrev_b64 v[22:23], 3, v[14:15]
	v_subrev_u32_e32 v14, 23, v12
	v_add_co_u32_e32 v22, vcc, s12, v22
	v_lshlrev_b64 v[24:25], 3, v[14:15]
	v_addc_co_u32_e32 v23, vcc, v17, v23, vcc
	v_add_co_u32_e32 v24, vcc, s12, v24
	v_addc_co_u32_e32 v25, vcc, v17, v25, vcc
	global_load_dwordx2 v[28:29], v[22:23], off
	global_load_dwordx2 v[30:31], v[24:25], off
	v_add_u32_e32 v14, 2, v13
	s_waitcnt vmcnt(1)
	v_fma_f64 v[9:10], v[28:29], v[20:21], v[10:11]
	v_lshlrev_b64 v[20:21], 3, v[14:15]
	v_add_u32_e32 v14, -10, v12
	v_add_co_u32_e32 v20, vcc, s14, v20
	v_addc_co_u32_e32 v21, vcc, v19, v21, vcc
	global_load_dwordx2 v[20:21], v[20:21], off
	v_lshlrev_b64 v[22:23], 3, v[14:15]
	v_subrev_u32_e32 v14, 22, v12
	v_add_co_u32_e32 v22, vcc, s12, v22
	v_lshlrev_b64 v[24:25], 3, v[14:15]
	v_addc_co_u32_e32 v23, vcc, v17, v23, vcc
	v_add_co_u32_e32 v24, vcc, s12, v24
	v_addc_co_u32_e32 v25, vcc, v17, v25, vcc
	v_add_u32_e32 v14, 3, v13
	s_waitcnt vmcnt(0)
	v_fma_f64 v[7:8], v[30:31], v[20:21], v[7:8]
	global_load_dwordx2 v[28:29], v[22:23], off
	global_load_dwordx2 v[30:31], v[24:25], off
	s_waitcnt vmcnt(1)
	v_fma_f64 v[9:10], v[28:29], v[20:21], v[9:10]
	v_lshlrev_b64 v[20:21], 3, v[14:15]
	v_add_u32_e32 v14, -9, v12
	v_add_co_u32_e32 v20, vcc, s14, v20
	v_addc_co_u32_e32 v21, vcc, v19, v21, vcc
	global_load_dwordx2 v[20:21], v[20:21], off
	v_lshlrev_b64 v[22:23], 3, v[14:15]
	v_subrev_u32_e32 v14, 21, v12
	v_add_co_u32_e32 v22, vcc, s12, v22
	v_lshlrev_b64 v[24:25], 3, v[14:15]
	v_addc_co_u32_e32 v23, vcc, v17, v23, vcc
	v_add_co_u32_e32 v24, vcc, s12, v24
	v_addc_co_u32_e32 v25, vcc, v17, v25, vcc
	v_add_u32_e32 v14, 4, v13
	s_waitcnt vmcnt(0)
	v_fma_f64 v[7:8], v[30:31], v[20:21], v[7:8]
	global_load_dwordx2 v[28:29], v[22:23], off
	global_load_dwordx2 v[30:31], v[24:25], off
	;; [unrolled: 19-line block ×6, first 2 shown]
	s_waitcnt vmcnt(1)
	v_fma_f64 v[9:10], v[28:29], v[20:21], v[9:10]
	v_lshlrev_b64 v[20:21], 3, v[14:15]
	v_add_u32_e32 v14, -4, v12
	v_add_co_u32_e32 v20, vcc, s14, v20
	v_addc_co_u32_e32 v21, vcc, v19, v21, vcc
	global_load_dwordx2 v[20:21], v[20:21], off
	v_lshlrev_b64 v[22:23], 3, v[14:15]
	v_add_u32_e32 v14, -16, v12
	v_add_co_u32_e32 v22, vcc, s12, v22
	v_lshlrev_b64 v[24:25], 3, v[14:15]
	v_addc_co_u32_e32 v23, vcc, v17, v23, vcc
	v_add_co_u32_e32 v24, vcc, s12, v24
	v_addc_co_u32_e32 v25, vcc, v17, v25, vcc
	v_add_u32_e32 v14, 9, v13
	s_waitcnt vmcnt(0)
	v_fma_f64 v[7:8], v[30:31], v[20:21], v[7:8]
	global_load_dwordx2 v[28:29], v[22:23], off
	global_load_dwordx2 v[30:31], v[24:25], off
	s_waitcnt vmcnt(1)
	v_fma_f64 v[9:10], v[28:29], v[20:21], v[9:10]
	v_lshlrev_b64 v[20:21], 3, v[14:15]
	v_add_u32_e32 v14, -3, v12
	v_add_co_u32_e32 v20, vcc, s14, v20
	v_addc_co_u32_e32 v21, vcc, v19, v21, vcc
	global_load_dwordx2 v[20:21], v[20:21], off
	v_lshlrev_b64 v[22:23], 3, v[14:15]
	v_add_u32_e32 v14, -15, v12
	v_add_co_u32_e32 v22, vcc, s12, v22
	v_lshlrev_b64 v[24:25], 3, v[14:15]
	v_addc_co_u32_e32 v23, vcc, v17, v23, vcc
	v_add_co_u32_e32 v24, vcc, s12, v24
	v_addc_co_u32_e32 v25, vcc, v17, v25, vcc
	v_add_u32_e32 v14, 10, v13
	s_waitcnt vmcnt(0)
	v_fma_f64 v[7:8], v[30:31], v[20:21], v[7:8]
	global_load_dwordx2 v[28:29], v[22:23], off
	global_load_dwordx2 v[30:31], v[24:25], off
	;; [unrolled: 19-line block ×3, first 2 shown]
	s_waitcnt vmcnt(1)
	v_fma_f64 v[9:10], v[28:29], v[20:21], v[9:10]
	v_lshlrev_b64 v[20:21], 3, v[14:15]
	v_add_u32_e32 v14, -1, v12
	v_add_co_u32_e32 v20, vcc, s14, v20
	v_addc_co_u32_e32 v21, vcc, v19, v21, vcc
	global_load_dwordx2 v[20:21], v[20:21], off
	v_lshlrev_b64 v[22:23], 3, v[14:15]
	v_add_u32_e32 v14, -13, v12
	v_lshlrev_b64 v[24:25], 3, v[14:15]
	v_add_co_u32_e32 v22, vcc, s12, v22
	v_add_u32_e32 v14, 12, v13
	v_addc_co_u32_e32 v23, vcc, v17, v23, vcc
	v_add_co_u32_e32 v24, vcc, s12, v24
	v_lshlrev_b64 v[13:14], 3, v[14:15]
	v_addc_co_u32_e32 v25, vcc, v17, v25, vcc
	v_add_co_u32_e32 v13, vcc, s14, v13
	v_addc_co_u32_e32 v14, vcc, v19, v14, vcc
	v_cmp_ge_i32_e32 vcc, v6, v18
	s_or_b64 s[0:1], vcc, s[0:1]
	v_add_u32_e32 v12, 0xd0, v12
	s_waitcnt vmcnt(0)
	v_fma_f64 v[7:8], v[30:31], v[20:21], v[7:8]
	global_load_dwordx2 v[28:29], v[22:23], off
	global_load_dwordx2 v[30:31], v[26:27], off
	;; [unrolled: 1-line block ×4, first 2 shown]
	s_waitcnt vmcnt(3)
	v_fma_f64 v[10:11], v[28:29], v[20:21], v[9:10]
	s_waitcnt vmcnt(0)
	v_fma_f64 v[8:9], v[32:33], v[34:35], v[7:8]
	v_fma_f64 v[10:11], v[30:31], v[34:35], v[10:11]
	s_andn2_b64 exec, exec, s[0:1]
	s_cbranch_execnz .LBB132_15
; %bb.16:
	s_or_b64 exec, exec, s[0:1]
.LBB132_17:
	s_or_b64 exec, exec, s[6:7]
.LBB132_18:
	v_mov_b32_dpp v6, v8 row_shr:1 row_mask:0xf bank_mask:0xf
	v_mov_b32_dpp v7, v9 row_shr:1 row_mask:0xf bank_mask:0xf
	v_add_f64 v[6:7], v[8:9], v[6:7]
	v_mov_b32_dpp v8, v10 row_shr:1 row_mask:0xf bank_mask:0xf
	v_mov_b32_dpp v9, v11 row_shr:1 row_mask:0xf bank_mask:0xf
	v_add_f64 v[8:9], v[10:11], v[8:9]
	v_cmp_eq_u32_e32 vcc, 7, v0
	v_mov_b32_dpp v10, v6 row_shr:2 row_mask:0xf bank_mask:0xf
	v_mov_b32_dpp v11, v7 row_shr:2 row_mask:0xf bank_mask:0xf
	v_add_f64 v[6:7], v[6:7], v[10:11]
	v_mov_b32_dpp v12, v8 row_shr:2 row_mask:0xf bank_mask:0xf
	v_mov_b32_dpp v13, v9 row_shr:2 row_mask:0xf bank_mask:0xf
	v_add_f64 v[10:11], v[8:9], v[12:13]
	v_mov_b32_dpp v8, v6 row_shr:4 row_mask:0xf bank_mask:0xe
	v_mov_b32_dpp v9, v7 row_shr:4 row_mask:0xf bank_mask:0xe
	v_mov_b32_dpp v12, v10 row_shr:4 row_mask:0xf bank_mask:0xe
	v_mov_b32_dpp v13, v11 row_shr:4 row_mask:0xf bank_mask:0xe
	s_and_b64 exec, exec, vcc
	s_cbranch_execz .LBB132_23
; %bb.19:
	v_add_f64 v[8:9], v[6:7], v[8:9]
	v_add_f64 v[6:7], v[10:11], v[12:13]
	v_cmp_eq_f64_e32 vcc, 0, v[3:4]
	s_load_dwordx2 s[0:1], s[4:5], 0x38
	s_and_saveexec_b64 s[2:3], vcc
	s_xor_b64 s[2:3], exec, s[2:3]
	s_cbranch_execz .LBB132_21
; %bb.20:
	v_mul_f64 v[3:4], v[1:2], v[8:9]
	v_lshlrev_b32_e32 v0, 1, v5
	v_mul_f64 v[5:6], v[1:2], v[6:7]
	v_ashrrev_i32_e32 v1, 31, v0
	v_lshlrev_b64 v[0:1], 3, v[0:1]
	s_waitcnt lgkmcnt(0)
	v_mov_b32_e32 v2, s1
	v_add_co_u32_e32 v0, vcc, s0, v0
	v_addc_co_u32_e32 v1, vcc, v2, v1, vcc
	global_store_dwordx4 v[0:1], v[3:6], off
                                        ; implicit-def: $vgpr5
                                        ; implicit-def: $vgpr1_vgpr2
                                        ; implicit-def: $vgpr8_vgpr9
                                        ; implicit-def: $vgpr3_vgpr4
                                        ; implicit-def: $vgpr6_vgpr7
.LBB132_21:
	s_andn2_saveexec_b64 s[2:3], s[2:3]
	s_cbranch_execz .LBB132_23
; %bb.22:
	v_lshlrev_b32_e32 v10, 1, v5
	v_ashrrev_i32_e32 v11, 31, v10
	v_lshlrev_b64 v[10:11], 3, v[10:11]
	s_waitcnt lgkmcnt(0)
	v_mov_b32_e32 v0, s1
	v_add_co_u32_e32 v14, vcc, s0, v10
	v_addc_co_u32_e32 v15, vcc, v0, v11, vcc
	global_load_dwordx4 v[10:13], v[14:15], off
	v_mul_f64 v[8:9], v[1:2], v[8:9]
	v_mul_f64 v[5:6], v[1:2], v[6:7]
	s_waitcnt vmcnt(0)
	v_fma_f64 v[0:1], v[3:4], v[10:11], v[8:9]
	v_fma_f64 v[2:3], v[3:4], v[12:13], v[5:6]
	global_store_dwordx4 v[14:15], v[0:3], off
.LBB132_23:
	s_endpgm
	.section	.rodata,"a",@progbits
	.p2align	6, 0x0
	.amdhsa_kernel _ZN9rocsparseL19gebsrmvn_2xn_kernelILj128ELj13ELj8EdEEvi20rocsparse_direction_NS_24const_host_device_scalarIT2_EEPKiS6_PKS3_S8_S4_PS3_21rocsparse_index_base_b
		.amdhsa_group_segment_fixed_size 0
		.amdhsa_private_segment_fixed_size 0
		.amdhsa_kernarg_size 72
		.amdhsa_user_sgpr_count 6
		.amdhsa_user_sgpr_private_segment_buffer 1
		.amdhsa_user_sgpr_dispatch_ptr 0
		.amdhsa_user_sgpr_queue_ptr 0
		.amdhsa_user_sgpr_kernarg_segment_ptr 1
		.amdhsa_user_sgpr_dispatch_id 0
		.amdhsa_user_sgpr_flat_scratch_init 0
		.amdhsa_user_sgpr_private_segment_size 0
		.amdhsa_uses_dynamic_stack 0
		.amdhsa_system_sgpr_private_segment_wavefront_offset 0
		.amdhsa_system_sgpr_workgroup_id_x 1
		.amdhsa_system_sgpr_workgroup_id_y 0
		.amdhsa_system_sgpr_workgroup_id_z 0
		.amdhsa_system_sgpr_workgroup_info 0
		.amdhsa_system_vgpr_workitem_id 0
		.amdhsa_next_free_vgpr 38
		.amdhsa_next_free_sgpr 16
		.amdhsa_reserve_vcc 1
		.amdhsa_reserve_flat_scratch 0
		.amdhsa_float_round_mode_32 0
		.amdhsa_float_round_mode_16_64 0
		.amdhsa_float_denorm_mode_32 3
		.amdhsa_float_denorm_mode_16_64 3
		.amdhsa_dx10_clamp 1
		.amdhsa_ieee_mode 1
		.amdhsa_fp16_overflow 0
		.amdhsa_exception_fp_ieee_invalid_op 0
		.amdhsa_exception_fp_denorm_src 0
		.amdhsa_exception_fp_ieee_div_zero 0
		.amdhsa_exception_fp_ieee_overflow 0
		.amdhsa_exception_fp_ieee_underflow 0
		.amdhsa_exception_fp_ieee_inexact 0
		.amdhsa_exception_int_div_zero 0
	.end_amdhsa_kernel
	.section	.text._ZN9rocsparseL19gebsrmvn_2xn_kernelILj128ELj13ELj8EdEEvi20rocsparse_direction_NS_24const_host_device_scalarIT2_EEPKiS6_PKS3_S8_S4_PS3_21rocsparse_index_base_b,"axG",@progbits,_ZN9rocsparseL19gebsrmvn_2xn_kernelILj128ELj13ELj8EdEEvi20rocsparse_direction_NS_24const_host_device_scalarIT2_EEPKiS6_PKS3_S8_S4_PS3_21rocsparse_index_base_b,comdat
.Lfunc_end132:
	.size	_ZN9rocsparseL19gebsrmvn_2xn_kernelILj128ELj13ELj8EdEEvi20rocsparse_direction_NS_24const_host_device_scalarIT2_EEPKiS6_PKS3_S8_S4_PS3_21rocsparse_index_base_b, .Lfunc_end132-_ZN9rocsparseL19gebsrmvn_2xn_kernelILj128ELj13ELj8EdEEvi20rocsparse_direction_NS_24const_host_device_scalarIT2_EEPKiS6_PKS3_S8_S4_PS3_21rocsparse_index_base_b
                                        ; -- End function
	.set _ZN9rocsparseL19gebsrmvn_2xn_kernelILj128ELj13ELj8EdEEvi20rocsparse_direction_NS_24const_host_device_scalarIT2_EEPKiS6_PKS3_S8_S4_PS3_21rocsparse_index_base_b.num_vgpr, 38
	.set _ZN9rocsparseL19gebsrmvn_2xn_kernelILj128ELj13ELj8EdEEvi20rocsparse_direction_NS_24const_host_device_scalarIT2_EEPKiS6_PKS3_S8_S4_PS3_21rocsparse_index_base_b.num_agpr, 0
	.set _ZN9rocsparseL19gebsrmvn_2xn_kernelILj128ELj13ELj8EdEEvi20rocsparse_direction_NS_24const_host_device_scalarIT2_EEPKiS6_PKS3_S8_S4_PS3_21rocsparse_index_base_b.numbered_sgpr, 16
	.set _ZN9rocsparseL19gebsrmvn_2xn_kernelILj128ELj13ELj8EdEEvi20rocsparse_direction_NS_24const_host_device_scalarIT2_EEPKiS6_PKS3_S8_S4_PS3_21rocsparse_index_base_b.num_named_barrier, 0
	.set _ZN9rocsparseL19gebsrmvn_2xn_kernelILj128ELj13ELj8EdEEvi20rocsparse_direction_NS_24const_host_device_scalarIT2_EEPKiS6_PKS3_S8_S4_PS3_21rocsparse_index_base_b.private_seg_size, 0
	.set _ZN9rocsparseL19gebsrmvn_2xn_kernelILj128ELj13ELj8EdEEvi20rocsparse_direction_NS_24const_host_device_scalarIT2_EEPKiS6_PKS3_S8_S4_PS3_21rocsparse_index_base_b.uses_vcc, 1
	.set _ZN9rocsparseL19gebsrmvn_2xn_kernelILj128ELj13ELj8EdEEvi20rocsparse_direction_NS_24const_host_device_scalarIT2_EEPKiS6_PKS3_S8_S4_PS3_21rocsparse_index_base_b.uses_flat_scratch, 0
	.set _ZN9rocsparseL19gebsrmvn_2xn_kernelILj128ELj13ELj8EdEEvi20rocsparse_direction_NS_24const_host_device_scalarIT2_EEPKiS6_PKS3_S8_S4_PS3_21rocsparse_index_base_b.has_dyn_sized_stack, 0
	.set _ZN9rocsparseL19gebsrmvn_2xn_kernelILj128ELj13ELj8EdEEvi20rocsparse_direction_NS_24const_host_device_scalarIT2_EEPKiS6_PKS3_S8_S4_PS3_21rocsparse_index_base_b.has_recursion, 0
	.set _ZN9rocsparseL19gebsrmvn_2xn_kernelILj128ELj13ELj8EdEEvi20rocsparse_direction_NS_24const_host_device_scalarIT2_EEPKiS6_PKS3_S8_S4_PS3_21rocsparse_index_base_b.has_indirect_call, 0
	.section	.AMDGPU.csdata,"",@progbits
; Kernel info:
; codeLenInByte = 3252
; TotalNumSgprs: 20
; NumVgprs: 38
; ScratchSize: 0
; MemoryBound: 0
; FloatMode: 240
; IeeeMode: 1
; LDSByteSize: 0 bytes/workgroup (compile time only)
; SGPRBlocks: 2
; VGPRBlocks: 9
; NumSGPRsForWavesPerEU: 20
; NumVGPRsForWavesPerEU: 38
; Occupancy: 6
; WaveLimiterHint : 1
; COMPUTE_PGM_RSRC2:SCRATCH_EN: 0
; COMPUTE_PGM_RSRC2:USER_SGPR: 6
; COMPUTE_PGM_RSRC2:TRAP_HANDLER: 0
; COMPUTE_PGM_RSRC2:TGID_X_EN: 1
; COMPUTE_PGM_RSRC2:TGID_Y_EN: 0
; COMPUTE_PGM_RSRC2:TGID_Z_EN: 0
; COMPUTE_PGM_RSRC2:TIDIG_COMP_CNT: 0
	.section	.text._ZN9rocsparseL19gebsrmvn_2xn_kernelILj128ELj13ELj16EdEEvi20rocsparse_direction_NS_24const_host_device_scalarIT2_EEPKiS6_PKS3_S8_S4_PS3_21rocsparse_index_base_b,"axG",@progbits,_ZN9rocsparseL19gebsrmvn_2xn_kernelILj128ELj13ELj16EdEEvi20rocsparse_direction_NS_24const_host_device_scalarIT2_EEPKiS6_PKS3_S8_S4_PS3_21rocsparse_index_base_b,comdat
	.globl	_ZN9rocsparseL19gebsrmvn_2xn_kernelILj128ELj13ELj16EdEEvi20rocsparse_direction_NS_24const_host_device_scalarIT2_EEPKiS6_PKS3_S8_S4_PS3_21rocsparse_index_base_b ; -- Begin function _ZN9rocsparseL19gebsrmvn_2xn_kernelILj128ELj13ELj16EdEEvi20rocsparse_direction_NS_24const_host_device_scalarIT2_EEPKiS6_PKS3_S8_S4_PS3_21rocsparse_index_base_b
	.p2align	8
	.type	_ZN9rocsparseL19gebsrmvn_2xn_kernelILj128ELj13ELj16EdEEvi20rocsparse_direction_NS_24const_host_device_scalarIT2_EEPKiS6_PKS3_S8_S4_PS3_21rocsparse_index_base_b,@function
_ZN9rocsparseL19gebsrmvn_2xn_kernelILj128ELj13ELj16EdEEvi20rocsparse_direction_NS_24const_host_device_scalarIT2_EEPKiS6_PKS3_S8_S4_PS3_21rocsparse_index_base_b: ; @_ZN9rocsparseL19gebsrmvn_2xn_kernelILj128ELj13ELj16EdEEvi20rocsparse_direction_NS_24const_host_device_scalarIT2_EEPKiS6_PKS3_S8_S4_PS3_21rocsparse_index_base_b
; %bb.0:
	s_load_dwordx2 s[2:3], s[4:5], 0x40
	s_load_dwordx2 s[10:11], s[4:5], 0x8
	;; [unrolled: 1-line block ×3, first 2 shown]
	s_waitcnt lgkmcnt(0)
	s_bitcmp1_b32 s3, 0
	s_cselect_b64 s[12:13], -1, 0
	v_mov_b32_e32 v1, s10
	s_xor_b64 s[8:9], s[12:13], -1
	s_and_b64 vcc, exec, s[12:13]
	v_mov_b32_e32 v2, s11
	s_cbranch_vccnz .LBB133_2
; %bb.1:
	v_mov_b32_e32 v1, s10
	v_mov_b32_e32 v2, s11
	flat_load_dwordx2 v[1:2], v[1:2]
.LBB133_2:
	v_mov_b32_e32 v4, s1
	s_andn2_b64 vcc, exec, s[8:9]
	v_mov_b32_e32 v3, s0
	s_cbranch_vccnz .LBB133_4
; %bb.3:
	v_mov_b32_e32 v4, s1
	v_mov_b32_e32 v3, s0
	flat_load_dwordx2 v[3:4], v[3:4]
.LBB133_4:
	s_waitcnt vmcnt(0) lgkmcnt(0)
	v_cmp_neq_f64_e32 vcc, 0, v[1:2]
	v_cmp_neq_f64_e64 s[0:1], 1.0, v[3:4]
	s_or_b64 s[0:1], vcc, s[0:1]
	s_and_saveexec_b64 s[8:9], s[0:1]
	s_cbranch_execz .LBB133_23
; %bb.5:
	s_load_dwordx2 s[0:1], s[4:5], 0x0
	v_lshrrev_b32_e32 v5, 4, v0
	v_lshl_or_b32 v5, s6, 3, v5
	s_waitcnt lgkmcnt(0)
	v_cmp_gt_i32_e32 vcc, s0, v5
	s_and_b64 exec, exec, vcc
	s_cbranch_execz .LBB133_23
; %bb.6:
	s_load_dwordx8 s[8:15], s[4:5], 0x10
	v_ashrrev_i32_e32 v6, 31, v5
	v_lshlrev_b64 v[6:7], 2, v[5:6]
	v_and_b32_e32 v0, 15, v0
	s_cmp_lg_u32 s1, 0
	s_waitcnt lgkmcnt(0)
	v_mov_b32_e32 v8, s9
	v_add_co_u32_e32 v6, vcc, s8, v6
	v_addc_co_u32_e32 v7, vcc, v8, v7, vcc
	global_load_dwordx2 v[6:7], v[6:7], off
	s_waitcnt vmcnt(0)
	v_subrev_u32_e32 v6, s2, v6
	v_subrev_u32_e32 v18, s2, v7
	v_add_u32_e32 v6, v6, v0
	v_cmp_lt_i32_e64 s[0:1], v6, v18
	s_cbranch_scc0 .LBB133_12
; %bb.7:
	v_mov_b32_e32 v8, 0
	v_mov_b32_e32 v10, 0
	;; [unrolled: 1-line block ×4, first 2 shown]
	s_and_saveexec_b64 s[6:7], s[0:1]
	s_cbranch_execz .LBB133_11
; %bb.8:
	v_mad_u64_u32 v[12:13], s[8:9], v6, 26, 24
	v_mov_b32_e32 v8, 0
	v_mov_b32_e32 v10, 0
	;; [unrolled: 1-line block ×3, first 2 shown]
	s_mov_b64 s[8:9], 0
	v_mov_b32_e32 v7, s11
	v_mov_b32_e32 v15, 0
	;; [unrolled: 1-line block ×6, first 2 shown]
.LBB133_9:                              ; =>This Inner Loop Header: Depth=1
	v_ashrrev_i32_e32 v17, 31, v16
	v_lshlrev_b64 v[21:22], 2, v[16:17]
	v_subrev_u32_e32 v14, 24, v12
	v_lshlrev_b64 v[23:24], 3, v[14:15]
	v_add_co_u32_e32 v27, vcc, s10, v21
	v_addc_co_u32_e32 v28, vcc, v7, v22, vcc
	v_add_co_u32_e32 v31, vcc, s12, v23
	v_addc_co_u32_e32 v32, vcc, v19, v24, vcc
	global_load_dword v17, v[27:28], off
	global_load_dwordx4 v[21:24], v[31:32], off
	v_mov_b32_e32 v13, v15
	v_lshlrev_b64 v[25:26], 3, v[12:13]
	v_subrev_u32_e32 v14, 22, v12
	v_lshlrev_b64 v[13:14], 3, v[14:15]
	v_add_co_u32_e32 v33, vcc, s12, v25
	v_mov_b32_e32 v30, v15
	v_addc_co_u32_e32 v34, vcc, v19, v26, vcc
	v_add_co_u32_e32 v13, vcc, s12, v13
	v_addc_co_u32_e32 v14, vcc, v19, v14, vcc
	v_add_u32_e32 v16, 16, v16
	s_waitcnt vmcnt(1)
	v_subrev_u32_e32 v17, s2, v17
	v_mul_lo_u32 v29, v17, 13
	v_lshlrev_b64 v[25:26], 3, v[29:30]
	v_add_co_u32_e32 v30, vcc, s14, v25
	v_addc_co_u32_e32 v31, vcc, v20, v26, vcc
	global_load_dwordx4 v[25:28], v[33:34], off
	global_load_dwordx2 v[35:36], v[30:31], off
	s_waitcnt vmcnt(0)
	v_fma_f64 v[21:22], v[21:22], v[35:36], v[8:9]
	v_fma_f64 v[23:24], v[23:24], v[35:36], v[10:11]
	global_load_dwordx4 v[8:11], v[13:14], off
	v_add_u32_e32 v14, 1, v29
	v_lshlrev_b64 v[30:31], 3, v[14:15]
	v_subrev_u32_e32 v14, 20, v12
	v_add_co_u32_e32 v30, vcc, s14, v30
	v_addc_co_u32_e32 v31, vcc, v20, v31, vcc
	global_load_dwordx2 v[30:31], v[30:31], off
	v_lshlrev_b64 v[32:33], 3, v[14:15]
	v_add_u32_e32 v14, 2, v29
	s_waitcnt vmcnt(0)
	v_fma_f64 v[21:22], v[8:9], v[30:31], v[21:22]
	v_fma_f64 v[23:24], v[10:11], v[30:31], v[23:24]
	v_lshlrev_b64 v[8:9], 3, v[14:15]
	v_add_co_u32_e32 v30, vcc, s12, v32
	v_addc_co_u32_e32 v31, vcc, v19, v33, vcc
	v_add_co_u32_e32 v34, vcc, s14, v8
	v_addc_co_u32_e32 v35, vcc, v20, v9, vcc
	global_load_dwordx4 v[8:11], v[30:31], off
	global_load_dwordx2 v[36:37], v[34:35], off
	v_subrev_u32_e32 v14, 18, v12
	v_lshlrev_b64 v[32:33], 3, v[14:15]
	v_add_u32_e32 v14, 3, v29
	v_add_co_u32_e32 v30, vcc, s12, v32
	v_addc_co_u32_e32 v31, vcc, v19, v33, vcc
	s_waitcnt vmcnt(0)
	v_fma_f64 v[21:22], v[8:9], v[36:37], v[21:22]
	v_lshlrev_b64 v[8:9], 3, v[14:15]
	v_fma_f64 v[23:24], v[10:11], v[36:37], v[23:24]
	v_add_co_u32_e32 v34, vcc, s14, v8
	v_addc_co_u32_e32 v35, vcc, v20, v9, vcc
	global_load_dwordx4 v[8:11], v[30:31], off
	global_load_dwordx2 v[36:37], v[34:35], off
	v_add_u32_e32 v14, -16, v12
	v_lshlrev_b64 v[32:33], 3, v[14:15]
	v_add_u32_e32 v14, 4, v29
	v_add_co_u32_e32 v30, vcc, s12, v32
	v_addc_co_u32_e32 v31, vcc, v19, v33, vcc
	s_waitcnt vmcnt(0)
	v_fma_f64 v[21:22], v[8:9], v[36:37], v[21:22]
	v_lshlrev_b64 v[8:9], 3, v[14:15]
	v_fma_f64 v[23:24], v[10:11], v[36:37], v[23:24]
	v_add_co_u32_e32 v34, vcc, s14, v8
	v_addc_co_u32_e32 v35, vcc, v20, v9, vcc
	global_load_dwordx4 v[8:11], v[30:31], off
	global_load_dwordx2 v[36:37], v[34:35], off
	v_add_u32_e32 v14, -14, v12
	;; [unrolled: 13-line block ×8, first 2 shown]
	v_lshlrev_b64 v[32:33], 3, v[14:15]
	v_add_u32_e32 v14, 11, v29
	v_add_co_u32_e32 v13, vcc, s12, v32
	v_add_u32_e32 v12, 0x1a0, v12
	s_waitcnt vmcnt(0)
	v_fma_f64 v[21:22], v[8:9], v[36:37], v[21:22]
	v_lshlrev_b64 v[8:9], 3, v[14:15]
	v_addc_co_u32_e32 v14, vcc, v19, v33, vcc
	v_add_co_u32_e32 v30, vcc, s14, v8
	v_fma_f64 v[23:24], v[10:11], v[36:37], v[23:24]
	v_addc_co_u32_e32 v31, vcc, v20, v9, vcc
	global_load_dwordx4 v[8:11], v[13:14], off
	global_load_dwordx2 v[32:33], v[30:31], off
	v_add_u32_e32 v14, 12, v29
	v_lshlrev_b64 v[13:14], 3, v[14:15]
	v_add_co_u32_e32 v13, vcc, s14, v13
	v_addc_co_u32_e32 v14, vcc, v20, v14, vcc
	global_load_dwordx2 v[13:14], v[13:14], off
	v_cmp_ge_i32_e32 vcc, v16, v18
	s_or_b64 s[8:9], vcc, s[8:9]
	s_waitcnt vmcnt(1)
	v_fma_f64 v[8:9], v[8:9], v[32:33], v[21:22]
	v_fma_f64 v[10:11], v[10:11], v[32:33], v[23:24]
	s_waitcnt vmcnt(0)
	v_fma_f64 v[8:9], v[25:26], v[13:14], v[8:9]
	v_fma_f64 v[10:11], v[27:28], v[13:14], v[10:11]
	s_andn2_b64 exec, exec, s[8:9]
	s_cbranch_execnz .LBB133_9
; %bb.10:
	s_or_b64 exec, exec, s[8:9]
.LBB133_11:
	s_or_b64 exec, exec, s[6:7]
	s_cbranch_execz .LBB133_13
	s_branch .LBB133_18
.LBB133_12:
                                        ; implicit-def: $vgpr8_vgpr9
                                        ; implicit-def: $vgpr10_vgpr11
.LBB133_13:
	v_mov_b32_e32 v8, 0
	v_mov_b32_e32 v10, 0
	;; [unrolled: 1-line block ×4, first 2 shown]
	s_and_saveexec_b64 s[6:7], s[0:1]
	s_cbranch_execz .LBB133_17
; %bb.14:
	v_mad_u64_u32 v[12:13], s[0:1], v6, 26, 25
	v_mov_b32_e32 v8, 0
	v_mov_b32_e32 v10, 0
	;; [unrolled: 1-line block ×3, first 2 shown]
	s_mov_b64 s[0:1], 0
	v_mov_b32_e32 v16, s11
	v_mov_b32_e32 v15, 0
	;; [unrolled: 1-line block ×5, first 2 shown]
.LBB133_15:                             ; =>This Inner Loop Header: Depth=1
	v_ashrrev_i32_e32 v7, 31, v6
	v_lshlrev_b64 v[22:23], 2, v[6:7]
	v_subrev_u32_e32 v14, 25, v12
	v_add_co_u32_e32 v22, vcc, s10, v22
	v_addc_co_u32_e32 v23, vcc, v16, v23, vcc
	global_load_dword v7, v[22:23], off
	v_lshlrev_b64 v[24:25], 3, v[14:15]
	v_add_u32_e32 v20, -12, v12
	v_mov_b32_e32 v21, v15
	v_lshlrev_b64 v[20:21], 3, v[20:21]
	v_add_co_u32_e32 v24, vcc, s12, v24
	v_mov_b32_e32 v13, v15
	v_addc_co_u32_e32 v25, vcc, v17, v25, vcc
	v_lshlrev_b64 v[13:14], 3, v[12:13]
	v_add_co_u32_e32 v20, vcc, s12, v20
	v_addc_co_u32_e32 v21, vcc, v17, v21, vcc
	v_add_co_u32_e32 v26, vcc, s12, v13
	v_addc_co_u32_e32 v27, vcc, v17, v14, vcc
	v_mov_b32_e32 v14, v15
	v_add_u32_e32 v6, 16, v6
	s_waitcnt vmcnt(0)
	v_subrev_u32_e32 v7, s2, v7
	v_mul_lo_u32 v13, v7, 13
	v_lshlrev_b64 v[22:23], 3, v[13:14]
	v_add_u32_e32 v14, 1, v13
	v_add_co_u32_e32 v22, vcc, s14, v22
	v_addc_co_u32_e32 v23, vcc, v19, v23, vcc
	global_load_dwordx2 v[30:31], v[20:21], off
	global_load_dwordx2 v[32:33], v[22:23], off
	v_lshlrev_b64 v[28:29], 3, v[14:15]
	global_load_dwordx4 v[20:23], v[24:25], off
	v_add_co_u32_e32 v28, vcc, s14, v28
	v_addc_co_u32_e32 v29, vcc, v19, v29, vcc
	v_add_u32_e32 v14, -11, v12
	s_waitcnt vmcnt(1)
	v_fma_f64 v[10:11], v[30:31], v[32:33], v[10:11]
	s_waitcnt vmcnt(0)
	v_fma_f64 v[7:8], v[20:21], v[32:33], v[8:9]
	global_load_dwordx2 v[20:21], v[28:29], off
	s_waitcnt vmcnt(0)
	v_fma_f64 v[7:8], v[22:23], v[20:21], v[7:8]
	v_lshlrev_b64 v[22:23], 3, v[14:15]
	v_subrev_u32_e32 v14, 23, v12
	v_add_co_u32_e32 v22, vcc, s12, v22
	v_lshlrev_b64 v[24:25], 3, v[14:15]
	v_addc_co_u32_e32 v23, vcc, v17, v23, vcc
	v_add_co_u32_e32 v24, vcc, s12, v24
	v_addc_co_u32_e32 v25, vcc, v17, v25, vcc
	global_load_dwordx2 v[28:29], v[22:23], off
	global_load_dwordx2 v[30:31], v[24:25], off
	v_add_u32_e32 v14, 2, v13
	s_waitcnt vmcnt(1)
	v_fma_f64 v[9:10], v[28:29], v[20:21], v[10:11]
	v_lshlrev_b64 v[20:21], 3, v[14:15]
	v_add_u32_e32 v14, -10, v12
	v_add_co_u32_e32 v20, vcc, s14, v20
	v_addc_co_u32_e32 v21, vcc, v19, v21, vcc
	global_load_dwordx2 v[20:21], v[20:21], off
	v_lshlrev_b64 v[22:23], 3, v[14:15]
	v_subrev_u32_e32 v14, 22, v12
	v_add_co_u32_e32 v22, vcc, s12, v22
	v_lshlrev_b64 v[24:25], 3, v[14:15]
	v_addc_co_u32_e32 v23, vcc, v17, v23, vcc
	v_add_co_u32_e32 v24, vcc, s12, v24
	v_addc_co_u32_e32 v25, vcc, v17, v25, vcc
	v_add_u32_e32 v14, 3, v13
	s_waitcnt vmcnt(0)
	v_fma_f64 v[7:8], v[30:31], v[20:21], v[7:8]
	global_load_dwordx2 v[28:29], v[22:23], off
	global_load_dwordx2 v[30:31], v[24:25], off
	s_waitcnt vmcnt(1)
	v_fma_f64 v[9:10], v[28:29], v[20:21], v[9:10]
	v_lshlrev_b64 v[20:21], 3, v[14:15]
	v_add_u32_e32 v14, -9, v12
	v_add_co_u32_e32 v20, vcc, s14, v20
	v_addc_co_u32_e32 v21, vcc, v19, v21, vcc
	global_load_dwordx2 v[20:21], v[20:21], off
	v_lshlrev_b64 v[22:23], 3, v[14:15]
	v_subrev_u32_e32 v14, 21, v12
	v_add_co_u32_e32 v22, vcc, s12, v22
	v_lshlrev_b64 v[24:25], 3, v[14:15]
	v_addc_co_u32_e32 v23, vcc, v17, v23, vcc
	v_add_co_u32_e32 v24, vcc, s12, v24
	v_addc_co_u32_e32 v25, vcc, v17, v25, vcc
	v_add_u32_e32 v14, 4, v13
	s_waitcnt vmcnt(0)
	v_fma_f64 v[7:8], v[30:31], v[20:21], v[7:8]
	global_load_dwordx2 v[28:29], v[22:23], off
	global_load_dwordx2 v[30:31], v[24:25], off
	;; [unrolled: 19-line block ×6, first 2 shown]
	s_waitcnt vmcnt(1)
	v_fma_f64 v[9:10], v[28:29], v[20:21], v[9:10]
	v_lshlrev_b64 v[20:21], 3, v[14:15]
	v_add_u32_e32 v14, -4, v12
	v_add_co_u32_e32 v20, vcc, s14, v20
	v_addc_co_u32_e32 v21, vcc, v19, v21, vcc
	global_load_dwordx2 v[20:21], v[20:21], off
	v_lshlrev_b64 v[22:23], 3, v[14:15]
	v_add_u32_e32 v14, -16, v12
	v_add_co_u32_e32 v22, vcc, s12, v22
	v_lshlrev_b64 v[24:25], 3, v[14:15]
	v_addc_co_u32_e32 v23, vcc, v17, v23, vcc
	v_add_co_u32_e32 v24, vcc, s12, v24
	v_addc_co_u32_e32 v25, vcc, v17, v25, vcc
	v_add_u32_e32 v14, 9, v13
	s_waitcnt vmcnt(0)
	v_fma_f64 v[7:8], v[30:31], v[20:21], v[7:8]
	global_load_dwordx2 v[28:29], v[22:23], off
	global_load_dwordx2 v[30:31], v[24:25], off
	s_waitcnt vmcnt(1)
	v_fma_f64 v[9:10], v[28:29], v[20:21], v[9:10]
	v_lshlrev_b64 v[20:21], 3, v[14:15]
	v_add_u32_e32 v14, -3, v12
	v_add_co_u32_e32 v20, vcc, s14, v20
	v_addc_co_u32_e32 v21, vcc, v19, v21, vcc
	global_load_dwordx2 v[20:21], v[20:21], off
	v_lshlrev_b64 v[22:23], 3, v[14:15]
	v_add_u32_e32 v14, -15, v12
	v_add_co_u32_e32 v22, vcc, s12, v22
	v_lshlrev_b64 v[24:25], 3, v[14:15]
	v_addc_co_u32_e32 v23, vcc, v17, v23, vcc
	v_add_co_u32_e32 v24, vcc, s12, v24
	v_addc_co_u32_e32 v25, vcc, v17, v25, vcc
	v_add_u32_e32 v14, 10, v13
	s_waitcnt vmcnt(0)
	v_fma_f64 v[7:8], v[30:31], v[20:21], v[7:8]
	global_load_dwordx2 v[28:29], v[22:23], off
	global_load_dwordx2 v[30:31], v[24:25], off
	;; [unrolled: 19-line block ×3, first 2 shown]
	s_waitcnt vmcnt(1)
	v_fma_f64 v[9:10], v[28:29], v[20:21], v[9:10]
	v_lshlrev_b64 v[20:21], 3, v[14:15]
	v_add_u32_e32 v14, -1, v12
	v_add_co_u32_e32 v20, vcc, s14, v20
	v_addc_co_u32_e32 v21, vcc, v19, v21, vcc
	global_load_dwordx2 v[20:21], v[20:21], off
	v_lshlrev_b64 v[22:23], 3, v[14:15]
	v_add_u32_e32 v14, -13, v12
	v_lshlrev_b64 v[24:25], 3, v[14:15]
	v_add_co_u32_e32 v22, vcc, s12, v22
	v_add_u32_e32 v14, 12, v13
	v_addc_co_u32_e32 v23, vcc, v17, v23, vcc
	v_add_co_u32_e32 v24, vcc, s12, v24
	v_lshlrev_b64 v[13:14], 3, v[14:15]
	v_addc_co_u32_e32 v25, vcc, v17, v25, vcc
	v_add_co_u32_e32 v13, vcc, s14, v13
	v_addc_co_u32_e32 v14, vcc, v19, v14, vcc
	v_cmp_ge_i32_e32 vcc, v6, v18
	s_or_b64 s[0:1], vcc, s[0:1]
	v_add_u32_e32 v12, 0x1a0, v12
	s_waitcnt vmcnt(0)
	v_fma_f64 v[7:8], v[30:31], v[20:21], v[7:8]
	global_load_dwordx2 v[28:29], v[22:23], off
	global_load_dwordx2 v[30:31], v[26:27], off
	;; [unrolled: 1-line block ×4, first 2 shown]
	s_waitcnt vmcnt(3)
	v_fma_f64 v[10:11], v[28:29], v[20:21], v[9:10]
	s_waitcnt vmcnt(0)
	v_fma_f64 v[8:9], v[32:33], v[34:35], v[7:8]
	v_fma_f64 v[10:11], v[30:31], v[34:35], v[10:11]
	s_andn2_b64 exec, exec, s[0:1]
	s_cbranch_execnz .LBB133_15
; %bb.16:
	s_or_b64 exec, exec, s[0:1]
.LBB133_17:
	s_or_b64 exec, exec, s[6:7]
.LBB133_18:
	v_mov_b32_dpp v6, v8 row_shr:1 row_mask:0xf bank_mask:0xf
	v_mov_b32_dpp v7, v9 row_shr:1 row_mask:0xf bank_mask:0xf
	v_add_f64 v[6:7], v[8:9], v[6:7]
	v_mov_b32_dpp v8, v10 row_shr:1 row_mask:0xf bank_mask:0xf
	v_mov_b32_dpp v9, v11 row_shr:1 row_mask:0xf bank_mask:0xf
	v_add_f64 v[8:9], v[10:11], v[8:9]
	v_cmp_eq_u32_e32 vcc, 15, v0
	v_mov_b32_dpp v10, v6 row_shr:2 row_mask:0xf bank_mask:0xf
	v_mov_b32_dpp v11, v7 row_shr:2 row_mask:0xf bank_mask:0xf
	v_add_f64 v[6:7], v[6:7], v[10:11]
	v_mov_b32_dpp v12, v8 row_shr:2 row_mask:0xf bank_mask:0xf
	v_mov_b32_dpp v13, v9 row_shr:2 row_mask:0xf bank_mask:0xf
	v_add_f64 v[8:9], v[8:9], v[12:13]
	;; [unrolled: 3-line block ×4, first 2 shown]
	v_mov_b32_dpp v8, v6 row_shr:8 row_mask:0xf bank_mask:0xc
	v_mov_b32_dpp v9, v7 row_shr:8 row_mask:0xf bank_mask:0xc
	v_mov_b32_dpp v12, v10 row_shr:8 row_mask:0xf bank_mask:0xc
	v_mov_b32_dpp v13, v11 row_shr:8 row_mask:0xf bank_mask:0xc
	s_and_b64 exec, exec, vcc
	s_cbranch_execz .LBB133_23
; %bb.19:
	v_add_f64 v[8:9], v[6:7], v[8:9]
	v_add_f64 v[6:7], v[10:11], v[12:13]
	v_cmp_eq_f64_e32 vcc, 0, v[3:4]
	s_load_dwordx2 s[0:1], s[4:5], 0x38
	s_and_saveexec_b64 s[2:3], vcc
	s_xor_b64 s[2:3], exec, s[2:3]
	s_cbranch_execz .LBB133_21
; %bb.20:
	v_mul_f64 v[3:4], v[1:2], v[8:9]
	v_lshlrev_b32_e32 v0, 1, v5
	v_mul_f64 v[5:6], v[1:2], v[6:7]
	v_ashrrev_i32_e32 v1, 31, v0
	v_lshlrev_b64 v[0:1], 3, v[0:1]
	s_waitcnt lgkmcnt(0)
	v_mov_b32_e32 v2, s1
	v_add_co_u32_e32 v0, vcc, s0, v0
	v_addc_co_u32_e32 v1, vcc, v2, v1, vcc
	global_store_dwordx4 v[0:1], v[3:6], off
                                        ; implicit-def: $vgpr5
                                        ; implicit-def: $vgpr1_vgpr2
                                        ; implicit-def: $vgpr8_vgpr9
                                        ; implicit-def: $vgpr3_vgpr4
                                        ; implicit-def: $vgpr6_vgpr7
.LBB133_21:
	s_andn2_saveexec_b64 s[2:3], s[2:3]
	s_cbranch_execz .LBB133_23
; %bb.22:
	v_lshlrev_b32_e32 v10, 1, v5
	v_ashrrev_i32_e32 v11, 31, v10
	v_lshlrev_b64 v[10:11], 3, v[10:11]
	s_waitcnt lgkmcnt(0)
	v_mov_b32_e32 v0, s1
	v_add_co_u32_e32 v14, vcc, s0, v10
	v_addc_co_u32_e32 v15, vcc, v0, v11, vcc
	global_load_dwordx4 v[10:13], v[14:15], off
	v_mul_f64 v[8:9], v[1:2], v[8:9]
	v_mul_f64 v[5:6], v[1:2], v[6:7]
	s_waitcnt vmcnt(0)
	v_fma_f64 v[0:1], v[3:4], v[10:11], v[8:9]
	v_fma_f64 v[2:3], v[3:4], v[12:13], v[5:6]
	global_store_dwordx4 v[14:15], v[0:3], off
.LBB133_23:
	s_endpgm
	.section	.rodata,"a",@progbits
	.p2align	6, 0x0
	.amdhsa_kernel _ZN9rocsparseL19gebsrmvn_2xn_kernelILj128ELj13ELj16EdEEvi20rocsparse_direction_NS_24const_host_device_scalarIT2_EEPKiS6_PKS3_S8_S4_PS3_21rocsparse_index_base_b
		.amdhsa_group_segment_fixed_size 0
		.amdhsa_private_segment_fixed_size 0
		.amdhsa_kernarg_size 72
		.amdhsa_user_sgpr_count 6
		.amdhsa_user_sgpr_private_segment_buffer 1
		.amdhsa_user_sgpr_dispatch_ptr 0
		.amdhsa_user_sgpr_queue_ptr 0
		.amdhsa_user_sgpr_kernarg_segment_ptr 1
		.amdhsa_user_sgpr_dispatch_id 0
		.amdhsa_user_sgpr_flat_scratch_init 0
		.amdhsa_user_sgpr_private_segment_size 0
		.amdhsa_uses_dynamic_stack 0
		.amdhsa_system_sgpr_private_segment_wavefront_offset 0
		.amdhsa_system_sgpr_workgroup_id_x 1
		.amdhsa_system_sgpr_workgroup_id_y 0
		.amdhsa_system_sgpr_workgroup_id_z 0
		.amdhsa_system_sgpr_workgroup_info 0
		.amdhsa_system_vgpr_workitem_id 0
		.amdhsa_next_free_vgpr 38
		.amdhsa_next_free_sgpr 16
		.amdhsa_reserve_vcc 1
		.amdhsa_reserve_flat_scratch 0
		.amdhsa_float_round_mode_32 0
		.amdhsa_float_round_mode_16_64 0
		.amdhsa_float_denorm_mode_32 3
		.amdhsa_float_denorm_mode_16_64 3
		.amdhsa_dx10_clamp 1
		.amdhsa_ieee_mode 1
		.amdhsa_fp16_overflow 0
		.amdhsa_exception_fp_ieee_invalid_op 0
		.amdhsa_exception_fp_denorm_src 0
		.amdhsa_exception_fp_ieee_div_zero 0
		.amdhsa_exception_fp_ieee_overflow 0
		.amdhsa_exception_fp_ieee_underflow 0
		.amdhsa_exception_fp_ieee_inexact 0
		.amdhsa_exception_int_div_zero 0
	.end_amdhsa_kernel
	.section	.text._ZN9rocsparseL19gebsrmvn_2xn_kernelILj128ELj13ELj16EdEEvi20rocsparse_direction_NS_24const_host_device_scalarIT2_EEPKiS6_PKS3_S8_S4_PS3_21rocsparse_index_base_b,"axG",@progbits,_ZN9rocsparseL19gebsrmvn_2xn_kernelILj128ELj13ELj16EdEEvi20rocsparse_direction_NS_24const_host_device_scalarIT2_EEPKiS6_PKS3_S8_S4_PS3_21rocsparse_index_base_b,comdat
.Lfunc_end133:
	.size	_ZN9rocsparseL19gebsrmvn_2xn_kernelILj128ELj13ELj16EdEEvi20rocsparse_direction_NS_24const_host_device_scalarIT2_EEPKiS6_PKS3_S8_S4_PS3_21rocsparse_index_base_b, .Lfunc_end133-_ZN9rocsparseL19gebsrmvn_2xn_kernelILj128ELj13ELj16EdEEvi20rocsparse_direction_NS_24const_host_device_scalarIT2_EEPKiS6_PKS3_S8_S4_PS3_21rocsparse_index_base_b
                                        ; -- End function
	.set _ZN9rocsparseL19gebsrmvn_2xn_kernelILj128ELj13ELj16EdEEvi20rocsparse_direction_NS_24const_host_device_scalarIT2_EEPKiS6_PKS3_S8_S4_PS3_21rocsparse_index_base_b.num_vgpr, 38
	.set _ZN9rocsparseL19gebsrmvn_2xn_kernelILj128ELj13ELj16EdEEvi20rocsparse_direction_NS_24const_host_device_scalarIT2_EEPKiS6_PKS3_S8_S4_PS3_21rocsparse_index_base_b.num_agpr, 0
	.set _ZN9rocsparseL19gebsrmvn_2xn_kernelILj128ELj13ELj16EdEEvi20rocsparse_direction_NS_24const_host_device_scalarIT2_EEPKiS6_PKS3_S8_S4_PS3_21rocsparse_index_base_b.numbered_sgpr, 16
	.set _ZN9rocsparseL19gebsrmvn_2xn_kernelILj128ELj13ELj16EdEEvi20rocsparse_direction_NS_24const_host_device_scalarIT2_EEPKiS6_PKS3_S8_S4_PS3_21rocsparse_index_base_b.num_named_barrier, 0
	.set _ZN9rocsparseL19gebsrmvn_2xn_kernelILj128ELj13ELj16EdEEvi20rocsparse_direction_NS_24const_host_device_scalarIT2_EEPKiS6_PKS3_S8_S4_PS3_21rocsparse_index_base_b.private_seg_size, 0
	.set _ZN9rocsparseL19gebsrmvn_2xn_kernelILj128ELj13ELj16EdEEvi20rocsparse_direction_NS_24const_host_device_scalarIT2_EEPKiS6_PKS3_S8_S4_PS3_21rocsparse_index_base_b.uses_vcc, 1
	.set _ZN9rocsparseL19gebsrmvn_2xn_kernelILj128ELj13ELj16EdEEvi20rocsparse_direction_NS_24const_host_device_scalarIT2_EEPKiS6_PKS3_S8_S4_PS3_21rocsparse_index_base_b.uses_flat_scratch, 0
	.set _ZN9rocsparseL19gebsrmvn_2xn_kernelILj128ELj13ELj16EdEEvi20rocsparse_direction_NS_24const_host_device_scalarIT2_EEPKiS6_PKS3_S8_S4_PS3_21rocsparse_index_base_b.has_dyn_sized_stack, 0
	.set _ZN9rocsparseL19gebsrmvn_2xn_kernelILj128ELj13ELj16EdEEvi20rocsparse_direction_NS_24const_host_device_scalarIT2_EEPKiS6_PKS3_S8_S4_PS3_21rocsparse_index_base_b.has_recursion, 0
	.set _ZN9rocsparseL19gebsrmvn_2xn_kernelILj128ELj13ELj16EdEEvi20rocsparse_direction_NS_24const_host_device_scalarIT2_EEPKiS6_PKS3_S8_S4_PS3_21rocsparse_index_base_b.has_indirect_call, 0
	.section	.AMDGPU.csdata,"",@progbits
; Kernel info:
; codeLenInByte = 3300
; TotalNumSgprs: 20
; NumVgprs: 38
; ScratchSize: 0
; MemoryBound: 0
; FloatMode: 240
; IeeeMode: 1
; LDSByteSize: 0 bytes/workgroup (compile time only)
; SGPRBlocks: 2
; VGPRBlocks: 9
; NumSGPRsForWavesPerEU: 20
; NumVGPRsForWavesPerEU: 38
; Occupancy: 6
; WaveLimiterHint : 1
; COMPUTE_PGM_RSRC2:SCRATCH_EN: 0
; COMPUTE_PGM_RSRC2:USER_SGPR: 6
; COMPUTE_PGM_RSRC2:TRAP_HANDLER: 0
; COMPUTE_PGM_RSRC2:TGID_X_EN: 1
; COMPUTE_PGM_RSRC2:TGID_Y_EN: 0
; COMPUTE_PGM_RSRC2:TGID_Z_EN: 0
; COMPUTE_PGM_RSRC2:TIDIG_COMP_CNT: 0
	.section	.text._ZN9rocsparseL19gebsrmvn_2xn_kernelILj128ELj13ELj32EdEEvi20rocsparse_direction_NS_24const_host_device_scalarIT2_EEPKiS6_PKS3_S8_S4_PS3_21rocsparse_index_base_b,"axG",@progbits,_ZN9rocsparseL19gebsrmvn_2xn_kernelILj128ELj13ELj32EdEEvi20rocsparse_direction_NS_24const_host_device_scalarIT2_EEPKiS6_PKS3_S8_S4_PS3_21rocsparse_index_base_b,comdat
	.globl	_ZN9rocsparseL19gebsrmvn_2xn_kernelILj128ELj13ELj32EdEEvi20rocsparse_direction_NS_24const_host_device_scalarIT2_EEPKiS6_PKS3_S8_S4_PS3_21rocsparse_index_base_b ; -- Begin function _ZN9rocsparseL19gebsrmvn_2xn_kernelILj128ELj13ELj32EdEEvi20rocsparse_direction_NS_24const_host_device_scalarIT2_EEPKiS6_PKS3_S8_S4_PS3_21rocsparse_index_base_b
	.p2align	8
	.type	_ZN9rocsparseL19gebsrmvn_2xn_kernelILj128ELj13ELj32EdEEvi20rocsparse_direction_NS_24const_host_device_scalarIT2_EEPKiS6_PKS3_S8_S4_PS3_21rocsparse_index_base_b,@function
_ZN9rocsparseL19gebsrmvn_2xn_kernelILj128ELj13ELj32EdEEvi20rocsparse_direction_NS_24const_host_device_scalarIT2_EEPKiS6_PKS3_S8_S4_PS3_21rocsparse_index_base_b: ; @_ZN9rocsparseL19gebsrmvn_2xn_kernelILj128ELj13ELj32EdEEvi20rocsparse_direction_NS_24const_host_device_scalarIT2_EEPKiS6_PKS3_S8_S4_PS3_21rocsparse_index_base_b
; %bb.0:
	s_load_dwordx2 s[2:3], s[4:5], 0x40
	s_load_dwordx2 s[10:11], s[4:5], 0x8
	;; [unrolled: 1-line block ×3, first 2 shown]
	s_waitcnt lgkmcnt(0)
	s_bitcmp1_b32 s3, 0
	s_cselect_b64 s[12:13], -1, 0
	v_mov_b32_e32 v1, s10
	s_xor_b64 s[8:9], s[12:13], -1
	s_and_b64 vcc, exec, s[12:13]
	v_mov_b32_e32 v2, s11
	s_cbranch_vccnz .LBB134_2
; %bb.1:
	v_mov_b32_e32 v1, s10
	v_mov_b32_e32 v2, s11
	flat_load_dwordx2 v[1:2], v[1:2]
.LBB134_2:
	v_mov_b32_e32 v4, s1
	s_andn2_b64 vcc, exec, s[8:9]
	v_mov_b32_e32 v3, s0
	s_cbranch_vccnz .LBB134_4
; %bb.3:
	v_mov_b32_e32 v4, s1
	v_mov_b32_e32 v3, s0
	flat_load_dwordx2 v[3:4], v[3:4]
.LBB134_4:
	s_waitcnt vmcnt(0) lgkmcnt(0)
	v_cmp_neq_f64_e32 vcc, 0, v[1:2]
	v_cmp_neq_f64_e64 s[0:1], 1.0, v[3:4]
	s_or_b64 s[0:1], vcc, s[0:1]
	s_and_saveexec_b64 s[8:9], s[0:1]
	s_cbranch_execz .LBB134_23
; %bb.5:
	s_load_dwordx2 s[0:1], s[4:5], 0x0
	v_lshrrev_b32_e32 v5, 5, v0
	v_lshl_or_b32 v5, s6, 2, v5
	s_waitcnt lgkmcnt(0)
	v_cmp_gt_i32_e32 vcc, s0, v5
	s_and_b64 exec, exec, vcc
	s_cbranch_execz .LBB134_23
; %bb.6:
	s_load_dwordx8 s[8:15], s[4:5], 0x10
	v_ashrrev_i32_e32 v6, 31, v5
	v_lshlrev_b64 v[6:7], 2, v[5:6]
	v_and_b32_e32 v0, 31, v0
	s_cmp_lg_u32 s1, 0
	s_waitcnt lgkmcnt(0)
	v_mov_b32_e32 v8, s9
	v_add_co_u32_e32 v6, vcc, s8, v6
	v_addc_co_u32_e32 v7, vcc, v8, v7, vcc
	global_load_dwordx2 v[6:7], v[6:7], off
	s_waitcnt vmcnt(0)
	v_subrev_u32_e32 v6, s2, v6
	v_subrev_u32_e32 v18, s2, v7
	v_add_u32_e32 v6, v6, v0
	v_cmp_lt_i32_e64 s[0:1], v6, v18
	s_cbranch_scc0 .LBB134_12
; %bb.7:
	v_mov_b32_e32 v8, 0
	v_mov_b32_e32 v10, 0
	;; [unrolled: 1-line block ×4, first 2 shown]
	s_and_saveexec_b64 s[6:7], s[0:1]
	s_cbranch_execz .LBB134_11
; %bb.8:
	v_mad_u64_u32 v[12:13], s[8:9], v6, 26, 24
	v_mov_b32_e32 v8, 0
	v_mov_b32_e32 v10, 0
	;; [unrolled: 1-line block ×3, first 2 shown]
	s_mov_b64 s[8:9], 0
	v_mov_b32_e32 v7, s11
	v_mov_b32_e32 v15, 0
	;; [unrolled: 1-line block ×6, first 2 shown]
.LBB134_9:                              ; =>This Inner Loop Header: Depth=1
	v_ashrrev_i32_e32 v17, 31, v16
	v_lshlrev_b64 v[21:22], 2, v[16:17]
	v_subrev_u32_e32 v14, 24, v12
	v_lshlrev_b64 v[23:24], 3, v[14:15]
	v_add_co_u32_e32 v27, vcc, s10, v21
	v_addc_co_u32_e32 v28, vcc, v7, v22, vcc
	v_add_co_u32_e32 v31, vcc, s12, v23
	v_addc_co_u32_e32 v32, vcc, v19, v24, vcc
	global_load_dword v17, v[27:28], off
	global_load_dwordx4 v[21:24], v[31:32], off
	v_mov_b32_e32 v13, v15
	v_lshlrev_b64 v[25:26], 3, v[12:13]
	v_subrev_u32_e32 v14, 22, v12
	v_lshlrev_b64 v[13:14], 3, v[14:15]
	v_add_co_u32_e32 v33, vcc, s12, v25
	v_mov_b32_e32 v30, v15
	v_addc_co_u32_e32 v34, vcc, v19, v26, vcc
	v_add_co_u32_e32 v13, vcc, s12, v13
	v_addc_co_u32_e32 v14, vcc, v19, v14, vcc
	v_add_u32_e32 v16, 32, v16
	s_waitcnt vmcnt(1)
	v_subrev_u32_e32 v17, s2, v17
	v_mul_lo_u32 v29, v17, 13
	v_lshlrev_b64 v[25:26], 3, v[29:30]
	v_add_co_u32_e32 v30, vcc, s14, v25
	v_addc_co_u32_e32 v31, vcc, v20, v26, vcc
	global_load_dwordx4 v[25:28], v[33:34], off
	global_load_dwordx2 v[35:36], v[30:31], off
	s_waitcnt vmcnt(0)
	v_fma_f64 v[21:22], v[21:22], v[35:36], v[8:9]
	v_fma_f64 v[23:24], v[23:24], v[35:36], v[10:11]
	global_load_dwordx4 v[8:11], v[13:14], off
	v_add_u32_e32 v14, 1, v29
	v_lshlrev_b64 v[30:31], 3, v[14:15]
	v_subrev_u32_e32 v14, 20, v12
	v_add_co_u32_e32 v30, vcc, s14, v30
	v_addc_co_u32_e32 v31, vcc, v20, v31, vcc
	global_load_dwordx2 v[30:31], v[30:31], off
	v_lshlrev_b64 v[32:33], 3, v[14:15]
	v_add_u32_e32 v14, 2, v29
	s_waitcnt vmcnt(0)
	v_fma_f64 v[21:22], v[8:9], v[30:31], v[21:22]
	v_fma_f64 v[23:24], v[10:11], v[30:31], v[23:24]
	v_lshlrev_b64 v[8:9], 3, v[14:15]
	v_add_co_u32_e32 v30, vcc, s12, v32
	v_addc_co_u32_e32 v31, vcc, v19, v33, vcc
	v_add_co_u32_e32 v34, vcc, s14, v8
	v_addc_co_u32_e32 v35, vcc, v20, v9, vcc
	global_load_dwordx4 v[8:11], v[30:31], off
	global_load_dwordx2 v[36:37], v[34:35], off
	v_subrev_u32_e32 v14, 18, v12
	v_lshlrev_b64 v[32:33], 3, v[14:15]
	v_add_u32_e32 v14, 3, v29
	v_add_co_u32_e32 v30, vcc, s12, v32
	v_addc_co_u32_e32 v31, vcc, v19, v33, vcc
	s_waitcnt vmcnt(0)
	v_fma_f64 v[21:22], v[8:9], v[36:37], v[21:22]
	v_lshlrev_b64 v[8:9], 3, v[14:15]
	v_fma_f64 v[23:24], v[10:11], v[36:37], v[23:24]
	v_add_co_u32_e32 v34, vcc, s14, v8
	v_addc_co_u32_e32 v35, vcc, v20, v9, vcc
	global_load_dwordx4 v[8:11], v[30:31], off
	global_load_dwordx2 v[36:37], v[34:35], off
	v_add_u32_e32 v14, -16, v12
	v_lshlrev_b64 v[32:33], 3, v[14:15]
	v_add_u32_e32 v14, 4, v29
	v_add_co_u32_e32 v30, vcc, s12, v32
	v_addc_co_u32_e32 v31, vcc, v19, v33, vcc
	s_waitcnt vmcnt(0)
	v_fma_f64 v[21:22], v[8:9], v[36:37], v[21:22]
	v_lshlrev_b64 v[8:9], 3, v[14:15]
	v_fma_f64 v[23:24], v[10:11], v[36:37], v[23:24]
	v_add_co_u32_e32 v34, vcc, s14, v8
	v_addc_co_u32_e32 v35, vcc, v20, v9, vcc
	global_load_dwordx4 v[8:11], v[30:31], off
	global_load_dwordx2 v[36:37], v[34:35], off
	v_add_u32_e32 v14, -14, v12
	;; [unrolled: 13-line block ×8, first 2 shown]
	v_lshlrev_b64 v[32:33], 3, v[14:15]
	v_add_u32_e32 v14, 11, v29
	v_add_co_u32_e32 v13, vcc, s12, v32
	v_add_u32_e32 v12, 0x340, v12
	s_waitcnt vmcnt(0)
	v_fma_f64 v[21:22], v[8:9], v[36:37], v[21:22]
	v_lshlrev_b64 v[8:9], 3, v[14:15]
	v_addc_co_u32_e32 v14, vcc, v19, v33, vcc
	v_add_co_u32_e32 v30, vcc, s14, v8
	v_fma_f64 v[23:24], v[10:11], v[36:37], v[23:24]
	v_addc_co_u32_e32 v31, vcc, v20, v9, vcc
	global_load_dwordx4 v[8:11], v[13:14], off
	global_load_dwordx2 v[32:33], v[30:31], off
	v_add_u32_e32 v14, 12, v29
	v_lshlrev_b64 v[13:14], 3, v[14:15]
	v_add_co_u32_e32 v13, vcc, s14, v13
	v_addc_co_u32_e32 v14, vcc, v20, v14, vcc
	global_load_dwordx2 v[13:14], v[13:14], off
	v_cmp_ge_i32_e32 vcc, v16, v18
	s_or_b64 s[8:9], vcc, s[8:9]
	s_waitcnt vmcnt(1)
	v_fma_f64 v[8:9], v[8:9], v[32:33], v[21:22]
	v_fma_f64 v[10:11], v[10:11], v[32:33], v[23:24]
	s_waitcnt vmcnt(0)
	v_fma_f64 v[8:9], v[25:26], v[13:14], v[8:9]
	v_fma_f64 v[10:11], v[27:28], v[13:14], v[10:11]
	s_andn2_b64 exec, exec, s[8:9]
	s_cbranch_execnz .LBB134_9
; %bb.10:
	s_or_b64 exec, exec, s[8:9]
.LBB134_11:
	s_or_b64 exec, exec, s[6:7]
	s_cbranch_execz .LBB134_13
	s_branch .LBB134_18
.LBB134_12:
                                        ; implicit-def: $vgpr8_vgpr9
                                        ; implicit-def: $vgpr10_vgpr11
.LBB134_13:
	v_mov_b32_e32 v8, 0
	v_mov_b32_e32 v10, 0
	;; [unrolled: 1-line block ×4, first 2 shown]
	s_and_saveexec_b64 s[6:7], s[0:1]
	s_cbranch_execz .LBB134_17
; %bb.14:
	v_mad_u64_u32 v[12:13], s[0:1], v6, 26, 25
	v_mov_b32_e32 v8, 0
	v_mov_b32_e32 v10, 0
	;; [unrolled: 1-line block ×3, first 2 shown]
	s_mov_b64 s[0:1], 0
	v_mov_b32_e32 v16, s11
	v_mov_b32_e32 v15, 0
	;; [unrolled: 1-line block ×5, first 2 shown]
.LBB134_15:                             ; =>This Inner Loop Header: Depth=1
	v_ashrrev_i32_e32 v7, 31, v6
	v_lshlrev_b64 v[22:23], 2, v[6:7]
	v_subrev_u32_e32 v14, 25, v12
	v_add_co_u32_e32 v22, vcc, s10, v22
	v_addc_co_u32_e32 v23, vcc, v16, v23, vcc
	global_load_dword v7, v[22:23], off
	v_lshlrev_b64 v[24:25], 3, v[14:15]
	v_add_u32_e32 v20, -12, v12
	v_mov_b32_e32 v21, v15
	v_lshlrev_b64 v[20:21], 3, v[20:21]
	v_add_co_u32_e32 v24, vcc, s12, v24
	v_mov_b32_e32 v13, v15
	v_addc_co_u32_e32 v25, vcc, v17, v25, vcc
	v_lshlrev_b64 v[13:14], 3, v[12:13]
	v_add_co_u32_e32 v20, vcc, s12, v20
	v_addc_co_u32_e32 v21, vcc, v17, v21, vcc
	v_add_co_u32_e32 v26, vcc, s12, v13
	v_addc_co_u32_e32 v27, vcc, v17, v14, vcc
	v_mov_b32_e32 v14, v15
	v_add_u32_e32 v6, 32, v6
	s_waitcnt vmcnt(0)
	v_subrev_u32_e32 v7, s2, v7
	v_mul_lo_u32 v13, v7, 13
	v_lshlrev_b64 v[22:23], 3, v[13:14]
	v_add_u32_e32 v14, 1, v13
	v_add_co_u32_e32 v22, vcc, s14, v22
	v_addc_co_u32_e32 v23, vcc, v19, v23, vcc
	global_load_dwordx2 v[30:31], v[20:21], off
	global_load_dwordx2 v[32:33], v[22:23], off
	v_lshlrev_b64 v[28:29], 3, v[14:15]
	global_load_dwordx4 v[20:23], v[24:25], off
	v_add_co_u32_e32 v28, vcc, s14, v28
	v_addc_co_u32_e32 v29, vcc, v19, v29, vcc
	v_add_u32_e32 v14, -11, v12
	s_waitcnt vmcnt(1)
	v_fma_f64 v[10:11], v[30:31], v[32:33], v[10:11]
	s_waitcnt vmcnt(0)
	v_fma_f64 v[7:8], v[20:21], v[32:33], v[8:9]
	global_load_dwordx2 v[20:21], v[28:29], off
	s_waitcnt vmcnt(0)
	v_fma_f64 v[7:8], v[22:23], v[20:21], v[7:8]
	v_lshlrev_b64 v[22:23], 3, v[14:15]
	v_subrev_u32_e32 v14, 23, v12
	v_add_co_u32_e32 v22, vcc, s12, v22
	v_lshlrev_b64 v[24:25], 3, v[14:15]
	v_addc_co_u32_e32 v23, vcc, v17, v23, vcc
	v_add_co_u32_e32 v24, vcc, s12, v24
	v_addc_co_u32_e32 v25, vcc, v17, v25, vcc
	global_load_dwordx2 v[28:29], v[22:23], off
	global_load_dwordx2 v[30:31], v[24:25], off
	v_add_u32_e32 v14, 2, v13
	s_waitcnt vmcnt(1)
	v_fma_f64 v[9:10], v[28:29], v[20:21], v[10:11]
	v_lshlrev_b64 v[20:21], 3, v[14:15]
	v_add_u32_e32 v14, -10, v12
	v_add_co_u32_e32 v20, vcc, s14, v20
	v_addc_co_u32_e32 v21, vcc, v19, v21, vcc
	global_load_dwordx2 v[20:21], v[20:21], off
	v_lshlrev_b64 v[22:23], 3, v[14:15]
	v_subrev_u32_e32 v14, 22, v12
	v_add_co_u32_e32 v22, vcc, s12, v22
	v_lshlrev_b64 v[24:25], 3, v[14:15]
	v_addc_co_u32_e32 v23, vcc, v17, v23, vcc
	v_add_co_u32_e32 v24, vcc, s12, v24
	v_addc_co_u32_e32 v25, vcc, v17, v25, vcc
	v_add_u32_e32 v14, 3, v13
	s_waitcnt vmcnt(0)
	v_fma_f64 v[7:8], v[30:31], v[20:21], v[7:8]
	global_load_dwordx2 v[28:29], v[22:23], off
	global_load_dwordx2 v[30:31], v[24:25], off
	s_waitcnt vmcnt(1)
	v_fma_f64 v[9:10], v[28:29], v[20:21], v[9:10]
	v_lshlrev_b64 v[20:21], 3, v[14:15]
	v_add_u32_e32 v14, -9, v12
	v_add_co_u32_e32 v20, vcc, s14, v20
	v_addc_co_u32_e32 v21, vcc, v19, v21, vcc
	global_load_dwordx2 v[20:21], v[20:21], off
	v_lshlrev_b64 v[22:23], 3, v[14:15]
	v_subrev_u32_e32 v14, 21, v12
	v_add_co_u32_e32 v22, vcc, s12, v22
	v_lshlrev_b64 v[24:25], 3, v[14:15]
	v_addc_co_u32_e32 v23, vcc, v17, v23, vcc
	v_add_co_u32_e32 v24, vcc, s12, v24
	v_addc_co_u32_e32 v25, vcc, v17, v25, vcc
	v_add_u32_e32 v14, 4, v13
	s_waitcnt vmcnt(0)
	v_fma_f64 v[7:8], v[30:31], v[20:21], v[7:8]
	global_load_dwordx2 v[28:29], v[22:23], off
	global_load_dwordx2 v[30:31], v[24:25], off
	;; [unrolled: 19-line block ×6, first 2 shown]
	s_waitcnt vmcnt(1)
	v_fma_f64 v[9:10], v[28:29], v[20:21], v[9:10]
	v_lshlrev_b64 v[20:21], 3, v[14:15]
	v_add_u32_e32 v14, -4, v12
	v_add_co_u32_e32 v20, vcc, s14, v20
	v_addc_co_u32_e32 v21, vcc, v19, v21, vcc
	global_load_dwordx2 v[20:21], v[20:21], off
	v_lshlrev_b64 v[22:23], 3, v[14:15]
	v_add_u32_e32 v14, -16, v12
	v_add_co_u32_e32 v22, vcc, s12, v22
	v_lshlrev_b64 v[24:25], 3, v[14:15]
	v_addc_co_u32_e32 v23, vcc, v17, v23, vcc
	v_add_co_u32_e32 v24, vcc, s12, v24
	v_addc_co_u32_e32 v25, vcc, v17, v25, vcc
	v_add_u32_e32 v14, 9, v13
	s_waitcnt vmcnt(0)
	v_fma_f64 v[7:8], v[30:31], v[20:21], v[7:8]
	global_load_dwordx2 v[28:29], v[22:23], off
	global_load_dwordx2 v[30:31], v[24:25], off
	s_waitcnt vmcnt(1)
	v_fma_f64 v[9:10], v[28:29], v[20:21], v[9:10]
	v_lshlrev_b64 v[20:21], 3, v[14:15]
	v_add_u32_e32 v14, -3, v12
	v_add_co_u32_e32 v20, vcc, s14, v20
	v_addc_co_u32_e32 v21, vcc, v19, v21, vcc
	global_load_dwordx2 v[20:21], v[20:21], off
	v_lshlrev_b64 v[22:23], 3, v[14:15]
	v_add_u32_e32 v14, -15, v12
	v_add_co_u32_e32 v22, vcc, s12, v22
	v_lshlrev_b64 v[24:25], 3, v[14:15]
	v_addc_co_u32_e32 v23, vcc, v17, v23, vcc
	v_add_co_u32_e32 v24, vcc, s12, v24
	v_addc_co_u32_e32 v25, vcc, v17, v25, vcc
	v_add_u32_e32 v14, 10, v13
	s_waitcnt vmcnt(0)
	v_fma_f64 v[7:8], v[30:31], v[20:21], v[7:8]
	global_load_dwordx2 v[28:29], v[22:23], off
	global_load_dwordx2 v[30:31], v[24:25], off
	s_waitcnt vmcnt(1)
	v_fma_f64 v[9:10], v[28:29], v[20:21], v[9:10]
	v_lshlrev_b64 v[20:21], 3, v[14:15]
	v_add_u32_e32 v14, -2, v12
	v_add_co_u32_e32 v20, vcc, s14, v20
	v_addc_co_u32_e32 v21, vcc, v19, v21, vcc
	global_load_dwordx2 v[20:21], v[20:21], off
	v_lshlrev_b64 v[22:23], 3, v[14:15]
	v_add_u32_e32 v14, -14, v12
	v_add_co_u32_e32 v22, vcc, s12, v22
	v_lshlrev_b64 v[24:25], 3, v[14:15]
	v_addc_co_u32_e32 v23, vcc, v17, v23, vcc
	v_add_co_u32_e32 v24, vcc, s12, v24
	v_addc_co_u32_e32 v25, vcc, v17, v25, vcc
	v_add_u32_e32 v14, 11, v13
	s_waitcnt vmcnt(0)
	v_fma_f64 v[7:8], v[30:31], v[20:21], v[7:8]
	global_load_dwordx2 v[28:29], v[22:23], off
	global_load_dwordx2 v[30:31], v[24:25], off
	s_waitcnt vmcnt(1)
	v_fma_f64 v[9:10], v[28:29], v[20:21], v[9:10]
	v_lshlrev_b64 v[20:21], 3, v[14:15]
	v_add_u32_e32 v14, -1, v12
	v_add_co_u32_e32 v20, vcc, s14, v20
	v_addc_co_u32_e32 v21, vcc, v19, v21, vcc
	global_load_dwordx2 v[20:21], v[20:21], off
	v_lshlrev_b64 v[22:23], 3, v[14:15]
	v_add_u32_e32 v14, -13, v12
	v_lshlrev_b64 v[24:25], 3, v[14:15]
	v_add_co_u32_e32 v22, vcc, s12, v22
	v_add_u32_e32 v14, 12, v13
	v_addc_co_u32_e32 v23, vcc, v17, v23, vcc
	v_add_co_u32_e32 v24, vcc, s12, v24
	v_lshlrev_b64 v[13:14], 3, v[14:15]
	v_addc_co_u32_e32 v25, vcc, v17, v25, vcc
	v_add_co_u32_e32 v13, vcc, s14, v13
	v_addc_co_u32_e32 v14, vcc, v19, v14, vcc
	v_cmp_ge_i32_e32 vcc, v6, v18
	s_or_b64 s[0:1], vcc, s[0:1]
	v_add_u32_e32 v12, 0x340, v12
	s_waitcnt vmcnt(0)
	v_fma_f64 v[7:8], v[30:31], v[20:21], v[7:8]
	global_load_dwordx2 v[28:29], v[22:23], off
	global_load_dwordx2 v[30:31], v[26:27], off
	;; [unrolled: 1-line block ×4, first 2 shown]
	s_waitcnt vmcnt(3)
	v_fma_f64 v[10:11], v[28:29], v[20:21], v[9:10]
	s_waitcnt vmcnt(0)
	v_fma_f64 v[8:9], v[32:33], v[34:35], v[7:8]
	v_fma_f64 v[10:11], v[30:31], v[34:35], v[10:11]
	s_andn2_b64 exec, exec, s[0:1]
	s_cbranch_execnz .LBB134_15
; %bb.16:
	s_or_b64 exec, exec, s[0:1]
.LBB134_17:
	s_or_b64 exec, exec, s[6:7]
.LBB134_18:
	v_mov_b32_dpp v6, v8 row_shr:1 row_mask:0xf bank_mask:0xf
	v_mov_b32_dpp v7, v9 row_shr:1 row_mask:0xf bank_mask:0xf
	v_add_f64 v[6:7], v[8:9], v[6:7]
	v_mov_b32_dpp v8, v10 row_shr:1 row_mask:0xf bank_mask:0xf
	v_mov_b32_dpp v9, v11 row_shr:1 row_mask:0xf bank_mask:0xf
	v_add_f64 v[8:9], v[10:11], v[8:9]
	v_cmp_eq_u32_e32 vcc, 31, v0
	v_mov_b32_dpp v10, v6 row_shr:2 row_mask:0xf bank_mask:0xf
	v_mov_b32_dpp v11, v7 row_shr:2 row_mask:0xf bank_mask:0xf
	v_add_f64 v[6:7], v[6:7], v[10:11]
	v_mov_b32_dpp v12, v8 row_shr:2 row_mask:0xf bank_mask:0xf
	v_mov_b32_dpp v13, v9 row_shr:2 row_mask:0xf bank_mask:0xf
	v_add_f64 v[8:9], v[8:9], v[12:13]
	;; [unrolled: 3-line block ×6, first 2 shown]
	v_mov_b32_dpp v8, v6 row_bcast:15 row_mask:0xa bank_mask:0xf
	v_mov_b32_dpp v9, v7 row_bcast:15 row_mask:0xa bank_mask:0xf
	;; [unrolled: 1-line block ×4, first 2 shown]
	s_and_b64 exec, exec, vcc
	s_cbranch_execz .LBB134_23
; %bb.19:
	v_add_f64 v[8:9], v[6:7], v[8:9]
	v_add_f64 v[6:7], v[10:11], v[12:13]
	v_cmp_eq_f64_e32 vcc, 0, v[3:4]
	s_load_dwordx2 s[0:1], s[4:5], 0x38
	s_and_saveexec_b64 s[2:3], vcc
	s_xor_b64 s[2:3], exec, s[2:3]
	s_cbranch_execz .LBB134_21
; %bb.20:
	v_mul_f64 v[3:4], v[1:2], v[8:9]
	v_lshlrev_b32_e32 v0, 1, v5
	v_mul_f64 v[5:6], v[1:2], v[6:7]
	v_ashrrev_i32_e32 v1, 31, v0
	v_lshlrev_b64 v[0:1], 3, v[0:1]
	s_waitcnt lgkmcnt(0)
	v_mov_b32_e32 v2, s1
	v_add_co_u32_e32 v0, vcc, s0, v0
	v_addc_co_u32_e32 v1, vcc, v2, v1, vcc
	global_store_dwordx4 v[0:1], v[3:6], off
                                        ; implicit-def: $vgpr5
                                        ; implicit-def: $vgpr1_vgpr2
                                        ; implicit-def: $vgpr8_vgpr9
                                        ; implicit-def: $vgpr3_vgpr4
                                        ; implicit-def: $vgpr6_vgpr7
.LBB134_21:
	s_andn2_saveexec_b64 s[2:3], s[2:3]
	s_cbranch_execz .LBB134_23
; %bb.22:
	v_lshlrev_b32_e32 v10, 1, v5
	v_ashrrev_i32_e32 v11, 31, v10
	v_lshlrev_b64 v[10:11], 3, v[10:11]
	s_waitcnt lgkmcnt(0)
	v_mov_b32_e32 v0, s1
	v_add_co_u32_e32 v14, vcc, s0, v10
	v_addc_co_u32_e32 v15, vcc, v0, v11, vcc
	global_load_dwordx4 v[10:13], v[14:15], off
	v_mul_f64 v[8:9], v[1:2], v[8:9]
	v_mul_f64 v[5:6], v[1:2], v[6:7]
	s_waitcnt vmcnt(0)
	v_fma_f64 v[0:1], v[3:4], v[10:11], v[8:9]
	v_fma_f64 v[2:3], v[3:4], v[12:13], v[5:6]
	global_store_dwordx4 v[14:15], v[0:3], off
.LBB134_23:
	s_endpgm
	.section	.rodata,"a",@progbits
	.p2align	6, 0x0
	.amdhsa_kernel _ZN9rocsparseL19gebsrmvn_2xn_kernelILj128ELj13ELj32EdEEvi20rocsparse_direction_NS_24const_host_device_scalarIT2_EEPKiS6_PKS3_S8_S4_PS3_21rocsparse_index_base_b
		.amdhsa_group_segment_fixed_size 0
		.amdhsa_private_segment_fixed_size 0
		.amdhsa_kernarg_size 72
		.amdhsa_user_sgpr_count 6
		.amdhsa_user_sgpr_private_segment_buffer 1
		.amdhsa_user_sgpr_dispatch_ptr 0
		.amdhsa_user_sgpr_queue_ptr 0
		.amdhsa_user_sgpr_kernarg_segment_ptr 1
		.amdhsa_user_sgpr_dispatch_id 0
		.amdhsa_user_sgpr_flat_scratch_init 0
		.amdhsa_user_sgpr_private_segment_size 0
		.amdhsa_uses_dynamic_stack 0
		.amdhsa_system_sgpr_private_segment_wavefront_offset 0
		.amdhsa_system_sgpr_workgroup_id_x 1
		.amdhsa_system_sgpr_workgroup_id_y 0
		.amdhsa_system_sgpr_workgroup_id_z 0
		.amdhsa_system_sgpr_workgroup_info 0
		.amdhsa_system_vgpr_workitem_id 0
		.amdhsa_next_free_vgpr 38
		.amdhsa_next_free_sgpr 16
		.amdhsa_reserve_vcc 1
		.amdhsa_reserve_flat_scratch 0
		.amdhsa_float_round_mode_32 0
		.amdhsa_float_round_mode_16_64 0
		.amdhsa_float_denorm_mode_32 3
		.amdhsa_float_denorm_mode_16_64 3
		.amdhsa_dx10_clamp 1
		.amdhsa_ieee_mode 1
		.amdhsa_fp16_overflow 0
		.amdhsa_exception_fp_ieee_invalid_op 0
		.amdhsa_exception_fp_denorm_src 0
		.amdhsa_exception_fp_ieee_div_zero 0
		.amdhsa_exception_fp_ieee_overflow 0
		.amdhsa_exception_fp_ieee_underflow 0
		.amdhsa_exception_fp_ieee_inexact 0
		.amdhsa_exception_int_div_zero 0
	.end_amdhsa_kernel
	.section	.text._ZN9rocsparseL19gebsrmvn_2xn_kernelILj128ELj13ELj32EdEEvi20rocsparse_direction_NS_24const_host_device_scalarIT2_EEPKiS6_PKS3_S8_S4_PS3_21rocsparse_index_base_b,"axG",@progbits,_ZN9rocsparseL19gebsrmvn_2xn_kernelILj128ELj13ELj32EdEEvi20rocsparse_direction_NS_24const_host_device_scalarIT2_EEPKiS6_PKS3_S8_S4_PS3_21rocsparse_index_base_b,comdat
.Lfunc_end134:
	.size	_ZN9rocsparseL19gebsrmvn_2xn_kernelILj128ELj13ELj32EdEEvi20rocsparse_direction_NS_24const_host_device_scalarIT2_EEPKiS6_PKS3_S8_S4_PS3_21rocsparse_index_base_b, .Lfunc_end134-_ZN9rocsparseL19gebsrmvn_2xn_kernelILj128ELj13ELj32EdEEvi20rocsparse_direction_NS_24const_host_device_scalarIT2_EEPKiS6_PKS3_S8_S4_PS3_21rocsparse_index_base_b
                                        ; -- End function
	.set _ZN9rocsparseL19gebsrmvn_2xn_kernelILj128ELj13ELj32EdEEvi20rocsparse_direction_NS_24const_host_device_scalarIT2_EEPKiS6_PKS3_S8_S4_PS3_21rocsparse_index_base_b.num_vgpr, 38
	.set _ZN9rocsparseL19gebsrmvn_2xn_kernelILj128ELj13ELj32EdEEvi20rocsparse_direction_NS_24const_host_device_scalarIT2_EEPKiS6_PKS3_S8_S4_PS3_21rocsparse_index_base_b.num_agpr, 0
	.set _ZN9rocsparseL19gebsrmvn_2xn_kernelILj128ELj13ELj32EdEEvi20rocsparse_direction_NS_24const_host_device_scalarIT2_EEPKiS6_PKS3_S8_S4_PS3_21rocsparse_index_base_b.numbered_sgpr, 16
	.set _ZN9rocsparseL19gebsrmvn_2xn_kernelILj128ELj13ELj32EdEEvi20rocsparse_direction_NS_24const_host_device_scalarIT2_EEPKiS6_PKS3_S8_S4_PS3_21rocsparse_index_base_b.num_named_barrier, 0
	.set _ZN9rocsparseL19gebsrmvn_2xn_kernelILj128ELj13ELj32EdEEvi20rocsparse_direction_NS_24const_host_device_scalarIT2_EEPKiS6_PKS3_S8_S4_PS3_21rocsparse_index_base_b.private_seg_size, 0
	.set _ZN9rocsparseL19gebsrmvn_2xn_kernelILj128ELj13ELj32EdEEvi20rocsparse_direction_NS_24const_host_device_scalarIT2_EEPKiS6_PKS3_S8_S4_PS3_21rocsparse_index_base_b.uses_vcc, 1
	.set _ZN9rocsparseL19gebsrmvn_2xn_kernelILj128ELj13ELj32EdEEvi20rocsparse_direction_NS_24const_host_device_scalarIT2_EEPKiS6_PKS3_S8_S4_PS3_21rocsparse_index_base_b.uses_flat_scratch, 0
	.set _ZN9rocsparseL19gebsrmvn_2xn_kernelILj128ELj13ELj32EdEEvi20rocsparse_direction_NS_24const_host_device_scalarIT2_EEPKiS6_PKS3_S8_S4_PS3_21rocsparse_index_base_b.has_dyn_sized_stack, 0
	.set _ZN9rocsparseL19gebsrmvn_2xn_kernelILj128ELj13ELj32EdEEvi20rocsparse_direction_NS_24const_host_device_scalarIT2_EEPKiS6_PKS3_S8_S4_PS3_21rocsparse_index_base_b.has_recursion, 0
	.set _ZN9rocsparseL19gebsrmvn_2xn_kernelILj128ELj13ELj32EdEEvi20rocsparse_direction_NS_24const_host_device_scalarIT2_EEPKiS6_PKS3_S8_S4_PS3_21rocsparse_index_base_b.has_indirect_call, 0
	.section	.AMDGPU.csdata,"",@progbits
; Kernel info:
; codeLenInByte = 3348
; TotalNumSgprs: 20
; NumVgprs: 38
; ScratchSize: 0
; MemoryBound: 0
; FloatMode: 240
; IeeeMode: 1
; LDSByteSize: 0 bytes/workgroup (compile time only)
; SGPRBlocks: 2
; VGPRBlocks: 9
; NumSGPRsForWavesPerEU: 20
; NumVGPRsForWavesPerEU: 38
; Occupancy: 6
; WaveLimiterHint : 1
; COMPUTE_PGM_RSRC2:SCRATCH_EN: 0
; COMPUTE_PGM_RSRC2:USER_SGPR: 6
; COMPUTE_PGM_RSRC2:TRAP_HANDLER: 0
; COMPUTE_PGM_RSRC2:TGID_X_EN: 1
; COMPUTE_PGM_RSRC2:TGID_Y_EN: 0
; COMPUTE_PGM_RSRC2:TGID_Z_EN: 0
; COMPUTE_PGM_RSRC2:TIDIG_COMP_CNT: 0
	.section	.text._ZN9rocsparseL19gebsrmvn_2xn_kernelILj128ELj13ELj64EdEEvi20rocsparse_direction_NS_24const_host_device_scalarIT2_EEPKiS6_PKS3_S8_S4_PS3_21rocsparse_index_base_b,"axG",@progbits,_ZN9rocsparseL19gebsrmvn_2xn_kernelILj128ELj13ELj64EdEEvi20rocsparse_direction_NS_24const_host_device_scalarIT2_EEPKiS6_PKS3_S8_S4_PS3_21rocsparse_index_base_b,comdat
	.globl	_ZN9rocsparseL19gebsrmvn_2xn_kernelILj128ELj13ELj64EdEEvi20rocsparse_direction_NS_24const_host_device_scalarIT2_EEPKiS6_PKS3_S8_S4_PS3_21rocsparse_index_base_b ; -- Begin function _ZN9rocsparseL19gebsrmvn_2xn_kernelILj128ELj13ELj64EdEEvi20rocsparse_direction_NS_24const_host_device_scalarIT2_EEPKiS6_PKS3_S8_S4_PS3_21rocsparse_index_base_b
	.p2align	8
	.type	_ZN9rocsparseL19gebsrmvn_2xn_kernelILj128ELj13ELj64EdEEvi20rocsparse_direction_NS_24const_host_device_scalarIT2_EEPKiS6_PKS3_S8_S4_PS3_21rocsparse_index_base_b,@function
_ZN9rocsparseL19gebsrmvn_2xn_kernelILj128ELj13ELj64EdEEvi20rocsparse_direction_NS_24const_host_device_scalarIT2_EEPKiS6_PKS3_S8_S4_PS3_21rocsparse_index_base_b: ; @_ZN9rocsparseL19gebsrmvn_2xn_kernelILj128ELj13ELj64EdEEvi20rocsparse_direction_NS_24const_host_device_scalarIT2_EEPKiS6_PKS3_S8_S4_PS3_21rocsparse_index_base_b
; %bb.0:
	s_load_dwordx2 s[2:3], s[4:5], 0x40
	s_load_dwordx2 s[10:11], s[4:5], 0x8
	;; [unrolled: 1-line block ×3, first 2 shown]
	s_waitcnt lgkmcnt(0)
	s_bitcmp1_b32 s3, 0
	s_cselect_b64 s[12:13], -1, 0
	v_mov_b32_e32 v1, s10
	s_xor_b64 s[8:9], s[12:13], -1
	s_and_b64 vcc, exec, s[12:13]
	v_mov_b32_e32 v2, s11
	s_cbranch_vccnz .LBB135_2
; %bb.1:
	v_mov_b32_e32 v1, s10
	v_mov_b32_e32 v2, s11
	flat_load_dwordx2 v[1:2], v[1:2]
.LBB135_2:
	v_mov_b32_e32 v4, s1
	s_andn2_b64 vcc, exec, s[8:9]
	v_mov_b32_e32 v3, s0
	s_cbranch_vccnz .LBB135_4
; %bb.3:
	v_mov_b32_e32 v4, s1
	v_mov_b32_e32 v3, s0
	flat_load_dwordx2 v[3:4], v[3:4]
.LBB135_4:
	s_waitcnt vmcnt(0) lgkmcnt(0)
	v_cmp_neq_f64_e32 vcc, 0, v[1:2]
	v_cmp_neq_f64_e64 s[0:1], 1.0, v[3:4]
	s_or_b64 s[0:1], vcc, s[0:1]
	s_and_saveexec_b64 s[8:9], s[0:1]
	s_cbranch_execz .LBB135_23
; %bb.5:
	s_load_dwordx2 s[0:1], s[4:5], 0x0
	v_lshrrev_b32_e32 v5, 6, v0
	v_lshl_or_b32 v5, s6, 1, v5
	s_waitcnt lgkmcnt(0)
	v_cmp_gt_i32_e32 vcc, s0, v5
	s_and_b64 exec, exec, vcc
	s_cbranch_execz .LBB135_23
; %bb.6:
	s_load_dwordx8 s[8:15], s[4:5], 0x10
	v_ashrrev_i32_e32 v6, 31, v5
	v_lshlrev_b64 v[6:7], 2, v[5:6]
	v_and_b32_e32 v0, 63, v0
	s_cmp_lg_u32 s1, 0
	s_waitcnt lgkmcnt(0)
	v_mov_b32_e32 v8, s9
	v_add_co_u32_e32 v6, vcc, s8, v6
	v_addc_co_u32_e32 v7, vcc, v8, v7, vcc
	global_load_dwordx2 v[6:7], v[6:7], off
	s_waitcnt vmcnt(0)
	v_subrev_u32_e32 v6, s2, v6
	v_subrev_u32_e32 v18, s2, v7
	v_add_u32_e32 v6, v6, v0
	v_cmp_lt_i32_e64 s[0:1], v6, v18
	s_cbranch_scc0 .LBB135_12
; %bb.7:
	v_mov_b32_e32 v8, 0
	v_mov_b32_e32 v10, 0
	;; [unrolled: 1-line block ×4, first 2 shown]
	s_and_saveexec_b64 s[6:7], s[0:1]
	s_cbranch_execz .LBB135_11
; %bb.8:
	v_mad_u64_u32 v[12:13], s[8:9], v6, 26, 24
	v_mov_b32_e32 v8, 0
	v_mov_b32_e32 v10, 0
	;; [unrolled: 1-line block ×3, first 2 shown]
	s_mov_b64 s[8:9], 0
	v_mov_b32_e32 v7, s11
	v_mov_b32_e32 v15, 0
	;; [unrolled: 1-line block ×6, first 2 shown]
.LBB135_9:                              ; =>This Inner Loop Header: Depth=1
	v_ashrrev_i32_e32 v17, 31, v16
	v_lshlrev_b64 v[21:22], 2, v[16:17]
	v_subrev_u32_e32 v14, 24, v12
	v_lshlrev_b64 v[23:24], 3, v[14:15]
	v_add_co_u32_e32 v27, vcc, s10, v21
	v_addc_co_u32_e32 v28, vcc, v7, v22, vcc
	v_add_co_u32_e32 v31, vcc, s12, v23
	v_addc_co_u32_e32 v32, vcc, v19, v24, vcc
	global_load_dword v17, v[27:28], off
	global_load_dwordx4 v[21:24], v[31:32], off
	v_mov_b32_e32 v13, v15
	v_lshlrev_b64 v[25:26], 3, v[12:13]
	v_subrev_u32_e32 v14, 22, v12
	v_lshlrev_b64 v[13:14], 3, v[14:15]
	v_add_co_u32_e32 v33, vcc, s12, v25
	v_mov_b32_e32 v30, v15
	v_addc_co_u32_e32 v34, vcc, v19, v26, vcc
	v_add_co_u32_e32 v13, vcc, s12, v13
	v_addc_co_u32_e32 v14, vcc, v19, v14, vcc
	v_add_u32_e32 v16, 64, v16
	s_waitcnt vmcnt(1)
	v_subrev_u32_e32 v17, s2, v17
	v_mul_lo_u32 v29, v17, 13
	v_lshlrev_b64 v[25:26], 3, v[29:30]
	v_add_co_u32_e32 v30, vcc, s14, v25
	v_addc_co_u32_e32 v31, vcc, v20, v26, vcc
	global_load_dwordx4 v[25:28], v[33:34], off
	global_load_dwordx2 v[35:36], v[30:31], off
	s_waitcnt vmcnt(0)
	v_fma_f64 v[21:22], v[21:22], v[35:36], v[8:9]
	v_fma_f64 v[23:24], v[23:24], v[35:36], v[10:11]
	global_load_dwordx4 v[8:11], v[13:14], off
	v_add_u32_e32 v14, 1, v29
	v_lshlrev_b64 v[30:31], 3, v[14:15]
	v_subrev_u32_e32 v14, 20, v12
	v_add_co_u32_e32 v30, vcc, s14, v30
	v_addc_co_u32_e32 v31, vcc, v20, v31, vcc
	global_load_dwordx2 v[30:31], v[30:31], off
	v_lshlrev_b64 v[32:33], 3, v[14:15]
	v_add_u32_e32 v14, 2, v29
	s_waitcnt vmcnt(0)
	v_fma_f64 v[21:22], v[8:9], v[30:31], v[21:22]
	v_fma_f64 v[23:24], v[10:11], v[30:31], v[23:24]
	v_lshlrev_b64 v[8:9], 3, v[14:15]
	v_add_co_u32_e32 v30, vcc, s12, v32
	v_addc_co_u32_e32 v31, vcc, v19, v33, vcc
	v_add_co_u32_e32 v34, vcc, s14, v8
	v_addc_co_u32_e32 v35, vcc, v20, v9, vcc
	global_load_dwordx4 v[8:11], v[30:31], off
	global_load_dwordx2 v[36:37], v[34:35], off
	v_subrev_u32_e32 v14, 18, v12
	v_lshlrev_b64 v[32:33], 3, v[14:15]
	v_add_u32_e32 v14, 3, v29
	v_add_co_u32_e32 v30, vcc, s12, v32
	v_addc_co_u32_e32 v31, vcc, v19, v33, vcc
	s_waitcnt vmcnt(0)
	v_fma_f64 v[21:22], v[8:9], v[36:37], v[21:22]
	v_lshlrev_b64 v[8:9], 3, v[14:15]
	v_fma_f64 v[23:24], v[10:11], v[36:37], v[23:24]
	v_add_co_u32_e32 v34, vcc, s14, v8
	v_addc_co_u32_e32 v35, vcc, v20, v9, vcc
	global_load_dwordx4 v[8:11], v[30:31], off
	global_load_dwordx2 v[36:37], v[34:35], off
	v_add_u32_e32 v14, -16, v12
	v_lshlrev_b64 v[32:33], 3, v[14:15]
	v_add_u32_e32 v14, 4, v29
	v_add_co_u32_e32 v30, vcc, s12, v32
	v_addc_co_u32_e32 v31, vcc, v19, v33, vcc
	s_waitcnt vmcnt(0)
	v_fma_f64 v[21:22], v[8:9], v[36:37], v[21:22]
	v_lshlrev_b64 v[8:9], 3, v[14:15]
	v_fma_f64 v[23:24], v[10:11], v[36:37], v[23:24]
	v_add_co_u32_e32 v34, vcc, s14, v8
	v_addc_co_u32_e32 v35, vcc, v20, v9, vcc
	global_load_dwordx4 v[8:11], v[30:31], off
	global_load_dwordx2 v[36:37], v[34:35], off
	v_add_u32_e32 v14, -14, v12
	;; [unrolled: 13-line block ×8, first 2 shown]
	v_lshlrev_b64 v[32:33], 3, v[14:15]
	v_add_u32_e32 v14, 11, v29
	v_add_co_u32_e32 v13, vcc, s12, v32
	v_add_u32_e32 v12, 0x680, v12
	s_waitcnt vmcnt(0)
	v_fma_f64 v[21:22], v[8:9], v[36:37], v[21:22]
	v_lshlrev_b64 v[8:9], 3, v[14:15]
	v_addc_co_u32_e32 v14, vcc, v19, v33, vcc
	v_add_co_u32_e32 v30, vcc, s14, v8
	v_fma_f64 v[23:24], v[10:11], v[36:37], v[23:24]
	v_addc_co_u32_e32 v31, vcc, v20, v9, vcc
	global_load_dwordx4 v[8:11], v[13:14], off
	global_load_dwordx2 v[32:33], v[30:31], off
	v_add_u32_e32 v14, 12, v29
	v_lshlrev_b64 v[13:14], 3, v[14:15]
	v_add_co_u32_e32 v13, vcc, s14, v13
	v_addc_co_u32_e32 v14, vcc, v20, v14, vcc
	global_load_dwordx2 v[13:14], v[13:14], off
	v_cmp_ge_i32_e32 vcc, v16, v18
	s_or_b64 s[8:9], vcc, s[8:9]
	s_waitcnt vmcnt(1)
	v_fma_f64 v[8:9], v[8:9], v[32:33], v[21:22]
	v_fma_f64 v[10:11], v[10:11], v[32:33], v[23:24]
	s_waitcnt vmcnt(0)
	v_fma_f64 v[8:9], v[25:26], v[13:14], v[8:9]
	v_fma_f64 v[10:11], v[27:28], v[13:14], v[10:11]
	s_andn2_b64 exec, exec, s[8:9]
	s_cbranch_execnz .LBB135_9
; %bb.10:
	s_or_b64 exec, exec, s[8:9]
.LBB135_11:
	s_or_b64 exec, exec, s[6:7]
	s_cbranch_execz .LBB135_13
	s_branch .LBB135_18
.LBB135_12:
                                        ; implicit-def: $vgpr8_vgpr9
                                        ; implicit-def: $vgpr10_vgpr11
.LBB135_13:
	v_mov_b32_e32 v8, 0
	v_mov_b32_e32 v10, 0
	;; [unrolled: 1-line block ×4, first 2 shown]
	s_and_saveexec_b64 s[6:7], s[0:1]
	s_cbranch_execz .LBB135_17
; %bb.14:
	v_mad_u64_u32 v[12:13], s[0:1], v6, 26, 25
	v_mov_b32_e32 v8, 0
	v_mov_b32_e32 v10, 0
	;; [unrolled: 1-line block ×3, first 2 shown]
	s_mov_b64 s[0:1], 0
	v_mov_b32_e32 v16, s11
	v_mov_b32_e32 v15, 0
	;; [unrolled: 1-line block ×5, first 2 shown]
.LBB135_15:                             ; =>This Inner Loop Header: Depth=1
	v_ashrrev_i32_e32 v7, 31, v6
	v_lshlrev_b64 v[22:23], 2, v[6:7]
	v_subrev_u32_e32 v14, 25, v12
	v_add_co_u32_e32 v22, vcc, s10, v22
	v_addc_co_u32_e32 v23, vcc, v16, v23, vcc
	global_load_dword v7, v[22:23], off
	v_lshlrev_b64 v[24:25], 3, v[14:15]
	v_add_u32_e32 v20, -12, v12
	v_mov_b32_e32 v21, v15
	v_lshlrev_b64 v[20:21], 3, v[20:21]
	v_add_co_u32_e32 v24, vcc, s12, v24
	v_mov_b32_e32 v13, v15
	v_addc_co_u32_e32 v25, vcc, v17, v25, vcc
	v_lshlrev_b64 v[13:14], 3, v[12:13]
	v_add_co_u32_e32 v20, vcc, s12, v20
	v_addc_co_u32_e32 v21, vcc, v17, v21, vcc
	v_add_co_u32_e32 v26, vcc, s12, v13
	v_addc_co_u32_e32 v27, vcc, v17, v14, vcc
	v_mov_b32_e32 v14, v15
	v_add_u32_e32 v6, 64, v6
	s_waitcnt vmcnt(0)
	v_subrev_u32_e32 v7, s2, v7
	v_mul_lo_u32 v13, v7, 13
	v_lshlrev_b64 v[22:23], 3, v[13:14]
	v_add_u32_e32 v14, 1, v13
	v_add_co_u32_e32 v22, vcc, s14, v22
	v_addc_co_u32_e32 v23, vcc, v19, v23, vcc
	global_load_dwordx2 v[30:31], v[20:21], off
	global_load_dwordx2 v[32:33], v[22:23], off
	v_lshlrev_b64 v[28:29], 3, v[14:15]
	global_load_dwordx4 v[20:23], v[24:25], off
	v_add_co_u32_e32 v28, vcc, s14, v28
	v_addc_co_u32_e32 v29, vcc, v19, v29, vcc
	v_add_u32_e32 v14, -11, v12
	s_waitcnt vmcnt(1)
	v_fma_f64 v[10:11], v[30:31], v[32:33], v[10:11]
	s_waitcnt vmcnt(0)
	v_fma_f64 v[7:8], v[20:21], v[32:33], v[8:9]
	global_load_dwordx2 v[20:21], v[28:29], off
	s_waitcnt vmcnt(0)
	v_fma_f64 v[7:8], v[22:23], v[20:21], v[7:8]
	v_lshlrev_b64 v[22:23], 3, v[14:15]
	v_subrev_u32_e32 v14, 23, v12
	v_add_co_u32_e32 v22, vcc, s12, v22
	v_lshlrev_b64 v[24:25], 3, v[14:15]
	v_addc_co_u32_e32 v23, vcc, v17, v23, vcc
	v_add_co_u32_e32 v24, vcc, s12, v24
	v_addc_co_u32_e32 v25, vcc, v17, v25, vcc
	global_load_dwordx2 v[28:29], v[22:23], off
	global_load_dwordx2 v[30:31], v[24:25], off
	v_add_u32_e32 v14, 2, v13
	s_waitcnt vmcnt(1)
	v_fma_f64 v[9:10], v[28:29], v[20:21], v[10:11]
	v_lshlrev_b64 v[20:21], 3, v[14:15]
	v_add_u32_e32 v14, -10, v12
	v_add_co_u32_e32 v20, vcc, s14, v20
	v_addc_co_u32_e32 v21, vcc, v19, v21, vcc
	global_load_dwordx2 v[20:21], v[20:21], off
	v_lshlrev_b64 v[22:23], 3, v[14:15]
	v_subrev_u32_e32 v14, 22, v12
	v_add_co_u32_e32 v22, vcc, s12, v22
	v_lshlrev_b64 v[24:25], 3, v[14:15]
	v_addc_co_u32_e32 v23, vcc, v17, v23, vcc
	v_add_co_u32_e32 v24, vcc, s12, v24
	v_addc_co_u32_e32 v25, vcc, v17, v25, vcc
	v_add_u32_e32 v14, 3, v13
	s_waitcnt vmcnt(0)
	v_fma_f64 v[7:8], v[30:31], v[20:21], v[7:8]
	global_load_dwordx2 v[28:29], v[22:23], off
	global_load_dwordx2 v[30:31], v[24:25], off
	s_waitcnt vmcnt(1)
	v_fma_f64 v[9:10], v[28:29], v[20:21], v[9:10]
	v_lshlrev_b64 v[20:21], 3, v[14:15]
	v_add_u32_e32 v14, -9, v12
	v_add_co_u32_e32 v20, vcc, s14, v20
	v_addc_co_u32_e32 v21, vcc, v19, v21, vcc
	global_load_dwordx2 v[20:21], v[20:21], off
	v_lshlrev_b64 v[22:23], 3, v[14:15]
	v_subrev_u32_e32 v14, 21, v12
	v_add_co_u32_e32 v22, vcc, s12, v22
	v_lshlrev_b64 v[24:25], 3, v[14:15]
	v_addc_co_u32_e32 v23, vcc, v17, v23, vcc
	v_add_co_u32_e32 v24, vcc, s12, v24
	v_addc_co_u32_e32 v25, vcc, v17, v25, vcc
	v_add_u32_e32 v14, 4, v13
	s_waitcnt vmcnt(0)
	v_fma_f64 v[7:8], v[30:31], v[20:21], v[7:8]
	global_load_dwordx2 v[28:29], v[22:23], off
	global_load_dwordx2 v[30:31], v[24:25], off
	s_waitcnt vmcnt(1)
	v_fma_f64 v[9:10], v[28:29], v[20:21], v[9:10]
	v_lshlrev_b64 v[20:21], 3, v[14:15]
	v_add_u32_e32 v14, -8, v12
	v_add_co_u32_e32 v20, vcc, s14, v20
	v_addc_co_u32_e32 v21, vcc, v19, v21, vcc
	global_load_dwordx2 v[20:21], v[20:21], off
	v_lshlrev_b64 v[22:23], 3, v[14:15]
	v_subrev_u32_e32 v14, 20, v12
	v_add_co_u32_e32 v22, vcc, s12, v22
	v_lshlrev_b64 v[24:25], 3, v[14:15]
	v_addc_co_u32_e32 v23, vcc, v17, v23, vcc
	v_add_co_u32_e32 v24, vcc, s12, v24
	v_addc_co_u32_e32 v25, vcc, v17, v25, vcc
	v_add_u32_e32 v14, 5, v13
	s_waitcnt vmcnt(0)
	v_fma_f64 v[7:8], v[30:31], v[20:21], v[7:8]
	global_load_dwordx2 v[28:29], v[22:23], off
	global_load_dwordx2 v[30:31], v[24:25], off
	s_waitcnt vmcnt(1)
	v_fma_f64 v[9:10], v[28:29], v[20:21], v[9:10]
	v_lshlrev_b64 v[20:21], 3, v[14:15]
	v_add_u32_e32 v14, -7, v12
	v_add_co_u32_e32 v20, vcc, s14, v20
	v_addc_co_u32_e32 v21, vcc, v19, v21, vcc
	global_load_dwordx2 v[20:21], v[20:21], off
	v_lshlrev_b64 v[22:23], 3, v[14:15]
	v_subrev_u32_e32 v14, 19, v12
	v_add_co_u32_e32 v22, vcc, s12, v22
	v_lshlrev_b64 v[24:25], 3, v[14:15]
	v_addc_co_u32_e32 v23, vcc, v17, v23, vcc
	v_add_co_u32_e32 v24, vcc, s12, v24
	v_addc_co_u32_e32 v25, vcc, v17, v25, vcc
	v_add_u32_e32 v14, 6, v13
	s_waitcnt vmcnt(0)
	v_fma_f64 v[7:8], v[30:31], v[20:21], v[7:8]
	global_load_dwordx2 v[28:29], v[22:23], off
	global_load_dwordx2 v[30:31], v[24:25], off
	s_waitcnt vmcnt(1)
	v_fma_f64 v[9:10], v[28:29], v[20:21], v[9:10]
	v_lshlrev_b64 v[20:21], 3, v[14:15]
	v_add_u32_e32 v14, -6, v12
	v_add_co_u32_e32 v20, vcc, s14, v20
	v_addc_co_u32_e32 v21, vcc, v19, v21, vcc
	global_load_dwordx2 v[20:21], v[20:21], off
	v_lshlrev_b64 v[22:23], 3, v[14:15]
	v_subrev_u32_e32 v14, 18, v12
	v_add_co_u32_e32 v22, vcc, s12, v22
	v_lshlrev_b64 v[24:25], 3, v[14:15]
	v_addc_co_u32_e32 v23, vcc, v17, v23, vcc
	v_add_co_u32_e32 v24, vcc, s12, v24
	v_addc_co_u32_e32 v25, vcc, v17, v25, vcc
	v_add_u32_e32 v14, 7, v13
	s_waitcnt vmcnt(0)
	v_fma_f64 v[7:8], v[30:31], v[20:21], v[7:8]
	global_load_dwordx2 v[28:29], v[22:23], off
	global_load_dwordx2 v[30:31], v[24:25], off
	s_waitcnt vmcnt(1)
	v_fma_f64 v[9:10], v[28:29], v[20:21], v[9:10]
	v_lshlrev_b64 v[20:21], 3, v[14:15]
	v_add_u32_e32 v14, -5, v12
	v_add_co_u32_e32 v20, vcc, s14, v20
	v_addc_co_u32_e32 v21, vcc, v19, v21, vcc
	global_load_dwordx2 v[20:21], v[20:21], off
	v_lshlrev_b64 v[22:23], 3, v[14:15]
	v_subrev_u32_e32 v14, 17, v12
	v_add_co_u32_e32 v22, vcc, s12, v22
	v_lshlrev_b64 v[24:25], 3, v[14:15]
	v_addc_co_u32_e32 v23, vcc, v17, v23, vcc
	v_add_co_u32_e32 v24, vcc, s12, v24
	v_addc_co_u32_e32 v25, vcc, v17, v25, vcc
	v_add_u32_e32 v14, 8, v13
	s_waitcnt vmcnt(0)
	v_fma_f64 v[7:8], v[30:31], v[20:21], v[7:8]
	global_load_dwordx2 v[28:29], v[22:23], off
	global_load_dwordx2 v[30:31], v[24:25], off
	s_waitcnt vmcnt(1)
	v_fma_f64 v[9:10], v[28:29], v[20:21], v[9:10]
	v_lshlrev_b64 v[20:21], 3, v[14:15]
	v_add_u32_e32 v14, -4, v12
	v_add_co_u32_e32 v20, vcc, s14, v20
	v_addc_co_u32_e32 v21, vcc, v19, v21, vcc
	global_load_dwordx2 v[20:21], v[20:21], off
	v_lshlrev_b64 v[22:23], 3, v[14:15]
	v_add_u32_e32 v14, -16, v12
	v_add_co_u32_e32 v22, vcc, s12, v22
	v_lshlrev_b64 v[24:25], 3, v[14:15]
	v_addc_co_u32_e32 v23, vcc, v17, v23, vcc
	v_add_co_u32_e32 v24, vcc, s12, v24
	v_addc_co_u32_e32 v25, vcc, v17, v25, vcc
	v_add_u32_e32 v14, 9, v13
	s_waitcnt vmcnt(0)
	v_fma_f64 v[7:8], v[30:31], v[20:21], v[7:8]
	global_load_dwordx2 v[28:29], v[22:23], off
	global_load_dwordx2 v[30:31], v[24:25], off
	s_waitcnt vmcnt(1)
	v_fma_f64 v[9:10], v[28:29], v[20:21], v[9:10]
	v_lshlrev_b64 v[20:21], 3, v[14:15]
	v_add_u32_e32 v14, -3, v12
	v_add_co_u32_e32 v20, vcc, s14, v20
	v_addc_co_u32_e32 v21, vcc, v19, v21, vcc
	global_load_dwordx2 v[20:21], v[20:21], off
	v_lshlrev_b64 v[22:23], 3, v[14:15]
	v_add_u32_e32 v14, -15, v12
	v_add_co_u32_e32 v22, vcc, s12, v22
	v_lshlrev_b64 v[24:25], 3, v[14:15]
	v_addc_co_u32_e32 v23, vcc, v17, v23, vcc
	v_add_co_u32_e32 v24, vcc, s12, v24
	v_addc_co_u32_e32 v25, vcc, v17, v25, vcc
	v_add_u32_e32 v14, 10, v13
	s_waitcnt vmcnt(0)
	v_fma_f64 v[7:8], v[30:31], v[20:21], v[7:8]
	global_load_dwordx2 v[28:29], v[22:23], off
	global_load_dwordx2 v[30:31], v[24:25], off
	;; [unrolled: 19-line block ×3, first 2 shown]
	s_waitcnt vmcnt(1)
	v_fma_f64 v[9:10], v[28:29], v[20:21], v[9:10]
	v_lshlrev_b64 v[20:21], 3, v[14:15]
	v_add_u32_e32 v14, -1, v12
	v_add_co_u32_e32 v20, vcc, s14, v20
	v_addc_co_u32_e32 v21, vcc, v19, v21, vcc
	global_load_dwordx2 v[20:21], v[20:21], off
	v_lshlrev_b64 v[22:23], 3, v[14:15]
	v_add_u32_e32 v14, -13, v12
	v_lshlrev_b64 v[24:25], 3, v[14:15]
	v_add_co_u32_e32 v22, vcc, s12, v22
	v_add_u32_e32 v14, 12, v13
	v_addc_co_u32_e32 v23, vcc, v17, v23, vcc
	v_add_co_u32_e32 v24, vcc, s12, v24
	v_lshlrev_b64 v[13:14], 3, v[14:15]
	v_addc_co_u32_e32 v25, vcc, v17, v25, vcc
	v_add_co_u32_e32 v13, vcc, s14, v13
	v_addc_co_u32_e32 v14, vcc, v19, v14, vcc
	v_cmp_ge_i32_e32 vcc, v6, v18
	s_or_b64 s[0:1], vcc, s[0:1]
	v_add_u32_e32 v12, 0x680, v12
	s_waitcnt vmcnt(0)
	v_fma_f64 v[7:8], v[30:31], v[20:21], v[7:8]
	global_load_dwordx2 v[28:29], v[22:23], off
	global_load_dwordx2 v[30:31], v[26:27], off
	;; [unrolled: 1-line block ×4, first 2 shown]
	s_waitcnt vmcnt(3)
	v_fma_f64 v[10:11], v[28:29], v[20:21], v[9:10]
	s_waitcnt vmcnt(0)
	v_fma_f64 v[8:9], v[32:33], v[34:35], v[7:8]
	v_fma_f64 v[10:11], v[30:31], v[34:35], v[10:11]
	s_andn2_b64 exec, exec, s[0:1]
	s_cbranch_execnz .LBB135_15
; %bb.16:
	s_or_b64 exec, exec, s[0:1]
.LBB135_17:
	s_or_b64 exec, exec, s[6:7]
.LBB135_18:
	v_mov_b32_dpp v6, v8 row_shr:1 row_mask:0xf bank_mask:0xf
	v_mov_b32_dpp v7, v9 row_shr:1 row_mask:0xf bank_mask:0xf
	v_add_f64 v[6:7], v[8:9], v[6:7]
	v_mov_b32_dpp v8, v10 row_shr:1 row_mask:0xf bank_mask:0xf
	v_mov_b32_dpp v9, v11 row_shr:1 row_mask:0xf bank_mask:0xf
	v_add_f64 v[8:9], v[10:11], v[8:9]
	v_cmp_eq_u32_e32 vcc, 63, v0
	v_mov_b32_dpp v10, v6 row_shr:2 row_mask:0xf bank_mask:0xf
	v_mov_b32_dpp v11, v7 row_shr:2 row_mask:0xf bank_mask:0xf
	v_add_f64 v[6:7], v[6:7], v[10:11]
	v_mov_b32_dpp v12, v8 row_shr:2 row_mask:0xf bank_mask:0xf
	v_mov_b32_dpp v13, v9 row_shr:2 row_mask:0xf bank_mask:0xf
	v_add_f64 v[8:9], v[8:9], v[12:13]
	v_mov_b32_dpp v10, v6 row_shr:4 row_mask:0xf bank_mask:0xe
	v_mov_b32_dpp v11, v7 row_shr:4 row_mask:0xf bank_mask:0xe
	v_add_f64 v[6:7], v[6:7], v[10:11]
	v_mov_b32_dpp v12, v8 row_shr:4 row_mask:0xf bank_mask:0xe
	v_mov_b32_dpp v13, v9 row_shr:4 row_mask:0xf bank_mask:0xe
	v_add_f64 v[8:9], v[8:9], v[12:13]
	v_mov_b32_dpp v10, v6 row_shr:8 row_mask:0xf bank_mask:0xc
	v_mov_b32_dpp v11, v7 row_shr:8 row_mask:0xf bank_mask:0xc
	v_add_f64 v[6:7], v[6:7], v[10:11]
	v_mov_b32_dpp v12, v8 row_shr:8 row_mask:0xf bank_mask:0xc
	v_mov_b32_dpp v13, v9 row_shr:8 row_mask:0xf bank_mask:0xc
	v_add_f64 v[8:9], v[8:9], v[12:13]
	v_mov_b32_dpp v10, v6 row_bcast:15 row_mask:0xa bank_mask:0xf
	v_mov_b32_dpp v11, v7 row_bcast:15 row_mask:0xa bank_mask:0xf
	v_add_f64 v[6:7], v[6:7], v[10:11]
	v_mov_b32_dpp v12, v8 row_bcast:15 row_mask:0xa bank_mask:0xf
	v_mov_b32_dpp v13, v9 row_bcast:15 row_mask:0xa bank_mask:0xf
	v_add_f64 v[10:11], v[8:9], v[12:13]
	v_mov_b32_dpp v8, v6 row_bcast:31 row_mask:0xc bank_mask:0xf
	v_mov_b32_dpp v9, v7 row_bcast:31 row_mask:0xc bank_mask:0xf
	;; [unrolled: 1-line block ×4, first 2 shown]
	s_and_b64 exec, exec, vcc
	s_cbranch_execz .LBB135_23
; %bb.19:
	v_add_f64 v[8:9], v[6:7], v[8:9]
	v_add_f64 v[6:7], v[10:11], v[12:13]
	v_cmp_eq_f64_e32 vcc, 0, v[3:4]
	s_load_dwordx2 s[0:1], s[4:5], 0x38
	s_and_saveexec_b64 s[2:3], vcc
	s_xor_b64 s[2:3], exec, s[2:3]
	s_cbranch_execz .LBB135_21
; %bb.20:
	v_mul_f64 v[3:4], v[1:2], v[8:9]
	v_lshlrev_b32_e32 v0, 1, v5
	v_mul_f64 v[5:6], v[1:2], v[6:7]
	v_ashrrev_i32_e32 v1, 31, v0
	v_lshlrev_b64 v[0:1], 3, v[0:1]
	s_waitcnt lgkmcnt(0)
	v_mov_b32_e32 v2, s1
	v_add_co_u32_e32 v0, vcc, s0, v0
	v_addc_co_u32_e32 v1, vcc, v2, v1, vcc
	global_store_dwordx4 v[0:1], v[3:6], off
                                        ; implicit-def: $vgpr5
                                        ; implicit-def: $vgpr1_vgpr2
                                        ; implicit-def: $vgpr8_vgpr9
                                        ; implicit-def: $vgpr3_vgpr4
                                        ; implicit-def: $vgpr6_vgpr7
.LBB135_21:
	s_andn2_saveexec_b64 s[2:3], s[2:3]
	s_cbranch_execz .LBB135_23
; %bb.22:
	v_lshlrev_b32_e32 v10, 1, v5
	v_ashrrev_i32_e32 v11, 31, v10
	v_lshlrev_b64 v[10:11], 3, v[10:11]
	s_waitcnt lgkmcnt(0)
	v_mov_b32_e32 v0, s1
	v_add_co_u32_e32 v14, vcc, s0, v10
	v_addc_co_u32_e32 v15, vcc, v0, v11, vcc
	global_load_dwordx4 v[10:13], v[14:15], off
	v_mul_f64 v[8:9], v[1:2], v[8:9]
	v_mul_f64 v[5:6], v[1:2], v[6:7]
	s_waitcnt vmcnt(0)
	v_fma_f64 v[0:1], v[3:4], v[10:11], v[8:9]
	v_fma_f64 v[2:3], v[3:4], v[12:13], v[5:6]
	global_store_dwordx4 v[14:15], v[0:3], off
.LBB135_23:
	s_endpgm
	.section	.rodata,"a",@progbits
	.p2align	6, 0x0
	.amdhsa_kernel _ZN9rocsparseL19gebsrmvn_2xn_kernelILj128ELj13ELj64EdEEvi20rocsparse_direction_NS_24const_host_device_scalarIT2_EEPKiS6_PKS3_S8_S4_PS3_21rocsparse_index_base_b
		.amdhsa_group_segment_fixed_size 0
		.amdhsa_private_segment_fixed_size 0
		.amdhsa_kernarg_size 72
		.amdhsa_user_sgpr_count 6
		.amdhsa_user_sgpr_private_segment_buffer 1
		.amdhsa_user_sgpr_dispatch_ptr 0
		.amdhsa_user_sgpr_queue_ptr 0
		.amdhsa_user_sgpr_kernarg_segment_ptr 1
		.amdhsa_user_sgpr_dispatch_id 0
		.amdhsa_user_sgpr_flat_scratch_init 0
		.amdhsa_user_sgpr_private_segment_size 0
		.amdhsa_uses_dynamic_stack 0
		.amdhsa_system_sgpr_private_segment_wavefront_offset 0
		.amdhsa_system_sgpr_workgroup_id_x 1
		.amdhsa_system_sgpr_workgroup_id_y 0
		.amdhsa_system_sgpr_workgroup_id_z 0
		.amdhsa_system_sgpr_workgroup_info 0
		.amdhsa_system_vgpr_workitem_id 0
		.amdhsa_next_free_vgpr 38
		.amdhsa_next_free_sgpr 16
		.amdhsa_reserve_vcc 1
		.amdhsa_reserve_flat_scratch 0
		.amdhsa_float_round_mode_32 0
		.amdhsa_float_round_mode_16_64 0
		.amdhsa_float_denorm_mode_32 3
		.amdhsa_float_denorm_mode_16_64 3
		.amdhsa_dx10_clamp 1
		.amdhsa_ieee_mode 1
		.amdhsa_fp16_overflow 0
		.amdhsa_exception_fp_ieee_invalid_op 0
		.amdhsa_exception_fp_denorm_src 0
		.amdhsa_exception_fp_ieee_div_zero 0
		.amdhsa_exception_fp_ieee_overflow 0
		.amdhsa_exception_fp_ieee_underflow 0
		.amdhsa_exception_fp_ieee_inexact 0
		.amdhsa_exception_int_div_zero 0
	.end_amdhsa_kernel
	.section	.text._ZN9rocsparseL19gebsrmvn_2xn_kernelILj128ELj13ELj64EdEEvi20rocsparse_direction_NS_24const_host_device_scalarIT2_EEPKiS6_PKS3_S8_S4_PS3_21rocsparse_index_base_b,"axG",@progbits,_ZN9rocsparseL19gebsrmvn_2xn_kernelILj128ELj13ELj64EdEEvi20rocsparse_direction_NS_24const_host_device_scalarIT2_EEPKiS6_PKS3_S8_S4_PS3_21rocsparse_index_base_b,comdat
.Lfunc_end135:
	.size	_ZN9rocsparseL19gebsrmvn_2xn_kernelILj128ELj13ELj64EdEEvi20rocsparse_direction_NS_24const_host_device_scalarIT2_EEPKiS6_PKS3_S8_S4_PS3_21rocsparse_index_base_b, .Lfunc_end135-_ZN9rocsparseL19gebsrmvn_2xn_kernelILj128ELj13ELj64EdEEvi20rocsparse_direction_NS_24const_host_device_scalarIT2_EEPKiS6_PKS3_S8_S4_PS3_21rocsparse_index_base_b
                                        ; -- End function
	.set _ZN9rocsparseL19gebsrmvn_2xn_kernelILj128ELj13ELj64EdEEvi20rocsparse_direction_NS_24const_host_device_scalarIT2_EEPKiS6_PKS3_S8_S4_PS3_21rocsparse_index_base_b.num_vgpr, 38
	.set _ZN9rocsparseL19gebsrmvn_2xn_kernelILj128ELj13ELj64EdEEvi20rocsparse_direction_NS_24const_host_device_scalarIT2_EEPKiS6_PKS3_S8_S4_PS3_21rocsparse_index_base_b.num_agpr, 0
	.set _ZN9rocsparseL19gebsrmvn_2xn_kernelILj128ELj13ELj64EdEEvi20rocsparse_direction_NS_24const_host_device_scalarIT2_EEPKiS6_PKS3_S8_S4_PS3_21rocsparse_index_base_b.numbered_sgpr, 16
	.set _ZN9rocsparseL19gebsrmvn_2xn_kernelILj128ELj13ELj64EdEEvi20rocsparse_direction_NS_24const_host_device_scalarIT2_EEPKiS6_PKS3_S8_S4_PS3_21rocsparse_index_base_b.num_named_barrier, 0
	.set _ZN9rocsparseL19gebsrmvn_2xn_kernelILj128ELj13ELj64EdEEvi20rocsparse_direction_NS_24const_host_device_scalarIT2_EEPKiS6_PKS3_S8_S4_PS3_21rocsparse_index_base_b.private_seg_size, 0
	.set _ZN9rocsparseL19gebsrmvn_2xn_kernelILj128ELj13ELj64EdEEvi20rocsparse_direction_NS_24const_host_device_scalarIT2_EEPKiS6_PKS3_S8_S4_PS3_21rocsparse_index_base_b.uses_vcc, 1
	.set _ZN9rocsparseL19gebsrmvn_2xn_kernelILj128ELj13ELj64EdEEvi20rocsparse_direction_NS_24const_host_device_scalarIT2_EEPKiS6_PKS3_S8_S4_PS3_21rocsparse_index_base_b.uses_flat_scratch, 0
	.set _ZN9rocsparseL19gebsrmvn_2xn_kernelILj128ELj13ELj64EdEEvi20rocsparse_direction_NS_24const_host_device_scalarIT2_EEPKiS6_PKS3_S8_S4_PS3_21rocsparse_index_base_b.has_dyn_sized_stack, 0
	.set _ZN9rocsparseL19gebsrmvn_2xn_kernelILj128ELj13ELj64EdEEvi20rocsparse_direction_NS_24const_host_device_scalarIT2_EEPKiS6_PKS3_S8_S4_PS3_21rocsparse_index_base_b.has_recursion, 0
	.set _ZN9rocsparseL19gebsrmvn_2xn_kernelILj128ELj13ELj64EdEEvi20rocsparse_direction_NS_24const_host_device_scalarIT2_EEPKiS6_PKS3_S8_S4_PS3_21rocsparse_index_base_b.has_indirect_call, 0
	.section	.AMDGPU.csdata,"",@progbits
; Kernel info:
; codeLenInByte = 3396
; TotalNumSgprs: 20
; NumVgprs: 38
; ScratchSize: 0
; MemoryBound: 0
; FloatMode: 240
; IeeeMode: 1
; LDSByteSize: 0 bytes/workgroup (compile time only)
; SGPRBlocks: 2
; VGPRBlocks: 9
; NumSGPRsForWavesPerEU: 20
; NumVGPRsForWavesPerEU: 38
; Occupancy: 6
; WaveLimiterHint : 1
; COMPUTE_PGM_RSRC2:SCRATCH_EN: 0
; COMPUTE_PGM_RSRC2:USER_SGPR: 6
; COMPUTE_PGM_RSRC2:TRAP_HANDLER: 0
; COMPUTE_PGM_RSRC2:TGID_X_EN: 1
; COMPUTE_PGM_RSRC2:TGID_Y_EN: 0
; COMPUTE_PGM_RSRC2:TGID_Z_EN: 0
; COMPUTE_PGM_RSRC2:TIDIG_COMP_CNT: 0
	.section	.text._ZN9rocsparseL19gebsrmvn_2xn_kernelILj128ELj14ELj4EdEEvi20rocsparse_direction_NS_24const_host_device_scalarIT2_EEPKiS6_PKS3_S8_S4_PS3_21rocsparse_index_base_b,"axG",@progbits,_ZN9rocsparseL19gebsrmvn_2xn_kernelILj128ELj14ELj4EdEEvi20rocsparse_direction_NS_24const_host_device_scalarIT2_EEPKiS6_PKS3_S8_S4_PS3_21rocsparse_index_base_b,comdat
	.globl	_ZN9rocsparseL19gebsrmvn_2xn_kernelILj128ELj14ELj4EdEEvi20rocsparse_direction_NS_24const_host_device_scalarIT2_EEPKiS6_PKS3_S8_S4_PS3_21rocsparse_index_base_b ; -- Begin function _ZN9rocsparseL19gebsrmvn_2xn_kernelILj128ELj14ELj4EdEEvi20rocsparse_direction_NS_24const_host_device_scalarIT2_EEPKiS6_PKS3_S8_S4_PS3_21rocsparse_index_base_b
	.p2align	8
	.type	_ZN9rocsparseL19gebsrmvn_2xn_kernelILj128ELj14ELj4EdEEvi20rocsparse_direction_NS_24const_host_device_scalarIT2_EEPKiS6_PKS3_S8_S4_PS3_21rocsparse_index_base_b,@function
_ZN9rocsparseL19gebsrmvn_2xn_kernelILj128ELj14ELj4EdEEvi20rocsparse_direction_NS_24const_host_device_scalarIT2_EEPKiS6_PKS3_S8_S4_PS3_21rocsparse_index_base_b: ; @_ZN9rocsparseL19gebsrmvn_2xn_kernelILj128ELj14ELj4EdEEvi20rocsparse_direction_NS_24const_host_device_scalarIT2_EEPKiS6_PKS3_S8_S4_PS3_21rocsparse_index_base_b
; %bb.0:
	s_load_dwordx2 s[2:3], s[4:5], 0x40
	s_load_dwordx2 s[10:11], s[4:5], 0x8
	;; [unrolled: 1-line block ×3, first 2 shown]
	s_waitcnt lgkmcnt(0)
	s_bitcmp1_b32 s3, 0
	s_cselect_b64 s[12:13], -1, 0
	v_mov_b32_e32 v1, s10
	s_xor_b64 s[8:9], s[12:13], -1
	s_and_b64 vcc, exec, s[12:13]
	v_mov_b32_e32 v2, s11
	s_cbranch_vccnz .LBB136_2
; %bb.1:
	v_mov_b32_e32 v1, s10
	v_mov_b32_e32 v2, s11
	flat_load_dwordx2 v[1:2], v[1:2]
.LBB136_2:
	v_mov_b32_e32 v4, s1
	s_andn2_b64 vcc, exec, s[8:9]
	v_mov_b32_e32 v3, s0
	s_cbranch_vccnz .LBB136_4
; %bb.3:
	v_mov_b32_e32 v4, s1
	v_mov_b32_e32 v3, s0
	flat_load_dwordx2 v[3:4], v[3:4]
.LBB136_4:
	s_waitcnt vmcnt(0) lgkmcnt(0)
	v_cmp_neq_f64_e32 vcc, 0, v[1:2]
	v_cmp_neq_f64_e64 s[0:1], 1.0, v[3:4]
	s_or_b64 s[0:1], vcc, s[0:1]
	s_and_saveexec_b64 s[8:9], s[0:1]
	s_cbranch_execz .LBB136_23
; %bb.5:
	s_load_dwordx2 s[0:1], s[4:5], 0x0
	v_lshrrev_b32_e32 v5, 2, v0
	v_lshl_or_b32 v5, s6, 5, v5
	s_waitcnt lgkmcnt(0)
	v_cmp_gt_i32_e32 vcc, s0, v5
	s_and_b64 exec, exec, vcc
	s_cbranch_execz .LBB136_23
; %bb.6:
	s_load_dwordx8 s[8:15], s[4:5], 0x10
	v_ashrrev_i32_e32 v6, 31, v5
	v_lshlrev_b64 v[6:7], 2, v[5:6]
	v_and_b32_e32 v0, 3, v0
	s_cmp_lg_u32 s1, 0
	s_waitcnt lgkmcnt(0)
	v_mov_b32_e32 v8, s9
	v_add_co_u32_e32 v6, vcc, s8, v6
	v_addc_co_u32_e32 v7, vcc, v8, v7, vcc
	global_load_dwordx2 v[6:7], v[6:7], off
	s_waitcnt vmcnt(0)
	v_subrev_u32_e32 v6, s2, v6
	v_subrev_u32_e32 v19, s2, v7
	v_add_u32_e32 v6, v6, v0
	v_cmp_lt_i32_e64 s[0:1], v6, v19
	s_cbranch_scc0 .LBB136_12
; %bb.7:
	v_mov_b32_e32 v8, 0
	v_mov_b32_e32 v10, 0
	;; [unrolled: 1-line block ×4, first 2 shown]
	s_and_saveexec_b64 s[6:7], s[0:1]
	s_cbranch_execz .LBB136_11
; %bb.8:
	v_mad_u64_u32 v[12:13], s[8:9], v6, 28, 26
	v_mov_b32_e32 v8, 0
	v_mov_b32_e32 v10, 0
	v_mov_b32_e32 v9, 0
	s_mov_b64 s[8:9], 0
	v_mov_b32_e32 v7, s11
	v_mov_b32_e32 v15, 0
	;; [unrolled: 1-line block ×6, first 2 shown]
.LBB136_9:                              ; =>This Inner Loop Header: Depth=1
	v_ashrrev_i32_e32 v17, 31, v16
	v_lshlrev_b64 v[22:23], 2, v[16:17]
	v_subrev_u32_e32 v14, 26, v12
	v_lshlrev_b64 v[24:25], 3, v[14:15]
	v_add_co_u32_e32 v30, vcc, s10, v22
	v_mov_b32_e32 v13, v15
	v_addc_co_u32_e32 v31, vcc, v7, v23, vcc
	v_lshlrev_b64 v[26:27], 3, v[12:13]
	v_add_co_u32_e32 v32, vcc, s12, v24
	v_addc_co_u32_e32 v33, vcc, v20, v25, vcc
	v_add_co_u32_e32 v46, vcc, s12, v26
	v_addc_co_u32_e32 v47, vcc, v20, v27, vcc
	global_load_dword v17, v[30:31], off
	global_load_dwordx4 v[22:25], v[32:33], off
	global_load_dwordx4 v[26:29], v[32:33], off offset:16
	v_subrev_u32_e32 v14, 22, v12
	v_lshlrev_b64 v[13:14], 3, v[14:15]
	v_mov_b32_e32 v18, v15
	v_add_co_u32_e32 v13, vcc, s12, v13
	v_addc_co_u32_e32 v14, vcc, v20, v14, vcc
	global_load_dwordx4 v[30:33], v[13:14], off
	v_add_u32_e32 v16, 4, v16
	s_waitcnt vmcnt(3)
	v_subrev_u32_e32 v13, s2, v17
	v_mul_lo_u32 v17, v13, 14
	v_lshlrev_b64 v[34:35], 3, v[17:18]
	v_add_u32_e32 v14, 2, v17
	v_add_co_u32_e32 v34, vcc, s14, v34
	v_addc_co_u32_e32 v35, vcc, v21, v35, vcc
	global_load_dwordx4 v[34:37], v[34:35], off
	v_lshlrev_b64 v[38:39], 3, v[14:15]
	v_subrev_u32_e32 v14, 20, v12
	v_add_co_u32_e32 v38, vcc, s14, v38
	v_addc_co_u32_e32 v39, vcc, v21, v39, vcc
	global_load_dwordx4 v[38:41], v[38:39], off
	v_lshlrev_b64 v[42:43], 3, v[14:15]
	v_subrev_u32_e32 v14, 18, v12
	v_add_co_u32_e32 v42, vcc, s12, v42
	v_addc_co_u32_e32 v43, vcc, v20, v43, vcc
	v_lshlrev_b64 v[44:45], 3, v[14:15]
	v_add_u32_e32 v14, 4, v17
	v_lshlrev_b64 v[48:49], 3, v[14:15]
	v_add_u32_e32 v14, -16, v12
	s_waitcnt vmcnt(1)
	v_fma_f64 v[22:23], v[22:23], v[34:35], v[8:9]
	v_fma_f64 v[24:25], v[24:25], v[34:35], v[10:11]
	global_load_dwordx4 v[8:11], v[42:43], off
	v_add_co_u32_e32 v34, vcc, s12, v44
	v_addc_co_u32_e32 v35, vcc, v20, v45, vcc
	v_fma_f64 v[44:45], v[26:27], v[36:37], v[22:23]
	v_add_co_u32_e32 v26, vcc, s14, v48
	v_addc_co_u32_e32 v27, vcc, v21, v49, vcc
	v_fma_f64 v[36:37], v[28:29], v[36:37], v[24:25]
	global_load_dwordx4 v[22:25], v[34:35], off
	v_lshlrev_b64 v[42:43], 3, v[14:15]
	global_load_dwordx4 v[26:29], v[26:27], off
	v_add_co_u32_e32 v42, vcc, s12, v42
	v_addc_co_u32_e32 v43, vcc, v20, v43, vcc
	s_waitcnt vmcnt(3)
	v_fma_f64 v[44:45], v[30:31], v[38:39], v[44:45]
	v_fma_f64 v[36:37], v[32:33], v[38:39], v[36:37]
	global_load_dwordx4 v[30:33], v[42:43], off
	v_add_u32_e32 v14, -14, v12
	v_lshlrev_b64 v[34:35], 3, v[14:15]
	v_add_u32_e32 v14, 6, v17
	v_lshlrev_b64 v[48:49], 3, v[14:15]
	v_add_co_u32_e32 v34, vcc, s12, v34
	v_addc_co_u32_e32 v35, vcc, v20, v35, vcc
	v_add_u32_e32 v14, -12, v12
	v_lshlrev_b64 v[38:39], 3, v[14:15]
	v_add_u32_e32 v14, -10, v12
	s_waitcnt vmcnt(3)
	v_fma_f64 v[42:43], v[8:9], v[40:41], v[44:45]
	v_fma_f64 v[40:41], v[10:11], v[40:41], v[36:37]
	global_load_dwordx4 v[8:11], v[34:35], off
	v_add_co_u32_e32 v34, vcc, s14, v48
	v_addc_co_u32_e32 v35, vcc, v21, v49, vcc
	global_load_dwordx4 v[34:37], v[34:35], off
	v_add_co_u32_e32 v38, vcc, s12, v38
	v_addc_co_u32_e32 v39, vcc, v20, v39, vcc
	v_lshlrev_b64 v[44:45], 3, v[14:15]
	v_add_u32_e32 v14, 8, v17
	s_waitcnt vmcnt(3)
	v_fma_f64 v[42:43], v[22:23], v[26:27], v[42:43]
	v_fma_f64 v[26:27], v[24:25], v[26:27], v[40:41]
	global_load_dwordx4 v[22:25], v[38:39], off
	v_lshlrev_b64 v[48:49], 3, v[14:15]
	v_add_co_u32_e32 v38, vcc, s12, v44
	v_addc_co_u32_e32 v39, vcc, v20, v45, vcc
	s_waitcnt vmcnt(3)
	v_fma_f64 v[42:43], v[30:31], v[28:29], v[42:43]
	v_add_co_u32_e32 v30, vcc, s14, v48
	v_addc_co_u32_e32 v31, vcc, v21, v49, vcc
	v_fma_f64 v[44:45], v[32:33], v[28:29], v[26:27]
	global_load_dwordx4 v[26:29], v[38:39], off
	v_add_u32_e32 v14, -8, v12
	global_load_dwordx4 v[30:33], v[30:31], off
	v_lshlrev_b64 v[40:41], 3, v[14:15]
	v_add_u32_e32 v14, -6, v12
	v_add_co_u32_e32 v40, vcc, s12, v40
	v_addc_co_u32_e32 v41, vcc, v20, v41, vcc
	s_waitcnt vmcnt(3)
	v_fma_f64 v[42:43], v[8:9], v[34:35], v[42:43]
	v_fma_f64 v[34:35], v[10:11], v[34:35], v[44:45]
	global_load_dwordx4 v[8:11], v[40:41], off
	v_lshlrev_b64 v[38:39], 3, v[14:15]
	v_add_u32_e32 v14, 10, v17
	v_lshlrev_b64 v[48:49], 3, v[14:15]
	v_add_co_u32_e32 v38, vcc, s12, v38
	v_addc_co_u32_e32 v39, vcc, v20, v39, vcc
	s_waitcnt vmcnt(3)
	v_fma_f64 v[44:45], v[24:25], v[36:37], v[34:35]
	v_add_co_u32_e32 v34, vcc, s14, v48
	v_addc_co_u32_e32 v35, vcc, v21, v49, vcc
	v_fma_f64 v[42:43], v[22:23], v[36:37], v[42:43]
	global_load_dwordx4 v[22:25], v[38:39], off
	v_add_u32_e32 v14, -4, v12
	global_load_dwordx4 v[34:37], v[34:35], off
	v_lshlrev_b64 v[40:41], 3, v[14:15]
	v_add_u32_e32 v14, -2, v12
	v_lshlrev_b64 v[38:39], 3, v[14:15]
	v_add_u32_e32 v14, 12, v17
	v_add_co_u32_e32 v17, vcc, s12, v40
	v_addc_co_u32_e32 v18, vcc, v20, v41, vcc
	v_add_co_u32_e32 v48, vcc, s12, v38
	v_addc_co_u32_e32 v49, vcc, v20, v39, vcc
	global_load_dwordx4 v[38:41], v[17:18], off
	v_lshlrev_b64 v[13:14], 3, v[14:15]
	s_waitcnt vmcnt(4)
	v_fma_f64 v[17:18], v[26:27], v[30:31], v[42:43]
	v_add_co_u32_e32 v13, vcc, s14, v13
	v_addc_co_u32_e32 v14, vcc, v21, v14, vcc
	v_fma_f64 v[30:31], v[28:29], v[30:31], v[44:45]
	global_load_dwordx4 v[26:29], v[48:49], off
	global_load_dwordx4 v[42:45], v[13:14], off
	v_cmp_ge_i32_e32 vcc, v16, v19
	s_or_b64 s[8:9], vcc, s[8:9]
	v_add_u32_e32 v12, 0x70, v12
	s_waitcnt vmcnt(5)
	v_fma_f64 v[13:14], v[8:9], v[32:33], v[17:18]
	v_fma_f64 v[17:18], v[10:11], v[32:33], v[30:31]
	global_load_dwordx4 v[8:11], v[46:47], off
	s_waitcnt vmcnt(4)
	v_fma_f64 v[13:14], v[22:23], v[34:35], v[13:14]
	v_fma_f64 v[17:18], v[24:25], v[34:35], v[17:18]
	s_waitcnt vmcnt(3)
	v_fma_f64 v[13:14], v[38:39], v[36:37], v[13:14]
	v_fma_f64 v[17:18], v[40:41], v[36:37], v[17:18]
	;; [unrolled: 3-line block ×4, first 2 shown]
	s_andn2_b64 exec, exec, s[8:9]
	s_cbranch_execnz .LBB136_9
; %bb.10:
	s_or_b64 exec, exec, s[8:9]
.LBB136_11:
	s_or_b64 exec, exec, s[6:7]
	s_cbranch_execz .LBB136_13
	s_branch .LBB136_18
.LBB136_12:
                                        ; implicit-def: $vgpr8_vgpr9
                                        ; implicit-def: $vgpr10_vgpr11
.LBB136_13:
	v_mov_b32_e32 v8, 0
	v_mov_b32_e32 v10, 0
	v_mov_b32_e32 v9, 0
	v_mov_b32_e32 v11, 0
	s_and_saveexec_b64 s[6:7], s[0:1]
	s_cbranch_execz .LBB136_17
; %bb.14:
	v_mad_u64_u32 v[12:13], s[0:1], v6, 28, 27
	v_mov_b32_e32 v8, 0
	v_mov_b32_e32 v10, 0
	;; [unrolled: 1-line block ×3, first 2 shown]
	s_mov_b64 s[0:1], 0
	v_mov_b32_e32 v18, s11
	v_mov_b32_e32 v15, 0
	;; [unrolled: 1-line block ×5, first 2 shown]
.LBB136_15:                             ; =>This Inner Loop Header: Depth=1
	v_ashrrev_i32_e32 v7, 31, v6
	v_lshlrev_b64 v[24:25], 2, v[6:7]
	v_subrev_u32_e32 v14, 27, v12
	v_lshlrev_b64 v[26:27], 3, v[14:15]
	v_add_co_u32_e32 v30, vcc, s10, v24
	v_addc_co_u32_e32 v31, vcc, v18, v25, vcc
	v_add_u32_e32 v22, -13, v12
	v_mov_b32_e32 v23, v15
	v_add_co_u32_e32 v32, vcc, s12, v26
	v_lshlrev_b64 v[34:35], 3, v[22:23]
	v_addc_co_u32_e32 v33, vcc, v20, v27, vcc
	global_load_dword v7, v[30:31], off
	global_load_dwordx4 v[22:25], v[32:33], off
	global_load_dwordx4 v[26:29], v[32:33], off offset:16
	v_mov_b32_e32 v17, v15
	v_mov_b32_e32 v13, v15
	v_lshlrev_b64 v[36:37], 3, v[12:13]
	v_add_u32_e32 v14, -12, v12
	v_add_u32_e32 v6, 4, v6
	s_waitcnt vmcnt(2)
	v_subrev_u32_e32 v7, s2, v7
	v_mul_lo_u32 v16, v7, 14
	v_lshlrev_b64 v[30:31], 3, v[16:17]
	v_add_co_u32_e32 v30, vcc, s14, v30
	v_addc_co_u32_e32 v31, vcc, v21, v31, vcc
	global_load_dwordx4 v[30:33], v[30:31], off
	s_waitcnt vmcnt(0)
	v_fma_f64 v[7:8], v[22:23], v[30:31], v[8:9]
	v_fma_f64 v[22:23], v[24:25], v[32:33], v[7:8]
	v_add_co_u32_e32 v24, vcc, s12, v34
	v_addc_co_u32_e32 v25, vcc, v20, v35, vcc
	v_lshlrev_b64 v[7:8], 3, v[14:15]
	v_add_co_u32_e32 v34, vcc, s12, v36
	v_addc_co_u32_e32 v35, vcc, v20, v37, vcc
	v_add_co_u32_e32 v7, vcc, s12, v7
	v_addc_co_u32_e32 v8, vcc, v20, v8, vcc
	global_load_dwordx2 v[38:39], v[24:25], off
	global_load_dwordx2 v[40:41], v[7:8], off
	v_add_u32_e32 v14, 2, v16
	v_lshlrev_b64 v[13:14], 3, v[14:15]
	v_add_co_u32_e32 v36, vcc, s14, v13
	v_addc_co_u32_e32 v37, vcc, v21, v14, vcc
	v_add_u32_e32 v14, -11, v12
	v_lshlrev_b64 v[24:25], 3, v[14:15]
	v_add_u32_e32 v14, -10, v12
	v_add_co_u32_e32 v24, vcc, s12, v24
	v_addc_co_u32_e32 v25, vcc, v20, v25, vcc
	s_waitcnt vmcnt(1)
	v_fma_f64 v[7:8], v[38:39], v[30:31], v[10:11]
	s_waitcnt vmcnt(0)
	v_fma_f64 v[30:31], v[40:41], v[32:33], v[7:8]
	global_load_dwordx4 v[7:10], v[36:37], off
	v_lshlrev_b64 v[32:33], 3, v[14:15]
	v_subrev_u32_e32 v14, 23, v12
	v_add_co_u32_e32 v32, vcc, s12, v32
	v_addc_co_u32_e32 v33, vcc, v20, v33, vcc
	global_load_dwordx2 v[38:39], v[24:25], off
	global_load_dwordx2 v[40:41], v[32:33], off
	v_lshlrev_b64 v[36:37], 3, v[14:15]
	v_add_u32_e32 v14, 4, v16
	s_waitcnt vmcnt(2)
	v_fma_f64 v[22:23], v[26:27], v[7:8], v[22:23]
	v_lshlrev_b64 v[26:27], 3, v[14:15]
	v_add_u32_e32 v14, -9, v12
	v_lshlrev_b64 v[13:14], 3, v[14:15]
	s_waitcnt vmcnt(1)
	v_fma_f64 v[7:8], v[38:39], v[7:8], v[30:31]
	v_fma_f64 v[22:23], v[28:29], v[9:10], v[22:23]
	v_add_co_u32_e32 v28, vcc, s12, v36
	v_addc_co_u32_e32 v29, vcc, v20, v37, vcc
	v_add_co_u32_e32 v26, vcc, s14, v26
	v_addc_co_u32_e32 v27, vcc, v21, v27, vcc
	;; [unrolled: 2-line block ×3, first 2 shown]
	v_subrev_u32_e32 v14, 22, v12
	global_load_dwordx2 v[24:25], v[28:29], off
	v_lshlrev_b64 v[28:29], 3, v[14:15]
	v_add_u32_e32 v14, -8, v12
	s_waitcnt vmcnt(1)
	v_fma_f64 v[30:31], v[40:41], v[9:10], v[7:8]
	v_lshlrev_b64 v[7:8], 3, v[14:15]
	v_add_co_u32_e32 v28, vcc, s12, v28
	v_subrev_u32_e32 v14, 21, v12
	v_addc_co_u32_e32 v29, vcc, v20, v29, vcc
	v_lshlrev_b64 v[9:10], 3, v[14:15]
	v_add_co_u32_e32 v32, vcc, s12, v7
	v_add_u32_e32 v14, 6, v16
	v_addc_co_u32_e32 v33, vcc, v20, v8, vcc
	v_add_co_u32_e32 v38, vcc, s12, v9
	v_lshlrev_b64 v[7:8], 3, v[14:15]
	v_addc_co_u32_e32 v39, vcc, v20, v10, vcc
	v_add_co_u32_e32 v40, vcc, s14, v7
	v_add_u32_e32 v14, -7, v12
	v_addc_co_u32_e32 v41, vcc, v21, v8, vcc
	v_lshlrev_b64 v[7:8], 3, v[14:15]
	v_add_co_u32_e32 v42, vcc, s12, v7
	v_addc_co_u32_e32 v43, vcc, v20, v8, vcc
	global_load_dwordx4 v[7:10], v[26:27], off
	s_waitcnt vmcnt(0)
	v_fma_f64 v[22:23], v[24:25], v[7:8], v[22:23]
	global_load_dwordx2 v[13:14], v[36:37], off
	global_load_dwordx2 v[24:25], v[28:29], off
	;; [unrolled: 1-line block ×4, first 2 shown]
	s_waitcnt vmcnt(3)
	v_fma_f64 v[7:8], v[13:14], v[7:8], v[30:31]
	v_subrev_u32_e32 v14, 20, v12
	s_waitcnt vmcnt(2)
	v_fma_f64 v[22:23], v[24:25], v[9:10], v[22:23]
	v_lshlrev_b64 v[24:25], 3, v[14:15]
	v_add_u32_e32 v14, -6, v12
	v_add_co_u32_e32 v24, vcc, s12, v24
	v_addc_co_u32_e32 v25, vcc, v20, v25, vcc
	s_waitcnt vmcnt(1)
	v_fma_f64 v[26:27], v[26:27], v[9:10], v[7:8]
	v_lshlrev_b64 v[7:8], 3, v[14:15]
	v_subrev_u32_e32 v14, 19, v12
	v_lshlrev_b64 v[9:10], 3, v[14:15]
	v_add_co_u32_e32 v28, vcc, s12, v7
	v_add_u32_e32 v14, 8, v16
	v_addc_co_u32_e32 v29, vcc, v20, v8, vcc
	v_add_co_u32_e32 v30, vcc, s12, v9
	v_lshlrev_b64 v[7:8], 3, v[14:15]
	v_addc_co_u32_e32 v31, vcc, v20, v10, vcc
	v_add_co_u32_e32 v32, vcc, s14, v7
	v_add_u32_e32 v14, -5, v12
	v_addc_co_u32_e32 v33, vcc, v21, v8, vcc
	v_lshlrev_b64 v[7:8], 3, v[14:15]
	v_add_co_u32_e32 v36, vcc, s12, v7
	v_addc_co_u32_e32 v37, vcc, v20, v8, vcc
	global_load_dwordx4 v[7:10], v[40:41], off
	s_waitcnt vmcnt(0)
	v_fma_f64 v[22:23], v[44:45], v[7:8], v[22:23]
	global_load_dwordx2 v[13:14], v[42:43], off
	global_load_dwordx2 v[38:39], v[24:25], off
	global_load_dwordx2 v[40:41], v[28:29], off
	global_load_dwordx2 v[44:45], v[30:31], off
	s_waitcnt vmcnt(3)
	v_fma_f64 v[7:8], v[13:14], v[7:8], v[26:27]
	v_subrev_u32_e32 v14, 18, v12
	v_lshlrev_b64 v[24:25], 3, v[14:15]
	v_add_u32_e32 v14, -4, v12
	v_add_co_u32_e32 v24, vcc, s12, v24
	v_addc_co_u32_e32 v25, vcc, v20, v25, vcc
	s_waitcnt vmcnt(1)
	v_fma_f64 v[26:27], v[40:41], v[9:10], v[7:8]
	v_lshlrev_b64 v[7:8], 3, v[14:15]
	v_subrev_u32_e32 v14, 17, v12
	v_fma_f64 v[22:23], v[38:39], v[9:10], v[22:23]
	v_lshlrev_b64 v[9:10], 3, v[14:15]
	v_add_co_u32_e32 v28, vcc, s12, v7
	v_add_u32_e32 v14, 10, v16
	v_addc_co_u32_e32 v29, vcc, v20, v8, vcc
	v_add_co_u32_e32 v30, vcc, s12, v9
	v_lshlrev_b64 v[7:8], 3, v[14:15]
	v_addc_co_u32_e32 v31, vcc, v20, v10, vcc
	v_add_co_u32_e32 v38, vcc, s14, v7
	v_add_u32_e32 v14, -3, v12
	v_addc_co_u32_e32 v39, vcc, v21, v8, vcc
	v_lshlrev_b64 v[7:8], 3, v[14:15]
	v_add_co_u32_e32 v40, vcc, s12, v7
	v_addc_co_u32_e32 v41, vcc, v20, v8, vcc
	global_load_dwordx4 v[7:10], v[32:33], off
	s_waitcnt vmcnt(0)
	v_fma_f64 v[22:23], v[44:45], v[7:8], v[22:23]
	global_load_dwordx2 v[13:14], v[36:37], off
	global_load_dwordx2 v[32:33], v[24:25], off
	;; [unrolled: 1-line block ×4, first 2 shown]
	s_waitcnt vmcnt(3)
	v_fma_f64 v[7:8], v[13:14], v[7:8], v[26:27]
	v_add_u32_e32 v14, -16, v12
	v_lshlrev_b64 v[24:25], 3, v[14:15]
	v_add_u32_e32 v14, -2, v12
	v_add_co_u32_e32 v24, vcc, s12, v24
	v_addc_co_u32_e32 v25, vcc, v20, v25, vcc
	s_waitcnt vmcnt(1)
	v_fma_f64 v[26:27], v[42:43], v[9:10], v[7:8]
	v_lshlrev_b64 v[7:8], 3, v[14:15]
	v_add_u32_e32 v14, -15, v12
	v_fma_f64 v[22:23], v[32:33], v[9:10], v[22:23]
	v_lshlrev_b64 v[9:10], 3, v[14:15]
	v_add_u32_e32 v14, 12, v16
	v_add_co_u32_e32 v16, vcc, s12, v7
	v_addc_co_u32_e32 v17, vcc, v20, v8, vcc
	v_lshlrev_b64 v[7:8], 3, v[14:15]
	v_add_co_u32_e32 v28, vcc, s12, v9
	v_addc_co_u32_e32 v29, vcc, v20, v10, vcc
	v_add_u32_e32 v14, -1, v12
	v_add_co_u32_e32 v30, vcc, s14, v7
	v_addc_co_u32_e32 v31, vcc, v21, v8, vcc
	v_lshlrev_b64 v[7:8], 3, v[14:15]
	v_add_u32_e32 v14, -14, v12
	v_add_co_u32_e32 v32, vcc, s12, v7
	v_addc_co_u32_e32 v33, vcc, v20, v8, vcc
	v_lshlrev_b64 v[7:8], 3, v[14:15]
	v_add_u32_e32 v12, 0x70, v12
	v_add_co_u32_e32 v13, vcc, s12, v7
	v_addc_co_u32_e32 v14, vcc, v20, v8, vcc
	global_load_dwordx4 v[7:10], v[38:39], off
	v_cmp_ge_i32_e32 vcc, v6, v19
	s_or_b64 s[0:1], vcc, s[0:1]
	s_waitcnt vmcnt(0)
	v_fma_f64 v[22:23], v[44:45], v[7:8], v[22:23]
	global_load_dwordx2 v[36:37], v[40:41], off
	global_load_dwordx2 v[38:39], v[24:25], off
	;; [unrolled: 1-line block ×4, first 2 shown]
	s_waitcnt vmcnt(3)
	v_fma_f64 v[7:8], v[36:37], v[7:8], v[26:27]
	s_waitcnt vmcnt(2)
	v_fma_f64 v[16:17], v[38:39], v[9:10], v[22:23]
	global_load_dwordx4 v[22:25], v[30:31], off
	global_load_dwordx2 v[26:27], v[32:33], off
	global_load_dwordx2 v[28:29], v[13:14], off
	;; [unrolled: 1-line block ×3, first 2 shown]
	s_waitcnt vmcnt(5)
	v_fma_f64 v[7:8], v[42:43], v[9:10], v[7:8]
	s_waitcnt vmcnt(3)
	v_fma_f64 v[9:10], v[44:45], v[22:23], v[16:17]
	;; [unrolled: 2-line block ×5, first 2 shown]
	s_andn2_b64 exec, exec, s[0:1]
	s_cbranch_execnz .LBB136_15
; %bb.16:
	s_or_b64 exec, exec, s[0:1]
.LBB136_17:
	s_or_b64 exec, exec, s[6:7]
.LBB136_18:
	v_mov_b32_dpp v6, v8 row_shr:1 row_mask:0xf bank_mask:0xf
	v_mov_b32_dpp v7, v9 row_shr:1 row_mask:0xf bank_mask:0xf
	v_add_f64 v[6:7], v[8:9], v[6:7]
	v_mov_b32_dpp v8, v10 row_shr:1 row_mask:0xf bank_mask:0xf
	v_mov_b32_dpp v9, v11 row_shr:1 row_mask:0xf bank_mask:0xf
	v_add_f64 v[10:11], v[10:11], v[8:9]
	v_cmp_eq_u32_e32 vcc, 3, v0
	v_mov_b32_dpp v8, v6 row_shr:2 row_mask:0xf bank_mask:0xf
	v_mov_b32_dpp v9, v7 row_shr:2 row_mask:0xf bank_mask:0xf
	v_mov_b32_dpp v12, v10 row_shr:2 row_mask:0xf bank_mask:0xf
	v_mov_b32_dpp v13, v11 row_shr:2 row_mask:0xf bank_mask:0xf
	s_and_b64 exec, exec, vcc
	s_cbranch_execz .LBB136_23
; %bb.19:
	v_add_f64 v[8:9], v[6:7], v[8:9]
	v_add_f64 v[6:7], v[10:11], v[12:13]
	v_cmp_eq_f64_e32 vcc, 0, v[3:4]
	s_load_dwordx2 s[0:1], s[4:5], 0x38
	s_and_saveexec_b64 s[2:3], vcc
	s_xor_b64 s[2:3], exec, s[2:3]
	s_cbranch_execz .LBB136_21
; %bb.20:
	v_mul_f64 v[3:4], v[1:2], v[8:9]
	v_lshlrev_b32_e32 v0, 1, v5
	v_mul_f64 v[5:6], v[1:2], v[6:7]
	v_ashrrev_i32_e32 v1, 31, v0
	v_lshlrev_b64 v[0:1], 3, v[0:1]
	s_waitcnt lgkmcnt(0)
	v_mov_b32_e32 v2, s1
	v_add_co_u32_e32 v0, vcc, s0, v0
	v_addc_co_u32_e32 v1, vcc, v2, v1, vcc
	global_store_dwordx4 v[0:1], v[3:6], off
                                        ; implicit-def: $vgpr5
                                        ; implicit-def: $vgpr1_vgpr2
                                        ; implicit-def: $vgpr8_vgpr9
                                        ; implicit-def: $vgpr3_vgpr4
                                        ; implicit-def: $vgpr6_vgpr7
.LBB136_21:
	s_andn2_saveexec_b64 s[2:3], s[2:3]
	s_cbranch_execz .LBB136_23
; %bb.22:
	v_lshlrev_b32_e32 v10, 1, v5
	v_ashrrev_i32_e32 v11, 31, v10
	v_lshlrev_b64 v[10:11], 3, v[10:11]
	s_waitcnt lgkmcnt(0)
	v_mov_b32_e32 v0, s1
	v_add_co_u32_e32 v14, vcc, s0, v10
	v_addc_co_u32_e32 v15, vcc, v0, v11, vcc
	global_load_dwordx4 v[10:13], v[14:15], off
	v_mul_f64 v[8:9], v[1:2], v[8:9]
	v_mul_f64 v[5:6], v[1:2], v[6:7]
	s_waitcnt vmcnt(0)
	v_fma_f64 v[0:1], v[3:4], v[10:11], v[8:9]
	v_fma_f64 v[2:3], v[3:4], v[12:13], v[5:6]
	global_store_dwordx4 v[14:15], v[0:3], off
.LBB136_23:
	s_endpgm
	.section	.rodata,"a",@progbits
	.p2align	6, 0x0
	.amdhsa_kernel _ZN9rocsparseL19gebsrmvn_2xn_kernelILj128ELj14ELj4EdEEvi20rocsparse_direction_NS_24const_host_device_scalarIT2_EEPKiS6_PKS3_S8_S4_PS3_21rocsparse_index_base_b
		.amdhsa_group_segment_fixed_size 0
		.amdhsa_private_segment_fixed_size 0
		.amdhsa_kernarg_size 72
		.amdhsa_user_sgpr_count 6
		.amdhsa_user_sgpr_private_segment_buffer 1
		.amdhsa_user_sgpr_dispatch_ptr 0
		.amdhsa_user_sgpr_queue_ptr 0
		.amdhsa_user_sgpr_kernarg_segment_ptr 1
		.amdhsa_user_sgpr_dispatch_id 0
		.amdhsa_user_sgpr_flat_scratch_init 0
		.amdhsa_user_sgpr_private_segment_size 0
		.amdhsa_uses_dynamic_stack 0
		.amdhsa_system_sgpr_private_segment_wavefront_offset 0
		.amdhsa_system_sgpr_workgroup_id_x 1
		.amdhsa_system_sgpr_workgroup_id_y 0
		.amdhsa_system_sgpr_workgroup_id_z 0
		.amdhsa_system_sgpr_workgroup_info 0
		.amdhsa_system_vgpr_workitem_id 0
		.amdhsa_next_free_vgpr 50
		.amdhsa_next_free_sgpr 16
		.amdhsa_reserve_vcc 1
		.amdhsa_reserve_flat_scratch 0
		.amdhsa_float_round_mode_32 0
		.amdhsa_float_round_mode_16_64 0
		.amdhsa_float_denorm_mode_32 3
		.amdhsa_float_denorm_mode_16_64 3
		.amdhsa_dx10_clamp 1
		.amdhsa_ieee_mode 1
		.amdhsa_fp16_overflow 0
		.amdhsa_exception_fp_ieee_invalid_op 0
		.amdhsa_exception_fp_denorm_src 0
		.amdhsa_exception_fp_ieee_div_zero 0
		.amdhsa_exception_fp_ieee_overflow 0
		.amdhsa_exception_fp_ieee_underflow 0
		.amdhsa_exception_fp_ieee_inexact 0
		.amdhsa_exception_int_div_zero 0
	.end_amdhsa_kernel
	.section	.text._ZN9rocsparseL19gebsrmvn_2xn_kernelILj128ELj14ELj4EdEEvi20rocsparse_direction_NS_24const_host_device_scalarIT2_EEPKiS6_PKS3_S8_S4_PS3_21rocsparse_index_base_b,"axG",@progbits,_ZN9rocsparseL19gebsrmvn_2xn_kernelILj128ELj14ELj4EdEEvi20rocsparse_direction_NS_24const_host_device_scalarIT2_EEPKiS6_PKS3_S8_S4_PS3_21rocsparse_index_base_b,comdat
.Lfunc_end136:
	.size	_ZN9rocsparseL19gebsrmvn_2xn_kernelILj128ELj14ELj4EdEEvi20rocsparse_direction_NS_24const_host_device_scalarIT2_EEPKiS6_PKS3_S8_S4_PS3_21rocsparse_index_base_b, .Lfunc_end136-_ZN9rocsparseL19gebsrmvn_2xn_kernelILj128ELj14ELj4EdEEvi20rocsparse_direction_NS_24const_host_device_scalarIT2_EEPKiS6_PKS3_S8_S4_PS3_21rocsparse_index_base_b
                                        ; -- End function
	.set _ZN9rocsparseL19gebsrmvn_2xn_kernelILj128ELj14ELj4EdEEvi20rocsparse_direction_NS_24const_host_device_scalarIT2_EEPKiS6_PKS3_S8_S4_PS3_21rocsparse_index_base_b.num_vgpr, 50
	.set _ZN9rocsparseL19gebsrmvn_2xn_kernelILj128ELj14ELj4EdEEvi20rocsparse_direction_NS_24const_host_device_scalarIT2_EEPKiS6_PKS3_S8_S4_PS3_21rocsparse_index_base_b.num_agpr, 0
	.set _ZN9rocsparseL19gebsrmvn_2xn_kernelILj128ELj14ELj4EdEEvi20rocsparse_direction_NS_24const_host_device_scalarIT2_EEPKiS6_PKS3_S8_S4_PS3_21rocsparse_index_base_b.numbered_sgpr, 16
	.set _ZN9rocsparseL19gebsrmvn_2xn_kernelILj128ELj14ELj4EdEEvi20rocsparse_direction_NS_24const_host_device_scalarIT2_EEPKiS6_PKS3_S8_S4_PS3_21rocsparse_index_base_b.num_named_barrier, 0
	.set _ZN9rocsparseL19gebsrmvn_2xn_kernelILj128ELj14ELj4EdEEvi20rocsparse_direction_NS_24const_host_device_scalarIT2_EEPKiS6_PKS3_S8_S4_PS3_21rocsparse_index_base_b.private_seg_size, 0
	.set _ZN9rocsparseL19gebsrmvn_2xn_kernelILj128ELj14ELj4EdEEvi20rocsparse_direction_NS_24const_host_device_scalarIT2_EEPKiS6_PKS3_S8_S4_PS3_21rocsparse_index_base_b.uses_vcc, 1
	.set _ZN9rocsparseL19gebsrmvn_2xn_kernelILj128ELj14ELj4EdEEvi20rocsparse_direction_NS_24const_host_device_scalarIT2_EEPKiS6_PKS3_S8_S4_PS3_21rocsparse_index_base_b.uses_flat_scratch, 0
	.set _ZN9rocsparseL19gebsrmvn_2xn_kernelILj128ELj14ELj4EdEEvi20rocsparse_direction_NS_24const_host_device_scalarIT2_EEPKiS6_PKS3_S8_S4_PS3_21rocsparse_index_base_b.has_dyn_sized_stack, 0
	.set _ZN9rocsparseL19gebsrmvn_2xn_kernelILj128ELj14ELj4EdEEvi20rocsparse_direction_NS_24const_host_device_scalarIT2_EEPKiS6_PKS3_S8_S4_PS3_21rocsparse_index_base_b.has_recursion, 0
	.set _ZN9rocsparseL19gebsrmvn_2xn_kernelILj128ELj14ELj4EdEEvi20rocsparse_direction_NS_24const_host_device_scalarIT2_EEPKiS6_PKS3_S8_S4_PS3_21rocsparse_index_base_b.has_indirect_call, 0
	.section	.AMDGPU.csdata,"",@progbits
; Kernel info:
; codeLenInByte = 2912
; TotalNumSgprs: 20
; NumVgprs: 50
; ScratchSize: 0
; MemoryBound: 1
; FloatMode: 240
; IeeeMode: 1
; LDSByteSize: 0 bytes/workgroup (compile time only)
; SGPRBlocks: 2
; VGPRBlocks: 12
; NumSGPRsForWavesPerEU: 20
; NumVGPRsForWavesPerEU: 50
; Occupancy: 4
; WaveLimiterHint : 1
; COMPUTE_PGM_RSRC2:SCRATCH_EN: 0
; COMPUTE_PGM_RSRC2:USER_SGPR: 6
; COMPUTE_PGM_RSRC2:TRAP_HANDLER: 0
; COMPUTE_PGM_RSRC2:TGID_X_EN: 1
; COMPUTE_PGM_RSRC2:TGID_Y_EN: 0
; COMPUTE_PGM_RSRC2:TGID_Z_EN: 0
; COMPUTE_PGM_RSRC2:TIDIG_COMP_CNT: 0
	.section	.text._ZN9rocsparseL19gebsrmvn_2xn_kernelILj128ELj14ELj8EdEEvi20rocsparse_direction_NS_24const_host_device_scalarIT2_EEPKiS6_PKS3_S8_S4_PS3_21rocsparse_index_base_b,"axG",@progbits,_ZN9rocsparseL19gebsrmvn_2xn_kernelILj128ELj14ELj8EdEEvi20rocsparse_direction_NS_24const_host_device_scalarIT2_EEPKiS6_PKS3_S8_S4_PS3_21rocsparse_index_base_b,comdat
	.globl	_ZN9rocsparseL19gebsrmvn_2xn_kernelILj128ELj14ELj8EdEEvi20rocsparse_direction_NS_24const_host_device_scalarIT2_EEPKiS6_PKS3_S8_S4_PS3_21rocsparse_index_base_b ; -- Begin function _ZN9rocsparseL19gebsrmvn_2xn_kernelILj128ELj14ELj8EdEEvi20rocsparse_direction_NS_24const_host_device_scalarIT2_EEPKiS6_PKS3_S8_S4_PS3_21rocsparse_index_base_b
	.p2align	8
	.type	_ZN9rocsparseL19gebsrmvn_2xn_kernelILj128ELj14ELj8EdEEvi20rocsparse_direction_NS_24const_host_device_scalarIT2_EEPKiS6_PKS3_S8_S4_PS3_21rocsparse_index_base_b,@function
_ZN9rocsparseL19gebsrmvn_2xn_kernelILj128ELj14ELj8EdEEvi20rocsparse_direction_NS_24const_host_device_scalarIT2_EEPKiS6_PKS3_S8_S4_PS3_21rocsparse_index_base_b: ; @_ZN9rocsparseL19gebsrmvn_2xn_kernelILj128ELj14ELj8EdEEvi20rocsparse_direction_NS_24const_host_device_scalarIT2_EEPKiS6_PKS3_S8_S4_PS3_21rocsparse_index_base_b
; %bb.0:
	s_load_dwordx2 s[2:3], s[4:5], 0x40
	s_load_dwordx2 s[10:11], s[4:5], 0x8
	;; [unrolled: 1-line block ×3, first 2 shown]
	s_waitcnt lgkmcnt(0)
	s_bitcmp1_b32 s3, 0
	s_cselect_b64 s[12:13], -1, 0
	v_mov_b32_e32 v1, s10
	s_xor_b64 s[8:9], s[12:13], -1
	s_and_b64 vcc, exec, s[12:13]
	v_mov_b32_e32 v2, s11
	s_cbranch_vccnz .LBB137_2
; %bb.1:
	v_mov_b32_e32 v1, s10
	v_mov_b32_e32 v2, s11
	flat_load_dwordx2 v[1:2], v[1:2]
.LBB137_2:
	v_mov_b32_e32 v4, s1
	s_andn2_b64 vcc, exec, s[8:9]
	v_mov_b32_e32 v3, s0
	s_cbranch_vccnz .LBB137_4
; %bb.3:
	v_mov_b32_e32 v4, s1
	v_mov_b32_e32 v3, s0
	flat_load_dwordx2 v[3:4], v[3:4]
.LBB137_4:
	s_waitcnt vmcnt(0) lgkmcnt(0)
	v_cmp_neq_f64_e32 vcc, 0, v[1:2]
	v_cmp_neq_f64_e64 s[0:1], 1.0, v[3:4]
	s_or_b64 s[0:1], vcc, s[0:1]
	s_and_saveexec_b64 s[8:9], s[0:1]
	s_cbranch_execz .LBB137_23
; %bb.5:
	s_load_dwordx2 s[0:1], s[4:5], 0x0
	v_lshrrev_b32_e32 v5, 3, v0
	v_lshl_or_b32 v5, s6, 4, v5
	s_waitcnt lgkmcnt(0)
	v_cmp_gt_i32_e32 vcc, s0, v5
	s_and_b64 exec, exec, vcc
	s_cbranch_execz .LBB137_23
; %bb.6:
	s_load_dwordx8 s[8:15], s[4:5], 0x10
	v_ashrrev_i32_e32 v6, 31, v5
	v_lshlrev_b64 v[6:7], 2, v[5:6]
	v_and_b32_e32 v0, 7, v0
	s_cmp_lg_u32 s1, 0
	s_waitcnt lgkmcnt(0)
	v_mov_b32_e32 v8, s9
	v_add_co_u32_e32 v6, vcc, s8, v6
	v_addc_co_u32_e32 v7, vcc, v8, v7, vcc
	global_load_dwordx2 v[6:7], v[6:7], off
	s_waitcnt vmcnt(0)
	v_subrev_u32_e32 v6, s2, v6
	v_subrev_u32_e32 v19, s2, v7
	v_add_u32_e32 v6, v6, v0
	v_cmp_lt_i32_e64 s[0:1], v6, v19
	s_cbranch_scc0 .LBB137_12
; %bb.7:
	v_mov_b32_e32 v10, 0
	v_mov_b32_e32 v8, 0
	;; [unrolled: 1-line block ×4, first 2 shown]
	s_and_saveexec_b64 s[6:7], s[0:1]
	s_cbranch_execz .LBB137_11
; %bb.8:
	v_mad_u64_u32 v[12:13], s[8:9], v6, 28, 26
	v_mov_b32_e32 v10, 0
	v_mov_b32_e32 v8, 0
	;; [unrolled: 1-line block ×3, first 2 shown]
	s_mov_b64 s[8:9], 0
	v_mov_b32_e32 v7, s11
	v_mov_b32_e32 v15, 0
	;; [unrolled: 1-line block ×6, first 2 shown]
.LBB137_9:                              ; =>This Inner Loop Header: Depth=1
	v_ashrrev_i32_e32 v17, 31, v16
	v_lshlrev_b64 v[22:23], 2, v[16:17]
	v_subrev_u32_e32 v14, 26, v12
	v_lshlrev_b64 v[24:25], 3, v[14:15]
	v_add_co_u32_e32 v30, vcc, s10, v22
	v_mov_b32_e32 v13, v15
	v_addc_co_u32_e32 v31, vcc, v7, v23, vcc
	v_lshlrev_b64 v[26:27], 3, v[12:13]
	v_add_co_u32_e32 v32, vcc, s12, v24
	v_addc_co_u32_e32 v33, vcc, v20, v25, vcc
	v_add_co_u32_e32 v46, vcc, s12, v26
	v_addc_co_u32_e32 v47, vcc, v20, v27, vcc
	global_load_dword v17, v[30:31], off
	global_load_dwordx4 v[22:25], v[32:33], off
	global_load_dwordx4 v[26:29], v[32:33], off offset:16
	v_subrev_u32_e32 v14, 22, v12
	v_lshlrev_b64 v[13:14], 3, v[14:15]
	v_mov_b32_e32 v18, v15
	v_add_co_u32_e32 v13, vcc, s12, v13
	v_addc_co_u32_e32 v14, vcc, v20, v14, vcc
	global_load_dwordx4 v[30:33], v[13:14], off
	v_add_u32_e32 v16, 8, v16
	s_waitcnt vmcnt(3)
	v_subrev_u32_e32 v13, s2, v17
	v_mul_lo_u32 v17, v13, 14
	v_lshlrev_b64 v[34:35], 3, v[17:18]
	v_add_u32_e32 v14, 2, v17
	v_add_co_u32_e32 v34, vcc, s14, v34
	v_addc_co_u32_e32 v35, vcc, v21, v35, vcc
	global_load_dwordx4 v[34:37], v[34:35], off
	v_lshlrev_b64 v[38:39], 3, v[14:15]
	v_subrev_u32_e32 v14, 20, v12
	v_add_co_u32_e32 v38, vcc, s14, v38
	v_addc_co_u32_e32 v39, vcc, v21, v39, vcc
	global_load_dwordx4 v[38:41], v[38:39], off
	v_lshlrev_b64 v[42:43], 3, v[14:15]
	v_subrev_u32_e32 v14, 18, v12
	v_add_co_u32_e32 v42, vcc, s12, v42
	v_addc_co_u32_e32 v43, vcc, v20, v43, vcc
	v_lshlrev_b64 v[44:45], 3, v[14:15]
	v_add_u32_e32 v14, 4, v17
	v_lshlrev_b64 v[48:49], 3, v[14:15]
	v_add_u32_e32 v14, -16, v12
	s_waitcnt vmcnt(1)
	v_fma_f64 v[22:23], v[22:23], v[34:35], v[10:11]
	v_fma_f64 v[24:25], v[24:25], v[34:35], v[8:9]
	global_load_dwordx4 v[8:11], v[42:43], off
	v_add_co_u32_e32 v34, vcc, s12, v44
	v_addc_co_u32_e32 v35, vcc, v20, v45, vcc
	v_fma_f64 v[44:45], v[26:27], v[36:37], v[22:23]
	v_add_co_u32_e32 v26, vcc, s14, v48
	v_addc_co_u32_e32 v27, vcc, v21, v49, vcc
	v_fma_f64 v[36:37], v[28:29], v[36:37], v[24:25]
	global_load_dwordx4 v[22:25], v[34:35], off
	v_lshlrev_b64 v[42:43], 3, v[14:15]
	global_load_dwordx4 v[26:29], v[26:27], off
	v_add_co_u32_e32 v42, vcc, s12, v42
	v_addc_co_u32_e32 v43, vcc, v20, v43, vcc
	s_waitcnt vmcnt(3)
	v_fma_f64 v[44:45], v[30:31], v[38:39], v[44:45]
	v_fma_f64 v[36:37], v[32:33], v[38:39], v[36:37]
	global_load_dwordx4 v[30:33], v[42:43], off
	v_add_u32_e32 v14, -14, v12
	v_lshlrev_b64 v[34:35], 3, v[14:15]
	v_add_u32_e32 v14, 6, v17
	v_lshlrev_b64 v[48:49], 3, v[14:15]
	v_add_co_u32_e32 v34, vcc, s12, v34
	v_addc_co_u32_e32 v35, vcc, v20, v35, vcc
	v_add_u32_e32 v14, -12, v12
	v_lshlrev_b64 v[38:39], 3, v[14:15]
	v_add_u32_e32 v14, -10, v12
	s_waitcnt vmcnt(3)
	v_fma_f64 v[42:43], v[8:9], v[40:41], v[44:45]
	v_fma_f64 v[40:41], v[10:11], v[40:41], v[36:37]
	global_load_dwordx4 v[8:11], v[34:35], off
	v_add_co_u32_e32 v34, vcc, s14, v48
	v_addc_co_u32_e32 v35, vcc, v21, v49, vcc
	global_load_dwordx4 v[34:37], v[34:35], off
	v_add_co_u32_e32 v38, vcc, s12, v38
	v_addc_co_u32_e32 v39, vcc, v20, v39, vcc
	v_lshlrev_b64 v[44:45], 3, v[14:15]
	v_add_u32_e32 v14, 8, v17
	s_waitcnt vmcnt(3)
	v_fma_f64 v[42:43], v[22:23], v[26:27], v[42:43]
	v_fma_f64 v[26:27], v[24:25], v[26:27], v[40:41]
	global_load_dwordx4 v[22:25], v[38:39], off
	v_lshlrev_b64 v[48:49], 3, v[14:15]
	v_add_co_u32_e32 v38, vcc, s12, v44
	v_addc_co_u32_e32 v39, vcc, v20, v45, vcc
	s_waitcnt vmcnt(3)
	v_fma_f64 v[42:43], v[30:31], v[28:29], v[42:43]
	v_add_co_u32_e32 v30, vcc, s14, v48
	v_addc_co_u32_e32 v31, vcc, v21, v49, vcc
	v_fma_f64 v[44:45], v[32:33], v[28:29], v[26:27]
	global_load_dwordx4 v[26:29], v[38:39], off
	v_add_u32_e32 v14, -8, v12
	global_load_dwordx4 v[30:33], v[30:31], off
	v_lshlrev_b64 v[40:41], 3, v[14:15]
	v_add_u32_e32 v14, -6, v12
	v_add_co_u32_e32 v40, vcc, s12, v40
	v_addc_co_u32_e32 v41, vcc, v20, v41, vcc
	s_waitcnt vmcnt(3)
	v_fma_f64 v[42:43], v[8:9], v[34:35], v[42:43]
	v_fma_f64 v[34:35], v[10:11], v[34:35], v[44:45]
	global_load_dwordx4 v[8:11], v[40:41], off
	v_lshlrev_b64 v[38:39], 3, v[14:15]
	v_add_u32_e32 v14, 10, v17
	v_lshlrev_b64 v[48:49], 3, v[14:15]
	v_add_co_u32_e32 v38, vcc, s12, v38
	v_addc_co_u32_e32 v39, vcc, v20, v39, vcc
	s_waitcnt vmcnt(3)
	v_fma_f64 v[44:45], v[24:25], v[36:37], v[34:35]
	v_add_co_u32_e32 v34, vcc, s14, v48
	v_addc_co_u32_e32 v35, vcc, v21, v49, vcc
	v_fma_f64 v[42:43], v[22:23], v[36:37], v[42:43]
	global_load_dwordx4 v[22:25], v[38:39], off
	v_add_u32_e32 v14, -4, v12
	global_load_dwordx4 v[34:37], v[34:35], off
	v_lshlrev_b64 v[40:41], 3, v[14:15]
	v_add_u32_e32 v14, -2, v12
	v_lshlrev_b64 v[38:39], 3, v[14:15]
	v_add_u32_e32 v14, 12, v17
	v_add_co_u32_e32 v17, vcc, s12, v40
	v_addc_co_u32_e32 v18, vcc, v20, v41, vcc
	v_add_co_u32_e32 v48, vcc, s12, v38
	v_addc_co_u32_e32 v49, vcc, v20, v39, vcc
	global_load_dwordx4 v[38:41], v[17:18], off
	v_lshlrev_b64 v[13:14], 3, v[14:15]
	s_waitcnt vmcnt(4)
	v_fma_f64 v[17:18], v[26:27], v[30:31], v[42:43]
	v_add_co_u32_e32 v13, vcc, s14, v13
	v_addc_co_u32_e32 v14, vcc, v21, v14, vcc
	v_fma_f64 v[30:31], v[28:29], v[30:31], v[44:45]
	global_load_dwordx4 v[26:29], v[48:49], off
	global_load_dwordx4 v[42:45], v[13:14], off
	v_cmp_ge_i32_e32 vcc, v16, v19
	s_or_b64 s[8:9], vcc, s[8:9]
	v_add_u32_e32 v12, 0xe0, v12
	s_waitcnt vmcnt(5)
	v_fma_f64 v[8:9], v[8:9], v[32:33], v[17:18]
	v_fma_f64 v[10:11], v[10:11], v[32:33], v[30:31]
	global_load_dwordx4 v[30:33], v[46:47], off
	s_waitcnt vmcnt(4)
	v_fma_f64 v[8:9], v[22:23], v[34:35], v[8:9]
	v_fma_f64 v[10:11], v[24:25], v[34:35], v[10:11]
	s_waitcnt vmcnt(3)
	v_fma_f64 v[8:9], v[38:39], v[36:37], v[8:9]
	v_fma_f64 v[10:11], v[40:41], v[36:37], v[10:11]
	;; [unrolled: 3-line block ×4, first 2 shown]
	s_andn2_b64 exec, exec, s[8:9]
	s_cbranch_execnz .LBB137_9
; %bb.10:
	s_or_b64 exec, exec, s[8:9]
.LBB137_11:
	s_or_b64 exec, exec, s[6:7]
	s_cbranch_execz .LBB137_13
	s_branch .LBB137_18
.LBB137_12:
                                        ; implicit-def: $vgpr10_vgpr11
                                        ; implicit-def: $vgpr8_vgpr9
.LBB137_13:
	v_mov_b32_e32 v10, 0
	v_mov_b32_e32 v8, 0
	;; [unrolled: 1-line block ×4, first 2 shown]
	s_and_saveexec_b64 s[6:7], s[0:1]
	s_cbranch_execz .LBB137_17
; %bb.14:
	v_mad_u64_u32 v[12:13], s[0:1], v6, 28, 27
	v_mov_b32_e32 v10, 0
	v_mov_b32_e32 v8, 0
	;; [unrolled: 1-line block ×3, first 2 shown]
	s_mov_b64 s[0:1], 0
	v_mov_b32_e32 v18, s11
	v_mov_b32_e32 v15, 0
	v_mov_b32_e32 v20, s13
	v_mov_b32_e32 v9, 0
	v_mov_b32_e32 v21, s15
.LBB137_15:                             ; =>This Inner Loop Header: Depth=1
	v_ashrrev_i32_e32 v7, 31, v6
	v_lshlrev_b64 v[24:25], 2, v[6:7]
	v_subrev_u32_e32 v14, 27, v12
	v_lshlrev_b64 v[26:27], 3, v[14:15]
	v_add_co_u32_e32 v30, vcc, s10, v24
	v_addc_co_u32_e32 v31, vcc, v18, v25, vcc
	v_add_u32_e32 v22, -13, v12
	v_mov_b32_e32 v23, v15
	v_add_co_u32_e32 v32, vcc, s12, v26
	v_lshlrev_b64 v[34:35], 3, v[22:23]
	v_addc_co_u32_e32 v33, vcc, v20, v27, vcc
	global_load_dword v7, v[30:31], off
	global_load_dwordx4 v[22:25], v[32:33], off
	global_load_dwordx4 v[26:29], v[32:33], off offset:16
	v_mov_b32_e32 v17, v15
	v_mov_b32_e32 v13, v15
	v_lshlrev_b64 v[36:37], 3, v[12:13]
	v_add_u32_e32 v14, -12, v12
	v_add_u32_e32 v6, 8, v6
	s_waitcnt vmcnt(2)
	v_subrev_u32_e32 v7, s2, v7
	v_mul_lo_u32 v16, v7, 14
	v_lshlrev_b64 v[30:31], 3, v[16:17]
	v_add_co_u32_e32 v30, vcc, s14, v30
	v_addc_co_u32_e32 v31, vcc, v21, v31, vcc
	global_load_dwordx4 v[30:33], v[30:31], off
	s_waitcnt vmcnt(0)
	v_fma_f64 v[10:11], v[22:23], v[30:31], v[10:11]
	v_fma_f64 v[22:23], v[24:25], v[32:33], v[10:11]
	v_add_co_u32_e32 v24, vcc, s12, v34
	v_addc_co_u32_e32 v25, vcc, v20, v35, vcc
	v_lshlrev_b64 v[10:11], 3, v[14:15]
	v_add_co_u32_e32 v34, vcc, s12, v36
	v_addc_co_u32_e32 v35, vcc, v20, v37, vcc
	v_add_co_u32_e32 v10, vcc, s12, v10
	v_addc_co_u32_e32 v11, vcc, v20, v11, vcc
	global_load_dwordx2 v[38:39], v[24:25], off
	global_load_dwordx2 v[40:41], v[10:11], off
	v_add_u32_e32 v14, 2, v16
	v_lshlrev_b64 v[13:14], 3, v[14:15]
	v_add_co_u32_e32 v36, vcc, s14, v13
	v_addc_co_u32_e32 v37, vcc, v21, v14, vcc
	v_add_u32_e32 v14, -11, v12
	v_lshlrev_b64 v[24:25], 3, v[14:15]
	v_add_u32_e32 v14, -10, v12
	v_add_co_u32_e32 v24, vcc, s12, v24
	v_addc_co_u32_e32 v25, vcc, v20, v25, vcc
	s_waitcnt vmcnt(1)
	v_fma_f64 v[7:8], v[38:39], v[30:31], v[8:9]
	s_waitcnt vmcnt(0)
	v_fma_f64 v[30:31], v[40:41], v[32:33], v[7:8]
	global_load_dwordx4 v[7:10], v[36:37], off
	v_lshlrev_b64 v[32:33], 3, v[14:15]
	v_subrev_u32_e32 v14, 23, v12
	v_add_co_u32_e32 v32, vcc, s12, v32
	v_addc_co_u32_e32 v33, vcc, v20, v33, vcc
	global_load_dwordx2 v[38:39], v[24:25], off
	global_load_dwordx2 v[40:41], v[32:33], off
	v_lshlrev_b64 v[36:37], 3, v[14:15]
	v_add_u32_e32 v14, 4, v16
	s_waitcnt vmcnt(2)
	v_fma_f64 v[22:23], v[26:27], v[7:8], v[22:23]
	v_lshlrev_b64 v[26:27], 3, v[14:15]
	v_add_u32_e32 v14, -9, v12
	v_lshlrev_b64 v[13:14], 3, v[14:15]
	s_waitcnt vmcnt(1)
	v_fma_f64 v[7:8], v[38:39], v[7:8], v[30:31]
	v_fma_f64 v[22:23], v[28:29], v[9:10], v[22:23]
	v_add_co_u32_e32 v28, vcc, s12, v36
	v_addc_co_u32_e32 v29, vcc, v20, v37, vcc
	v_add_co_u32_e32 v26, vcc, s14, v26
	v_addc_co_u32_e32 v27, vcc, v21, v27, vcc
	;; [unrolled: 2-line block ×3, first 2 shown]
	v_subrev_u32_e32 v14, 22, v12
	global_load_dwordx2 v[24:25], v[28:29], off
	v_lshlrev_b64 v[28:29], 3, v[14:15]
	v_add_u32_e32 v14, -8, v12
	s_waitcnt vmcnt(1)
	v_fma_f64 v[30:31], v[40:41], v[9:10], v[7:8]
	v_lshlrev_b64 v[7:8], 3, v[14:15]
	v_add_co_u32_e32 v28, vcc, s12, v28
	v_subrev_u32_e32 v14, 21, v12
	v_addc_co_u32_e32 v29, vcc, v20, v29, vcc
	v_lshlrev_b64 v[9:10], 3, v[14:15]
	v_add_co_u32_e32 v32, vcc, s12, v7
	v_add_u32_e32 v14, 6, v16
	v_addc_co_u32_e32 v33, vcc, v20, v8, vcc
	v_add_co_u32_e32 v38, vcc, s12, v9
	v_lshlrev_b64 v[7:8], 3, v[14:15]
	v_addc_co_u32_e32 v39, vcc, v20, v10, vcc
	v_add_co_u32_e32 v40, vcc, s14, v7
	v_add_u32_e32 v14, -7, v12
	v_addc_co_u32_e32 v41, vcc, v21, v8, vcc
	v_lshlrev_b64 v[7:8], 3, v[14:15]
	v_add_co_u32_e32 v42, vcc, s12, v7
	v_addc_co_u32_e32 v43, vcc, v20, v8, vcc
	global_load_dwordx4 v[7:10], v[26:27], off
	s_waitcnt vmcnt(0)
	v_fma_f64 v[22:23], v[24:25], v[7:8], v[22:23]
	global_load_dwordx2 v[13:14], v[36:37], off
	global_load_dwordx2 v[24:25], v[28:29], off
	;; [unrolled: 1-line block ×4, first 2 shown]
	s_waitcnt vmcnt(3)
	v_fma_f64 v[7:8], v[13:14], v[7:8], v[30:31]
	v_subrev_u32_e32 v14, 20, v12
	s_waitcnt vmcnt(2)
	v_fma_f64 v[22:23], v[24:25], v[9:10], v[22:23]
	v_lshlrev_b64 v[24:25], 3, v[14:15]
	v_add_u32_e32 v14, -6, v12
	v_add_co_u32_e32 v24, vcc, s12, v24
	v_addc_co_u32_e32 v25, vcc, v20, v25, vcc
	s_waitcnt vmcnt(1)
	v_fma_f64 v[26:27], v[26:27], v[9:10], v[7:8]
	v_lshlrev_b64 v[7:8], 3, v[14:15]
	v_subrev_u32_e32 v14, 19, v12
	v_lshlrev_b64 v[9:10], 3, v[14:15]
	v_add_co_u32_e32 v28, vcc, s12, v7
	v_add_u32_e32 v14, 8, v16
	v_addc_co_u32_e32 v29, vcc, v20, v8, vcc
	v_add_co_u32_e32 v30, vcc, s12, v9
	v_lshlrev_b64 v[7:8], 3, v[14:15]
	v_addc_co_u32_e32 v31, vcc, v20, v10, vcc
	v_add_co_u32_e32 v32, vcc, s14, v7
	v_add_u32_e32 v14, -5, v12
	v_addc_co_u32_e32 v33, vcc, v21, v8, vcc
	v_lshlrev_b64 v[7:8], 3, v[14:15]
	v_add_co_u32_e32 v36, vcc, s12, v7
	v_addc_co_u32_e32 v37, vcc, v20, v8, vcc
	global_load_dwordx4 v[7:10], v[40:41], off
	s_waitcnt vmcnt(0)
	v_fma_f64 v[22:23], v[44:45], v[7:8], v[22:23]
	global_load_dwordx2 v[13:14], v[42:43], off
	global_load_dwordx2 v[38:39], v[24:25], off
	global_load_dwordx2 v[40:41], v[28:29], off
	global_load_dwordx2 v[44:45], v[30:31], off
	s_waitcnt vmcnt(3)
	v_fma_f64 v[7:8], v[13:14], v[7:8], v[26:27]
	v_subrev_u32_e32 v14, 18, v12
	v_lshlrev_b64 v[24:25], 3, v[14:15]
	v_add_u32_e32 v14, -4, v12
	v_add_co_u32_e32 v24, vcc, s12, v24
	v_addc_co_u32_e32 v25, vcc, v20, v25, vcc
	s_waitcnt vmcnt(1)
	v_fma_f64 v[26:27], v[40:41], v[9:10], v[7:8]
	v_lshlrev_b64 v[7:8], 3, v[14:15]
	v_subrev_u32_e32 v14, 17, v12
	v_fma_f64 v[22:23], v[38:39], v[9:10], v[22:23]
	v_lshlrev_b64 v[9:10], 3, v[14:15]
	v_add_co_u32_e32 v28, vcc, s12, v7
	v_add_u32_e32 v14, 10, v16
	v_addc_co_u32_e32 v29, vcc, v20, v8, vcc
	v_add_co_u32_e32 v30, vcc, s12, v9
	v_lshlrev_b64 v[7:8], 3, v[14:15]
	v_addc_co_u32_e32 v31, vcc, v20, v10, vcc
	v_add_co_u32_e32 v38, vcc, s14, v7
	v_add_u32_e32 v14, -3, v12
	v_addc_co_u32_e32 v39, vcc, v21, v8, vcc
	v_lshlrev_b64 v[7:8], 3, v[14:15]
	v_add_co_u32_e32 v40, vcc, s12, v7
	v_addc_co_u32_e32 v41, vcc, v20, v8, vcc
	global_load_dwordx4 v[7:10], v[32:33], off
	s_waitcnt vmcnt(0)
	v_fma_f64 v[22:23], v[44:45], v[7:8], v[22:23]
	global_load_dwordx2 v[13:14], v[36:37], off
	global_load_dwordx2 v[32:33], v[24:25], off
	;; [unrolled: 1-line block ×4, first 2 shown]
	s_waitcnt vmcnt(3)
	v_fma_f64 v[7:8], v[13:14], v[7:8], v[26:27]
	v_add_u32_e32 v14, -16, v12
	v_lshlrev_b64 v[24:25], 3, v[14:15]
	v_add_u32_e32 v14, -2, v12
	v_add_co_u32_e32 v24, vcc, s12, v24
	v_addc_co_u32_e32 v25, vcc, v20, v25, vcc
	s_waitcnt vmcnt(1)
	v_fma_f64 v[26:27], v[42:43], v[9:10], v[7:8]
	v_lshlrev_b64 v[7:8], 3, v[14:15]
	v_add_u32_e32 v14, -15, v12
	v_fma_f64 v[22:23], v[32:33], v[9:10], v[22:23]
	v_lshlrev_b64 v[9:10], 3, v[14:15]
	v_add_u32_e32 v14, 12, v16
	v_add_co_u32_e32 v16, vcc, s12, v7
	v_addc_co_u32_e32 v17, vcc, v20, v8, vcc
	v_lshlrev_b64 v[7:8], 3, v[14:15]
	v_add_co_u32_e32 v28, vcc, s12, v9
	v_addc_co_u32_e32 v29, vcc, v20, v10, vcc
	v_add_u32_e32 v14, -1, v12
	v_add_co_u32_e32 v30, vcc, s14, v7
	v_addc_co_u32_e32 v31, vcc, v21, v8, vcc
	v_lshlrev_b64 v[7:8], 3, v[14:15]
	v_add_u32_e32 v14, -14, v12
	v_add_co_u32_e32 v32, vcc, s12, v7
	v_addc_co_u32_e32 v33, vcc, v20, v8, vcc
	v_lshlrev_b64 v[7:8], 3, v[14:15]
	v_add_u32_e32 v12, 0xe0, v12
	v_add_co_u32_e32 v13, vcc, s12, v7
	v_addc_co_u32_e32 v14, vcc, v20, v8, vcc
	global_load_dwordx4 v[7:10], v[38:39], off
	v_cmp_ge_i32_e32 vcc, v6, v19
	s_or_b64 s[0:1], vcc, s[0:1]
	s_waitcnt vmcnt(0)
	v_fma_f64 v[22:23], v[44:45], v[7:8], v[22:23]
	global_load_dwordx2 v[36:37], v[40:41], off
	global_load_dwordx2 v[38:39], v[24:25], off
	;; [unrolled: 1-line block ×4, first 2 shown]
	s_waitcnt vmcnt(3)
	v_fma_f64 v[7:8], v[36:37], v[7:8], v[26:27]
	s_waitcnt vmcnt(2)
	v_fma_f64 v[16:17], v[38:39], v[9:10], v[22:23]
	global_load_dwordx4 v[22:25], v[30:31], off
	global_load_dwordx2 v[26:27], v[32:33], off
	global_load_dwordx2 v[28:29], v[13:14], off
	;; [unrolled: 1-line block ×3, first 2 shown]
	s_waitcnt vmcnt(5)
	v_fma_f64 v[7:8], v[42:43], v[9:10], v[7:8]
	s_waitcnt vmcnt(3)
	v_fma_f64 v[9:10], v[44:45], v[22:23], v[16:17]
	;; [unrolled: 2-line block ×5, first 2 shown]
	s_andn2_b64 exec, exec, s[0:1]
	s_cbranch_execnz .LBB137_15
; %bb.16:
	s_or_b64 exec, exec, s[0:1]
.LBB137_17:
	s_or_b64 exec, exec, s[6:7]
.LBB137_18:
	v_mov_b32_dpp v6, v10 row_shr:1 row_mask:0xf bank_mask:0xf
	v_mov_b32_dpp v7, v11 row_shr:1 row_mask:0xf bank_mask:0xf
	v_add_f64 v[6:7], v[10:11], v[6:7]
	v_mov_b32_dpp v10, v8 row_shr:1 row_mask:0xf bank_mask:0xf
	v_mov_b32_dpp v11, v9 row_shr:1 row_mask:0xf bank_mask:0xf
	v_add_f64 v[8:9], v[8:9], v[10:11]
	v_cmp_eq_u32_e32 vcc, 7, v0
	v_mov_b32_dpp v10, v6 row_shr:2 row_mask:0xf bank_mask:0xf
	v_mov_b32_dpp v11, v7 row_shr:2 row_mask:0xf bank_mask:0xf
	v_add_f64 v[6:7], v[6:7], v[10:11]
	v_mov_b32_dpp v12, v8 row_shr:2 row_mask:0xf bank_mask:0xf
	v_mov_b32_dpp v13, v9 row_shr:2 row_mask:0xf bank_mask:0xf
	v_add_f64 v[10:11], v[8:9], v[12:13]
	v_mov_b32_dpp v8, v6 row_shr:4 row_mask:0xf bank_mask:0xe
	v_mov_b32_dpp v9, v7 row_shr:4 row_mask:0xf bank_mask:0xe
	;; [unrolled: 1-line block ×4, first 2 shown]
	s_and_b64 exec, exec, vcc
	s_cbranch_execz .LBB137_23
; %bb.19:
	v_add_f64 v[8:9], v[6:7], v[8:9]
	v_add_f64 v[6:7], v[10:11], v[12:13]
	v_cmp_eq_f64_e32 vcc, 0, v[3:4]
	s_load_dwordx2 s[0:1], s[4:5], 0x38
	s_and_saveexec_b64 s[2:3], vcc
	s_xor_b64 s[2:3], exec, s[2:3]
	s_cbranch_execz .LBB137_21
; %bb.20:
	v_mul_f64 v[3:4], v[1:2], v[8:9]
	v_lshlrev_b32_e32 v0, 1, v5
	v_mul_f64 v[5:6], v[1:2], v[6:7]
	v_ashrrev_i32_e32 v1, 31, v0
	v_lshlrev_b64 v[0:1], 3, v[0:1]
	s_waitcnt lgkmcnt(0)
	v_mov_b32_e32 v2, s1
	v_add_co_u32_e32 v0, vcc, s0, v0
	v_addc_co_u32_e32 v1, vcc, v2, v1, vcc
	global_store_dwordx4 v[0:1], v[3:6], off
                                        ; implicit-def: $vgpr5
                                        ; implicit-def: $vgpr1_vgpr2
                                        ; implicit-def: $vgpr8_vgpr9
                                        ; implicit-def: $vgpr3_vgpr4
                                        ; implicit-def: $vgpr6_vgpr7
.LBB137_21:
	s_andn2_saveexec_b64 s[2:3], s[2:3]
	s_cbranch_execz .LBB137_23
; %bb.22:
	v_lshlrev_b32_e32 v10, 1, v5
	v_ashrrev_i32_e32 v11, 31, v10
	v_lshlrev_b64 v[10:11], 3, v[10:11]
	s_waitcnt lgkmcnt(0)
	v_mov_b32_e32 v0, s1
	v_add_co_u32_e32 v14, vcc, s0, v10
	v_addc_co_u32_e32 v15, vcc, v0, v11, vcc
	global_load_dwordx4 v[10:13], v[14:15], off
	v_mul_f64 v[8:9], v[1:2], v[8:9]
	v_mul_f64 v[5:6], v[1:2], v[6:7]
	s_waitcnt vmcnt(0)
	v_fma_f64 v[0:1], v[3:4], v[10:11], v[8:9]
	v_fma_f64 v[2:3], v[3:4], v[12:13], v[5:6]
	global_store_dwordx4 v[14:15], v[0:3], off
.LBB137_23:
	s_endpgm
	.section	.rodata,"a",@progbits
	.p2align	6, 0x0
	.amdhsa_kernel _ZN9rocsparseL19gebsrmvn_2xn_kernelILj128ELj14ELj8EdEEvi20rocsparse_direction_NS_24const_host_device_scalarIT2_EEPKiS6_PKS3_S8_S4_PS3_21rocsparse_index_base_b
		.amdhsa_group_segment_fixed_size 0
		.amdhsa_private_segment_fixed_size 0
		.amdhsa_kernarg_size 72
		.amdhsa_user_sgpr_count 6
		.amdhsa_user_sgpr_private_segment_buffer 1
		.amdhsa_user_sgpr_dispatch_ptr 0
		.amdhsa_user_sgpr_queue_ptr 0
		.amdhsa_user_sgpr_kernarg_segment_ptr 1
		.amdhsa_user_sgpr_dispatch_id 0
		.amdhsa_user_sgpr_flat_scratch_init 0
		.amdhsa_user_sgpr_private_segment_size 0
		.amdhsa_uses_dynamic_stack 0
		.amdhsa_system_sgpr_private_segment_wavefront_offset 0
		.amdhsa_system_sgpr_workgroup_id_x 1
		.amdhsa_system_sgpr_workgroup_id_y 0
		.amdhsa_system_sgpr_workgroup_id_z 0
		.amdhsa_system_sgpr_workgroup_info 0
		.amdhsa_system_vgpr_workitem_id 0
		.amdhsa_next_free_vgpr 50
		.amdhsa_next_free_sgpr 16
		.amdhsa_reserve_vcc 1
		.amdhsa_reserve_flat_scratch 0
		.amdhsa_float_round_mode_32 0
		.amdhsa_float_round_mode_16_64 0
		.amdhsa_float_denorm_mode_32 3
		.amdhsa_float_denorm_mode_16_64 3
		.amdhsa_dx10_clamp 1
		.amdhsa_ieee_mode 1
		.amdhsa_fp16_overflow 0
		.amdhsa_exception_fp_ieee_invalid_op 0
		.amdhsa_exception_fp_denorm_src 0
		.amdhsa_exception_fp_ieee_div_zero 0
		.amdhsa_exception_fp_ieee_overflow 0
		.amdhsa_exception_fp_ieee_underflow 0
		.amdhsa_exception_fp_ieee_inexact 0
		.amdhsa_exception_int_div_zero 0
	.end_amdhsa_kernel
	.section	.text._ZN9rocsparseL19gebsrmvn_2xn_kernelILj128ELj14ELj8EdEEvi20rocsparse_direction_NS_24const_host_device_scalarIT2_EEPKiS6_PKS3_S8_S4_PS3_21rocsparse_index_base_b,"axG",@progbits,_ZN9rocsparseL19gebsrmvn_2xn_kernelILj128ELj14ELj8EdEEvi20rocsparse_direction_NS_24const_host_device_scalarIT2_EEPKiS6_PKS3_S8_S4_PS3_21rocsparse_index_base_b,comdat
.Lfunc_end137:
	.size	_ZN9rocsparseL19gebsrmvn_2xn_kernelILj128ELj14ELj8EdEEvi20rocsparse_direction_NS_24const_host_device_scalarIT2_EEPKiS6_PKS3_S8_S4_PS3_21rocsparse_index_base_b, .Lfunc_end137-_ZN9rocsparseL19gebsrmvn_2xn_kernelILj128ELj14ELj8EdEEvi20rocsparse_direction_NS_24const_host_device_scalarIT2_EEPKiS6_PKS3_S8_S4_PS3_21rocsparse_index_base_b
                                        ; -- End function
	.set _ZN9rocsparseL19gebsrmvn_2xn_kernelILj128ELj14ELj8EdEEvi20rocsparse_direction_NS_24const_host_device_scalarIT2_EEPKiS6_PKS3_S8_S4_PS3_21rocsparse_index_base_b.num_vgpr, 50
	.set _ZN9rocsparseL19gebsrmvn_2xn_kernelILj128ELj14ELj8EdEEvi20rocsparse_direction_NS_24const_host_device_scalarIT2_EEPKiS6_PKS3_S8_S4_PS3_21rocsparse_index_base_b.num_agpr, 0
	.set _ZN9rocsparseL19gebsrmvn_2xn_kernelILj128ELj14ELj8EdEEvi20rocsparse_direction_NS_24const_host_device_scalarIT2_EEPKiS6_PKS3_S8_S4_PS3_21rocsparse_index_base_b.numbered_sgpr, 16
	.set _ZN9rocsparseL19gebsrmvn_2xn_kernelILj128ELj14ELj8EdEEvi20rocsparse_direction_NS_24const_host_device_scalarIT2_EEPKiS6_PKS3_S8_S4_PS3_21rocsparse_index_base_b.num_named_barrier, 0
	.set _ZN9rocsparseL19gebsrmvn_2xn_kernelILj128ELj14ELj8EdEEvi20rocsparse_direction_NS_24const_host_device_scalarIT2_EEPKiS6_PKS3_S8_S4_PS3_21rocsparse_index_base_b.private_seg_size, 0
	.set _ZN9rocsparseL19gebsrmvn_2xn_kernelILj128ELj14ELj8EdEEvi20rocsparse_direction_NS_24const_host_device_scalarIT2_EEPKiS6_PKS3_S8_S4_PS3_21rocsparse_index_base_b.uses_vcc, 1
	.set _ZN9rocsparseL19gebsrmvn_2xn_kernelILj128ELj14ELj8EdEEvi20rocsparse_direction_NS_24const_host_device_scalarIT2_EEPKiS6_PKS3_S8_S4_PS3_21rocsparse_index_base_b.uses_flat_scratch, 0
	.set _ZN9rocsparseL19gebsrmvn_2xn_kernelILj128ELj14ELj8EdEEvi20rocsparse_direction_NS_24const_host_device_scalarIT2_EEPKiS6_PKS3_S8_S4_PS3_21rocsparse_index_base_b.has_dyn_sized_stack, 0
	.set _ZN9rocsparseL19gebsrmvn_2xn_kernelILj128ELj14ELj8EdEEvi20rocsparse_direction_NS_24const_host_device_scalarIT2_EEPKiS6_PKS3_S8_S4_PS3_21rocsparse_index_base_b.has_recursion, 0
	.set _ZN9rocsparseL19gebsrmvn_2xn_kernelILj128ELj14ELj8EdEEvi20rocsparse_direction_NS_24const_host_device_scalarIT2_EEPKiS6_PKS3_S8_S4_PS3_21rocsparse_index_base_b.has_indirect_call, 0
	.section	.AMDGPU.csdata,"",@progbits
; Kernel info:
; codeLenInByte = 2960
; TotalNumSgprs: 20
; NumVgprs: 50
; ScratchSize: 0
; MemoryBound: 1
; FloatMode: 240
; IeeeMode: 1
; LDSByteSize: 0 bytes/workgroup (compile time only)
; SGPRBlocks: 2
; VGPRBlocks: 12
; NumSGPRsForWavesPerEU: 20
; NumVGPRsForWavesPerEU: 50
; Occupancy: 4
; WaveLimiterHint : 1
; COMPUTE_PGM_RSRC2:SCRATCH_EN: 0
; COMPUTE_PGM_RSRC2:USER_SGPR: 6
; COMPUTE_PGM_RSRC2:TRAP_HANDLER: 0
; COMPUTE_PGM_RSRC2:TGID_X_EN: 1
; COMPUTE_PGM_RSRC2:TGID_Y_EN: 0
; COMPUTE_PGM_RSRC2:TGID_Z_EN: 0
; COMPUTE_PGM_RSRC2:TIDIG_COMP_CNT: 0
	.section	.text._ZN9rocsparseL19gebsrmvn_2xn_kernelILj128ELj14ELj16EdEEvi20rocsparse_direction_NS_24const_host_device_scalarIT2_EEPKiS6_PKS3_S8_S4_PS3_21rocsparse_index_base_b,"axG",@progbits,_ZN9rocsparseL19gebsrmvn_2xn_kernelILj128ELj14ELj16EdEEvi20rocsparse_direction_NS_24const_host_device_scalarIT2_EEPKiS6_PKS3_S8_S4_PS3_21rocsparse_index_base_b,comdat
	.globl	_ZN9rocsparseL19gebsrmvn_2xn_kernelILj128ELj14ELj16EdEEvi20rocsparse_direction_NS_24const_host_device_scalarIT2_EEPKiS6_PKS3_S8_S4_PS3_21rocsparse_index_base_b ; -- Begin function _ZN9rocsparseL19gebsrmvn_2xn_kernelILj128ELj14ELj16EdEEvi20rocsparse_direction_NS_24const_host_device_scalarIT2_EEPKiS6_PKS3_S8_S4_PS3_21rocsparse_index_base_b
	.p2align	8
	.type	_ZN9rocsparseL19gebsrmvn_2xn_kernelILj128ELj14ELj16EdEEvi20rocsparse_direction_NS_24const_host_device_scalarIT2_EEPKiS6_PKS3_S8_S4_PS3_21rocsparse_index_base_b,@function
_ZN9rocsparseL19gebsrmvn_2xn_kernelILj128ELj14ELj16EdEEvi20rocsparse_direction_NS_24const_host_device_scalarIT2_EEPKiS6_PKS3_S8_S4_PS3_21rocsparse_index_base_b: ; @_ZN9rocsparseL19gebsrmvn_2xn_kernelILj128ELj14ELj16EdEEvi20rocsparse_direction_NS_24const_host_device_scalarIT2_EEPKiS6_PKS3_S8_S4_PS3_21rocsparse_index_base_b
; %bb.0:
	s_load_dwordx2 s[2:3], s[4:5], 0x40
	s_load_dwordx2 s[10:11], s[4:5], 0x8
	;; [unrolled: 1-line block ×3, first 2 shown]
	s_waitcnt lgkmcnt(0)
	s_bitcmp1_b32 s3, 0
	s_cselect_b64 s[12:13], -1, 0
	v_mov_b32_e32 v1, s10
	s_xor_b64 s[8:9], s[12:13], -1
	s_and_b64 vcc, exec, s[12:13]
	v_mov_b32_e32 v2, s11
	s_cbranch_vccnz .LBB138_2
; %bb.1:
	v_mov_b32_e32 v1, s10
	v_mov_b32_e32 v2, s11
	flat_load_dwordx2 v[1:2], v[1:2]
.LBB138_2:
	v_mov_b32_e32 v4, s1
	s_andn2_b64 vcc, exec, s[8:9]
	v_mov_b32_e32 v3, s0
	s_cbranch_vccnz .LBB138_4
; %bb.3:
	v_mov_b32_e32 v4, s1
	v_mov_b32_e32 v3, s0
	flat_load_dwordx2 v[3:4], v[3:4]
.LBB138_4:
	s_waitcnt vmcnt(0) lgkmcnt(0)
	v_cmp_neq_f64_e32 vcc, 0, v[1:2]
	v_cmp_neq_f64_e64 s[0:1], 1.0, v[3:4]
	s_or_b64 s[0:1], vcc, s[0:1]
	s_and_saveexec_b64 s[8:9], s[0:1]
	s_cbranch_execz .LBB138_23
; %bb.5:
	s_load_dwordx2 s[0:1], s[4:5], 0x0
	v_lshrrev_b32_e32 v5, 4, v0
	v_lshl_or_b32 v5, s6, 3, v5
	s_waitcnt lgkmcnt(0)
	v_cmp_gt_i32_e32 vcc, s0, v5
	s_and_b64 exec, exec, vcc
	s_cbranch_execz .LBB138_23
; %bb.6:
	s_load_dwordx8 s[8:15], s[4:5], 0x10
	v_ashrrev_i32_e32 v6, 31, v5
	v_lshlrev_b64 v[6:7], 2, v[5:6]
	v_and_b32_e32 v0, 15, v0
	s_cmp_lg_u32 s1, 0
	s_waitcnt lgkmcnt(0)
	v_mov_b32_e32 v8, s9
	v_add_co_u32_e32 v6, vcc, s8, v6
	v_addc_co_u32_e32 v7, vcc, v8, v7, vcc
	global_load_dwordx2 v[6:7], v[6:7], off
	s_waitcnt vmcnt(0)
	v_subrev_u32_e32 v6, s2, v6
	v_subrev_u32_e32 v19, s2, v7
	v_add_u32_e32 v6, v6, v0
	v_cmp_lt_i32_e64 s[0:1], v6, v19
	s_cbranch_scc0 .LBB138_12
; %bb.7:
	v_mov_b32_e32 v10, 0
	v_mov_b32_e32 v8, 0
	;; [unrolled: 1-line block ×4, first 2 shown]
	s_and_saveexec_b64 s[6:7], s[0:1]
	s_cbranch_execz .LBB138_11
; %bb.8:
	v_mad_u64_u32 v[12:13], s[8:9], v6, 28, 26
	v_mov_b32_e32 v10, 0
	v_mov_b32_e32 v8, 0
	;; [unrolled: 1-line block ×3, first 2 shown]
	s_mov_b64 s[8:9], 0
	v_mov_b32_e32 v7, s11
	v_mov_b32_e32 v15, 0
	;; [unrolled: 1-line block ×6, first 2 shown]
.LBB138_9:                              ; =>This Inner Loop Header: Depth=1
	v_ashrrev_i32_e32 v17, 31, v16
	v_lshlrev_b64 v[22:23], 2, v[16:17]
	v_subrev_u32_e32 v14, 26, v12
	v_lshlrev_b64 v[24:25], 3, v[14:15]
	v_add_co_u32_e32 v30, vcc, s10, v22
	v_mov_b32_e32 v13, v15
	v_addc_co_u32_e32 v31, vcc, v7, v23, vcc
	v_lshlrev_b64 v[26:27], 3, v[12:13]
	v_add_co_u32_e32 v32, vcc, s12, v24
	v_addc_co_u32_e32 v33, vcc, v20, v25, vcc
	v_add_co_u32_e32 v46, vcc, s12, v26
	v_addc_co_u32_e32 v47, vcc, v20, v27, vcc
	global_load_dword v17, v[30:31], off
	global_load_dwordx4 v[22:25], v[32:33], off
	global_load_dwordx4 v[26:29], v[32:33], off offset:16
	v_subrev_u32_e32 v14, 22, v12
	v_lshlrev_b64 v[13:14], 3, v[14:15]
	v_mov_b32_e32 v18, v15
	v_add_co_u32_e32 v13, vcc, s12, v13
	v_addc_co_u32_e32 v14, vcc, v20, v14, vcc
	global_load_dwordx4 v[30:33], v[13:14], off
	v_add_u32_e32 v16, 16, v16
	s_waitcnt vmcnt(3)
	v_subrev_u32_e32 v13, s2, v17
	v_mul_lo_u32 v17, v13, 14
	v_lshlrev_b64 v[34:35], 3, v[17:18]
	v_add_u32_e32 v14, 2, v17
	v_add_co_u32_e32 v34, vcc, s14, v34
	v_addc_co_u32_e32 v35, vcc, v21, v35, vcc
	global_load_dwordx4 v[34:37], v[34:35], off
	v_lshlrev_b64 v[38:39], 3, v[14:15]
	v_subrev_u32_e32 v14, 20, v12
	v_add_co_u32_e32 v38, vcc, s14, v38
	v_addc_co_u32_e32 v39, vcc, v21, v39, vcc
	global_load_dwordx4 v[38:41], v[38:39], off
	v_lshlrev_b64 v[42:43], 3, v[14:15]
	v_subrev_u32_e32 v14, 18, v12
	v_add_co_u32_e32 v42, vcc, s12, v42
	v_addc_co_u32_e32 v43, vcc, v20, v43, vcc
	v_lshlrev_b64 v[44:45], 3, v[14:15]
	v_add_u32_e32 v14, 4, v17
	v_lshlrev_b64 v[48:49], 3, v[14:15]
	v_add_u32_e32 v14, -16, v12
	s_waitcnt vmcnt(1)
	v_fma_f64 v[22:23], v[22:23], v[34:35], v[10:11]
	v_fma_f64 v[24:25], v[24:25], v[34:35], v[8:9]
	global_load_dwordx4 v[8:11], v[42:43], off
	v_add_co_u32_e32 v34, vcc, s12, v44
	v_addc_co_u32_e32 v35, vcc, v20, v45, vcc
	v_fma_f64 v[44:45], v[26:27], v[36:37], v[22:23]
	v_add_co_u32_e32 v26, vcc, s14, v48
	v_addc_co_u32_e32 v27, vcc, v21, v49, vcc
	v_fma_f64 v[36:37], v[28:29], v[36:37], v[24:25]
	global_load_dwordx4 v[22:25], v[34:35], off
	v_lshlrev_b64 v[42:43], 3, v[14:15]
	global_load_dwordx4 v[26:29], v[26:27], off
	v_add_co_u32_e32 v42, vcc, s12, v42
	v_addc_co_u32_e32 v43, vcc, v20, v43, vcc
	s_waitcnt vmcnt(3)
	v_fma_f64 v[44:45], v[30:31], v[38:39], v[44:45]
	v_fma_f64 v[36:37], v[32:33], v[38:39], v[36:37]
	global_load_dwordx4 v[30:33], v[42:43], off
	v_add_u32_e32 v14, -14, v12
	v_lshlrev_b64 v[34:35], 3, v[14:15]
	v_add_u32_e32 v14, 6, v17
	v_lshlrev_b64 v[48:49], 3, v[14:15]
	v_add_co_u32_e32 v34, vcc, s12, v34
	v_addc_co_u32_e32 v35, vcc, v20, v35, vcc
	v_add_u32_e32 v14, -12, v12
	v_lshlrev_b64 v[38:39], 3, v[14:15]
	v_add_u32_e32 v14, -10, v12
	s_waitcnt vmcnt(3)
	v_fma_f64 v[42:43], v[8:9], v[40:41], v[44:45]
	v_fma_f64 v[40:41], v[10:11], v[40:41], v[36:37]
	global_load_dwordx4 v[8:11], v[34:35], off
	v_add_co_u32_e32 v34, vcc, s14, v48
	v_addc_co_u32_e32 v35, vcc, v21, v49, vcc
	global_load_dwordx4 v[34:37], v[34:35], off
	v_add_co_u32_e32 v38, vcc, s12, v38
	v_addc_co_u32_e32 v39, vcc, v20, v39, vcc
	v_lshlrev_b64 v[44:45], 3, v[14:15]
	v_add_u32_e32 v14, 8, v17
	s_waitcnt vmcnt(3)
	v_fma_f64 v[42:43], v[22:23], v[26:27], v[42:43]
	v_fma_f64 v[26:27], v[24:25], v[26:27], v[40:41]
	global_load_dwordx4 v[22:25], v[38:39], off
	v_lshlrev_b64 v[48:49], 3, v[14:15]
	v_add_co_u32_e32 v38, vcc, s12, v44
	v_addc_co_u32_e32 v39, vcc, v20, v45, vcc
	s_waitcnt vmcnt(3)
	v_fma_f64 v[42:43], v[30:31], v[28:29], v[42:43]
	v_add_co_u32_e32 v30, vcc, s14, v48
	v_addc_co_u32_e32 v31, vcc, v21, v49, vcc
	v_fma_f64 v[44:45], v[32:33], v[28:29], v[26:27]
	global_load_dwordx4 v[26:29], v[38:39], off
	v_add_u32_e32 v14, -8, v12
	global_load_dwordx4 v[30:33], v[30:31], off
	v_lshlrev_b64 v[40:41], 3, v[14:15]
	v_add_u32_e32 v14, -6, v12
	v_add_co_u32_e32 v40, vcc, s12, v40
	v_addc_co_u32_e32 v41, vcc, v20, v41, vcc
	s_waitcnt vmcnt(3)
	v_fma_f64 v[42:43], v[8:9], v[34:35], v[42:43]
	v_fma_f64 v[34:35], v[10:11], v[34:35], v[44:45]
	global_load_dwordx4 v[8:11], v[40:41], off
	v_lshlrev_b64 v[38:39], 3, v[14:15]
	v_add_u32_e32 v14, 10, v17
	v_lshlrev_b64 v[48:49], 3, v[14:15]
	v_add_co_u32_e32 v38, vcc, s12, v38
	v_addc_co_u32_e32 v39, vcc, v20, v39, vcc
	s_waitcnt vmcnt(3)
	v_fma_f64 v[44:45], v[24:25], v[36:37], v[34:35]
	v_add_co_u32_e32 v34, vcc, s14, v48
	v_addc_co_u32_e32 v35, vcc, v21, v49, vcc
	v_fma_f64 v[42:43], v[22:23], v[36:37], v[42:43]
	global_load_dwordx4 v[22:25], v[38:39], off
	v_add_u32_e32 v14, -4, v12
	global_load_dwordx4 v[34:37], v[34:35], off
	v_lshlrev_b64 v[40:41], 3, v[14:15]
	v_add_u32_e32 v14, -2, v12
	v_lshlrev_b64 v[38:39], 3, v[14:15]
	v_add_u32_e32 v14, 12, v17
	v_add_co_u32_e32 v17, vcc, s12, v40
	v_addc_co_u32_e32 v18, vcc, v20, v41, vcc
	v_add_co_u32_e32 v48, vcc, s12, v38
	v_addc_co_u32_e32 v49, vcc, v20, v39, vcc
	global_load_dwordx4 v[38:41], v[17:18], off
	v_lshlrev_b64 v[13:14], 3, v[14:15]
	s_waitcnt vmcnt(4)
	v_fma_f64 v[17:18], v[26:27], v[30:31], v[42:43]
	v_add_co_u32_e32 v13, vcc, s14, v13
	v_addc_co_u32_e32 v14, vcc, v21, v14, vcc
	v_fma_f64 v[30:31], v[28:29], v[30:31], v[44:45]
	global_load_dwordx4 v[26:29], v[48:49], off
	global_load_dwordx4 v[42:45], v[13:14], off
	v_cmp_ge_i32_e32 vcc, v16, v19
	s_or_b64 s[8:9], vcc, s[8:9]
	v_add_u32_e32 v12, 0x1c0, v12
	s_waitcnt vmcnt(5)
	v_fma_f64 v[8:9], v[8:9], v[32:33], v[17:18]
	v_fma_f64 v[10:11], v[10:11], v[32:33], v[30:31]
	global_load_dwordx4 v[30:33], v[46:47], off
	s_waitcnt vmcnt(4)
	v_fma_f64 v[8:9], v[22:23], v[34:35], v[8:9]
	v_fma_f64 v[10:11], v[24:25], v[34:35], v[10:11]
	s_waitcnt vmcnt(3)
	v_fma_f64 v[8:9], v[38:39], v[36:37], v[8:9]
	v_fma_f64 v[10:11], v[40:41], v[36:37], v[10:11]
	;; [unrolled: 3-line block ×4, first 2 shown]
	s_andn2_b64 exec, exec, s[8:9]
	s_cbranch_execnz .LBB138_9
; %bb.10:
	s_or_b64 exec, exec, s[8:9]
.LBB138_11:
	s_or_b64 exec, exec, s[6:7]
	s_cbranch_execz .LBB138_13
	s_branch .LBB138_18
.LBB138_12:
                                        ; implicit-def: $vgpr10_vgpr11
                                        ; implicit-def: $vgpr8_vgpr9
.LBB138_13:
	v_mov_b32_e32 v10, 0
	v_mov_b32_e32 v8, 0
	;; [unrolled: 1-line block ×4, first 2 shown]
	s_and_saveexec_b64 s[6:7], s[0:1]
	s_cbranch_execz .LBB138_17
; %bb.14:
	v_mad_u64_u32 v[12:13], s[0:1], v6, 28, 27
	v_mov_b32_e32 v10, 0
	v_mov_b32_e32 v8, 0
	;; [unrolled: 1-line block ×3, first 2 shown]
	s_mov_b64 s[0:1], 0
	v_mov_b32_e32 v18, s11
	v_mov_b32_e32 v15, 0
	;; [unrolled: 1-line block ×5, first 2 shown]
.LBB138_15:                             ; =>This Inner Loop Header: Depth=1
	v_ashrrev_i32_e32 v7, 31, v6
	v_lshlrev_b64 v[24:25], 2, v[6:7]
	v_subrev_u32_e32 v14, 27, v12
	v_lshlrev_b64 v[26:27], 3, v[14:15]
	v_add_co_u32_e32 v30, vcc, s10, v24
	v_addc_co_u32_e32 v31, vcc, v18, v25, vcc
	v_add_u32_e32 v22, -13, v12
	v_mov_b32_e32 v23, v15
	v_add_co_u32_e32 v32, vcc, s12, v26
	v_lshlrev_b64 v[34:35], 3, v[22:23]
	v_addc_co_u32_e32 v33, vcc, v20, v27, vcc
	global_load_dword v7, v[30:31], off
	global_load_dwordx4 v[22:25], v[32:33], off
	global_load_dwordx4 v[26:29], v[32:33], off offset:16
	v_mov_b32_e32 v17, v15
	v_mov_b32_e32 v13, v15
	v_lshlrev_b64 v[36:37], 3, v[12:13]
	v_add_u32_e32 v14, -12, v12
	v_add_u32_e32 v6, 16, v6
	s_waitcnt vmcnt(2)
	v_subrev_u32_e32 v7, s2, v7
	v_mul_lo_u32 v16, v7, 14
	v_lshlrev_b64 v[30:31], 3, v[16:17]
	v_add_co_u32_e32 v30, vcc, s14, v30
	v_addc_co_u32_e32 v31, vcc, v21, v31, vcc
	global_load_dwordx4 v[30:33], v[30:31], off
	s_waitcnt vmcnt(0)
	v_fma_f64 v[10:11], v[22:23], v[30:31], v[10:11]
	v_fma_f64 v[22:23], v[24:25], v[32:33], v[10:11]
	v_add_co_u32_e32 v24, vcc, s12, v34
	v_addc_co_u32_e32 v25, vcc, v20, v35, vcc
	v_lshlrev_b64 v[10:11], 3, v[14:15]
	v_add_co_u32_e32 v34, vcc, s12, v36
	v_addc_co_u32_e32 v35, vcc, v20, v37, vcc
	v_add_co_u32_e32 v10, vcc, s12, v10
	v_addc_co_u32_e32 v11, vcc, v20, v11, vcc
	global_load_dwordx2 v[38:39], v[24:25], off
	global_load_dwordx2 v[40:41], v[10:11], off
	v_add_u32_e32 v14, 2, v16
	v_lshlrev_b64 v[13:14], 3, v[14:15]
	v_add_co_u32_e32 v36, vcc, s14, v13
	v_addc_co_u32_e32 v37, vcc, v21, v14, vcc
	v_add_u32_e32 v14, -11, v12
	v_lshlrev_b64 v[24:25], 3, v[14:15]
	v_add_u32_e32 v14, -10, v12
	v_add_co_u32_e32 v24, vcc, s12, v24
	v_addc_co_u32_e32 v25, vcc, v20, v25, vcc
	s_waitcnt vmcnt(1)
	v_fma_f64 v[7:8], v[38:39], v[30:31], v[8:9]
	s_waitcnt vmcnt(0)
	v_fma_f64 v[30:31], v[40:41], v[32:33], v[7:8]
	global_load_dwordx4 v[7:10], v[36:37], off
	v_lshlrev_b64 v[32:33], 3, v[14:15]
	v_subrev_u32_e32 v14, 23, v12
	v_add_co_u32_e32 v32, vcc, s12, v32
	v_addc_co_u32_e32 v33, vcc, v20, v33, vcc
	global_load_dwordx2 v[38:39], v[24:25], off
	global_load_dwordx2 v[40:41], v[32:33], off
	v_lshlrev_b64 v[36:37], 3, v[14:15]
	v_add_u32_e32 v14, 4, v16
	s_waitcnt vmcnt(2)
	v_fma_f64 v[22:23], v[26:27], v[7:8], v[22:23]
	v_lshlrev_b64 v[26:27], 3, v[14:15]
	v_add_u32_e32 v14, -9, v12
	v_lshlrev_b64 v[13:14], 3, v[14:15]
	s_waitcnt vmcnt(1)
	v_fma_f64 v[7:8], v[38:39], v[7:8], v[30:31]
	v_fma_f64 v[22:23], v[28:29], v[9:10], v[22:23]
	v_add_co_u32_e32 v28, vcc, s12, v36
	v_addc_co_u32_e32 v29, vcc, v20, v37, vcc
	v_add_co_u32_e32 v26, vcc, s14, v26
	v_addc_co_u32_e32 v27, vcc, v21, v27, vcc
	;; [unrolled: 2-line block ×3, first 2 shown]
	v_subrev_u32_e32 v14, 22, v12
	global_load_dwordx2 v[24:25], v[28:29], off
	v_lshlrev_b64 v[28:29], 3, v[14:15]
	v_add_u32_e32 v14, -8, v12
	s_waitcnt vmcnt(1)
	v_fma_f64 v[30:31], v[40:41], v[9:10], v[7:8]
	v_lshlrev_b64 v[7:8], 3, v[14:15]
	v_add_co_u32_e32 v28, vcc, s12, v28
	v_subrev_u32_e32 v14, 21, v12
	v_addc_co_u32_e32 v29, vcc, v20, v29, vcc
	v_lshlrev_b64 v[9:10], 3, v[14:15]
	v_add_co_u32_e32 v32, vcc, s12, v7
	v_add_u32_e32 v14, 6, v16
	v_addc_co_u32_e32 v33, vcc, v20, v8, vcc
	v_add_co_u32_e32 v38, vcc, s12, v9
	v_lshlrev_b64 v[7:8], 3, v[14:15]
	v_addc_co_u32_e32 v39, vcc, v20, v10, vcc
	v_add_co_u32_e32 v40, vcc, s14, v7
	v_add_u32_e32 v14, -7, v12
	v_addc_co_u32_e32 v41, vcc, v21, v8, vcc
	v_lshlrev_b64 v[7:8], 3, v[14:15]
	v_add_co_u32_e32 v42, vcc, s12, v7
	v_addc_co_u32_e32 v43, vcc, v20, v8, vcc
	global_load_dwordx4 v[7:10], v[26:27], off
	s_waitcnt vmcnt(0)
	v_fma_f64 v[22:23], v[24:25], v[7:8], v[22:23]
	global_load_dwordx2 v[13:14], v[36:37], off
	global_load_dwordx2 v[24:25], v[28:29], off
	;; [unrolled: 1-line block ×4, first 2 shown]
	s_waitcnt vmcnt(3)
	v_fma_f64 v[7:8], v[13:14], v[7:8], v[30:31]
	v_subrev_u32_e32 v14, 20, v12
	s_waitcnt vmcnt(2)
	v_fma_f64 v[22:23], v[24:25], v[9:10], v[22:23]
	v_lshlrev_b64 v[24:25], 3, v[14:15]
	v_add_u32_e32 v14, -6, v12
	v_add_co_u32_e32 v24, vcc, s12, v24
	v_addc_co_u32_e32 v25, vcc, v20, v25, vcc
	s_waitcnt vmcnt(1)
	v_fma_f64 v[26:27], v[26:27], v[9:10], v[7:8]
	v_lshlrev_b64 v[7:8], 3, v[14:15]
	v_subrev_u32_e32 v14, 19, v12
	v_lshlrev_b64 v[9:10], 3, v[14:15]
	v_add_co_u32_e32 v28, vcc, s12, v7
	v_add_u32_e32 v14, 8, v16
	v_addc_co_u32_e32 v29, vcc, v20, v8, vcc
	v_add_co_u32_e32 v30, vcc, s12, v9
	v_lshlrev_b64 v[7:8], 3, v[14:15]
	v_addc_co_u32_e32 v31, vcc, v20, v10, vcc
	v_add_co_u32_e32 v32, vcc, s14, v7
	v_add_u32_e32 v14, -5, v12
	v_addc_co_u32_e32 v33, vcc, v21, v8, vcc
	v_lshlrev_b64 v[7:8], 3, v[14:15]
	v_add_co_u32_e32 v36, vcc, s12, v7
	v_addc_co_u32_e32 v37, vcc, v20, v8, vcc
	global_load_dwordx4 v[7:10], v[40:41], off
	s_waitcnt vmcnt(0)
	v_fma_f64 v[22:23], v[44:45], v[7:8], v[22:23]
	global_load_dwordx2 v[13:14], v[42:43], off
	global_load_dwordx2 v[38:39], v[24:25], off
	;; [unrolled: 1-line block ×4, first 2 shown]
	s_waitcnt vmcnt(3)
	v_fma_f64 v[7:8], v[13:14], v[7:8], v[26:27]
	v_subrev_u32_e32 v14, 18, v12
	v_lshlrev_b64 v[24:25], 3, v[14:15]
	v_add_u32_e32 v14, -4, v12
	v_add_co_u32_e32 v24, vcc, s12, v24
	v_addc_co_u32_e32 v25, vcc, v20, v25, vcc
	s_waitcnt vmcnt(1)
	v_fma_f64 v[26:27], v[40:41], v[9:10], v[7:8]
	v_lshlrev_b64 v[7:8], 3, v[14:15]
	v_subrev_u32_e32 v14, 17, v12
	v_fma_f64 v[22:23], v[38:39], v[9:10], v[22:23]
	v_lshlrev_b64 v[9:10], 3, v[14:15]
	v_add_co_u32_e32 v28, vcc, s12, v7
	v_add_u32_e32 v14, 10, v16
	v_addc_co_u32_e32 v29, vcc, v20, v8, vcc
	v_add_co_u32_e32 v30, vcc, s12, v9
	v_lshlrev_b64 v[7:8], 3, v[14:15]
	v_addc_co_u32_e32 v31, vcc, v20, v10, vcc
	v_add_co_u32_e32 v38, vcc, s14, v7
	v_add_u32_e32 v14, -3, v12
	v_addc_co_u32_e32 v39, vcc, v21, v8, vcc
	v_lshlrev_b64 v[7:8], 3, v[14:15]
	v_add_co_u32_e32 v40, vcc, s12, v7
	v_addc_co_u32_e32 v41, vcc, v20, v8, vcc
	global_load_dwordx4 v[7:10], v[32:33], off
	s_waitcnt vmcnt(0)
	v_fma_f64 v[22:23], v[44:45], v[7:8], v[22:23]
	global_load_dwordx2 v[13:14], v[36:37], off
	global_load_dwordx2 v[32:33], v[24:25], off
	;; [unrolled: 1-line block ×4, first 2 shown]
	s_waitcnt vmcnt(3)
	v_fma_f64 v[7:8], v[13:14], v[7:8], v[26:27]
	v_add_u32_e32 v14, -16, v12
	v_lshlrev_b64 v[24:25], 3, v[14:15]
	v_add_u32_e32 v14, -2, v12
	v_add_co_u32_e32 v24, vcc, s12, v24
	v_addc_co_u32_e32 v25, vcc, v20, v25, vcc
	s_waitcnt vmcnt(1)
	v_fma_f64 v[26:27], v[42:43], v[9:10], v[7:8]
	v_lshlrev_b64 v[7:8], 3, v[14:15]
	v_add_u32_e32 v14, -15, v12
	v_fma_f64 v[22:23], v[32:33], v[9:10], v[22:23]
	v_lshlrev_b64 v[9:10], 3, v[14:15]
	v_add_u32_e32 v14, 12, v16
	v_add_co_u32_e32 v16, vcc, s12, v7
	v_addc_co_u32_e32 v17, vcc, v20, v8, vcc
	v_lshlrev_b64 v[7:8], 3, v[14:15]
	v_add_co_u32_e32 v28, vcc, s12, v9
	v_addc_co_u32_e32 v29, vcc, v20, v10, vcc
	v_add_u32_e32 v14, -1, v12
	v_add_co_u32_e32 v30, vcc, s14, v7
	v_addc_co_u32_e32 v31, vcc, v21, v8, vcc
	v_lshlrev_b64 v[7:8], 3, v[14:15]
	v_add_u32_e32 v14, -14, v12
	v_add_co_u32_e32 v32, vcc, s12, v7
	v_addc_co_u32_e32 v33, vcc, v20, v8, vcc
	v_lshlrev_b64 v[7:8], 3, v[14:15]
	v_add_u32_e32 v12, 0x1c0, v12
	v_add_co_u32_e32 v13, vcc, s12, v7
	v_addc_co_u32_e32 v14, vcc, v20, v8, vcc
	global_load_dwordx4 v[7:10], v[38:39], off
	v_cmp_ge_i32_e32 vcc, v6, v19
	s_or_b64 s[0:1], vcc, s[0:1]
	s_waitcnt vmcnt(0)
	v_fma_f64 v[22:23], v[44:45], v[7:8], v[22:23]
	global_load_dwordx2 v[36:37], v[40:41], off
	global_load_dwordx2 v[38:39], v[24:25], off
	;; [unrolled: 1-line block ×4, first 2 shown]
	s_waitcnt vmcnt(3)
	v_fma_f64 v[7:8], v[36:37], v[7:8], v[26:27]
	s_waitcnt vmcnt(2)
	v_fma_f64 v[16:17], v[38:39], v[9:10], v[22:23]
	global_load_dwordx4 v[22:25], v[30:31], off
	global_load_dwordx2 v[26:27], v[32:33], off
	global_load_dwordx2 v[28:29], v[13:14], off
	;; [unrolled: 1-line block ×3, first 2 shown]
	s_waitcnt vmcnt(5)
	v_fma_f64 v[7:8], v[42:43], v[9:10], v[7:8]
	s_waitcnt vmcnt(3)
	v_fma_f64 v[9:10], v[44:45], v[22:23], v[16:17]
	;; [unrolled: 2-line block ×5, first 2 shown]
	s_andn2_b64 exec, exec, s[0:1]
	s_cbranch_execnz .LBB138_15
; %bb.16:
	s_or_b64 exec, exec, s[0:1]
.LBB138_17:
	s_or_b64 exec, exec, s[6:7]
.LBB138_18:
	v_mov_b32_dpp v6, v10 row_shr:1 row_mask:0xf bank_mask:0xf
	v_mov_b32_dpp v7, v11 row_shr:1 row_mask:0xf bank_mask:0xf
	v_add_f64 v[6:7], v[10:11], v[6:7]
	v_mov_b32_dpp v10, v8 row_shr:1 row_mask:0xf bank_mask:0xf
	v_mov_b32_dpp v11, v9 row_shr:1 row_mask:0xf bank_mask:0xf
	v_add_f64 v[8:9], v[8:9], v[10:11]
	v_cmp_eq_u32_e32 vcc, 15, v0
	v_mov_b32_dpp v10, v6 row_shr:2 row_mask:0xf bank_mask:0xf
	v_mov_b32_dpp v11, v7 row_shr:2 row_mask:0xf bank_mask:0xf
	v_add_f64 v[6:7], v[6:7], v[10:11]
	v_mov_b32_dpp v12, v8 row_shr:2 row_mask:0xf bank_mask:0xf
	v_mov_b32_dpp v13, v9 row_shr:2 row_mask:0xf bank_mask:0xf
	v_add_f64 v[8:9], v[8:9], v[12:13]
	v_mov_b32_dpp v10, v6 row_shr:4 row_mask:0xf bank_mask:0xe
	v_mov_b32_dpp v11, v7 row_shr:4 row_mask:0xf bank_mask:0xe
	v_add_f64 v[6:7], v[6:7], v[10:11]
	v_mov_b32_dpp v12, v8 row_shr:4 row_mask:0xf bank_mask:0xe
	v_mov_b32_dpp v13, v9 row_shr:4 row_mask:0xf bank_mask:0xe
	v_add_f64 v[10:11], v[8:9], v[12:13]
	v_mov_b32_dpp v8, v6 row_shr:8 row_mask:0xf bank_mask:0xc
	v_mov_b32_dpp v9, v7 row_shr:8 row_mask:0xf bank_mask:0xc
	;; [unrolled: 1-line block ×4, first 2 shown]
	s_and_b64 exec, exec, vcc
	s_cbranch_execz .LBB138_23
; %bb.19:
	v_add_f64 v[8:9], v[6:7], v[8:9]
	v_add_f64 v[6:7], v[10:11], v[12:13]
	v_cmp_eq_f64_e32 vcc, 0, v[3:4]
	s_load_dwordx2 s[0:1], s[4:5], 0x38
	s_and_saveexec_b64 s[2:3], vcc
	s_xor_b64 s[2:3], exec, s[2:3]
	s_cbranch_execz .LBB138_21
; %bb.20:
	v_mul_f64 v[3:4], v[1:2], v[8:9]
	v_lshlrev_b32_e32 v0, 1, v5
	v_mul_f64 v[5:6], v[1:2], v[6:7]
	v_ashrrev_i32_e32 v1, 31, v0
	v_lshlrev_b64 v[0:1], 3, v[0:1]
	s_waitcnt lgkmcnt(0)
	v_mov_b32_e32 v2, s1
	v_add_co_u32_e32 v0, vcc, s0, v0
	v_addc_co_u32_e32 v1, vcc, v2, v1, vcc
	global_store_dwordx4 v[0:1], v[3:6], off
                                        ; implicit-def: $vgpr5
                                        ; implicit-def: $vgpr1_vgpr2
                                        ; implicit-def: $vgpr8_vgpr9
                                        ; implicit-def: $vgpr3_vgpr4
                                        ; implicit-def: $vgpr6_vgpr7
.LBB138_21:
	s_andn2_saveexec_b64 s[2:3], s[2:3]
	s_cbranch_execz .LBB138_23
; %bb.22:
	v_lshlrev_b32_e32 v10, 1, v5
	v_ashrrev_i32_e32 v11, 31, v10
	v_lshlrev_b64 v[10:11], 3, v[10:11]
	s_waitcnt lgkmcnt(0)
	v_mov_b32_e32 v0, s1
	v_add_co_u32_e32 v14, vcc, s0, v10
	v_addc_co_u32_e32 v15, vcc, v0, v11, vcc
	global_load_dwordx4 v[10:13], v[14:15], off
	v_mul_f64 v[8:9], v[1:2], v[8:9]
	v_mul_f64 v[5:6], v[1:2], v[6:7]
	s_waitcnt vmcnt(0)
	v_fma_f64 v[0:1], v[3:4], v[10:11], v[8:9]
	v_fma_f64 v[2:3], v[3:4], v[12:13], v[5:6]
	global_store_dwordx4 v[14:15], v[0:3], off
.LBB138_23:
	s_endpgm
	.section	.rodata,"a",@progbits
	.p2align	6, 0x0
	.amdhsa_kernel _ZN9rocsparseL19gebsrmvn_2xn_kernelILj128ELj14ELj16EdEEvi20rocsparse_direction_NS_24const_host_device_scalarIT2_EEPKiS6_PKS3_S8_S4_PS3_21rocsparse_index_base_b
		.amdhsa_group_segment_fixed_size 0
		.amdhsa_private_segment_fixed_size 0
		.amdhsa_kernarg_size 72
		.amdhsa_user_sgpr_count 6
		.amdhsa_user_sgpr_private_segment_buffer 1
		.amdhsa_user_sgpr_dispatch_ptr 0
		.amdhsa_user_sgpr_queue_ptr 0
		.amdhsa_user_sgpr_kernarg_segment_ptr 1
		.amdhsa_user_sgpr_dispatch_id 0
		.amdhsa_user_sgpr_flat_scratch_init 0
		.amdhsa_user_sgpr_private_segment_size 0
		.amdhsa_uses_dynamic_stack 0
		.amdhsa_system_sgpr_private_segment_wavefront_offset 0
		.amdhsa_system_sgpr_workgroup_id_x 1
		.amdhsa_system_sgpr_workgroup_id_y 0
		.amdhsa_system_sgpr_workgroup_id_z 0
		.amdhsa_system_sgpr_workgroup_info 0
		.amdhsa_system_vgpr_workitem_id 0
		.amdhsa_next_free_vgpr 50
		.amdhsa_next_free_sgpr 16
		.amdhsa_reserve_vcc 1
		.amdhsa_reserve_flat_scratch 0
		.amdhsa_float_round_mode_32 0
		.amdhsa_float_round_mode_16_64 0
		.amdhsa_float_denorm_mode_32 3
		.amdhsa_float_denorm_mode_16_64 3
		.amdhsa_dx10_clamp 1
		.amdhsa_ieee_mode 1
		.amdhsa_fp16_overflow 0
		.amdhsa_exception_fp_ieee_invalid_op 0
		.amdhsa_exception_fp_denorm_src 0
		.amdhsa_exception_fp_ieee_div_zero 0
		.amdhsa_exception_fp_ieee_overflow 0
		.amdhsa_exception_fp_ieee_underflow 0
		.amdhsa_exception_fp_ieee_inexact 0
		.amdhsa_exception_int_div_zero 0
	.end_amdhsa_kernel
	.section	.text._ZN9rocsparseL19gebsrmvn_2xn_kernelILj128ELj14ELj16EdEEvi20rocsparse_direction_NS_24const_host_device_scalarIT2_EEPKiS6_PKS3_S8_S4_PS3_21rocsparse_index_base_b,"axG",@progbits,_ZN9rocsparseL19gebsrmvn_2xn_kernelILj128ELj14ELj16EdEEvi20rocsparse_direction_NS_24const_host_device_scalarIT2_EEPKiS6_PKS3_S8_S4_PS3_21rocsparse_index_base_b,comdat
.Lfunc_end138:
	.size	_ZN9rocsparseL19gebsrmvn_2xn_kernelILj128ELj14ELj16EdEEvi20rocsparse_direction_NS_24const_host_device_scalarIT2_EEPKiS6_PKS3_S8_S4_PS3_21rocsparse_index_base_b, .Lfunc_end138-_ZN9rocsparseL19gebsrmvn_2xn_kernelILj128ELj14ELj16EdEEvi20rocsparse_direction_NS_24const_host_device_scalarIT2_EEPKiS6_PKS3_S8_S4_PS3_21rocsparse_index_base_b
                                        ; -- End function
	.set _ZN9rocsparseL19gebsrmvn_2xn_kernelILj128ELj14ELj16EdEEvi20rocsparse_direction_NS_24const_host_device_scalarIT2_EEPKiS6_PKS3_S8_S4_PS3_21rocsparse_index_base_b.num_vgpr, 50
	.set _ZN9rocsparseL19gebsrmvn_2xn_kernelILj128ELj14ELj16EdEEvi20rocsparse_direction_NS_24const_host_device_scalarIT2_EEPKiS6_PKS3_S8_S4_PS3_21rocsparse_index_base_b.num_agpr, 0
	.set _ZN9rocsparseL19gebsrmvn_2xn_kernelILj128ELj14ELj16EdEEvi20rocsparse_direction_NS_24const_host_device_scalarIT2_EEPKiS6_PKS3_S8_S4_PS3_21rocsparse_index_base_b.numbered_sgpr, 16
	.set _ZN9rocsparseL19gebsrmvn_2xn_kernelILj128ELj14ELj16EdEEvi20rocsparse_direction_NS_24const_host_device_scalarIT2_EEPKiS6_PKS3_S8_S4_PS3_21rocsparse_index_base_b.num_named_barrier, 0
	.set _ZN9rocsparseL19gebsrmvn_2xn_kernelILj128ELj14ELj16EdEEvi20rocsparse_direction_NS_24const_host_device_scalarIT2_EEPKiS6_PKS3_S8_S4_PS3_21rocsparse_index_base_b.private_seg_size, 0
	.set _ZN9rocsparseL19gebsrmvn_2xn_kernelILj128ELj14ELj16EdEEvi20rocsparse_direction_NS_24const_host_device_scalarIT2_EEPKiS6_PKS3_S8_S4_PS3_21rocsparse_index_base_b.uses_vcc, 1
	.set _ZN9rocsparseL19gebsrmvn_2xn_kernelILj128ELj14ELj16EdEEvi20rocsparse_direction_NS_24const_host_device_scalarIT2_EEPKiS6_PKS3_S8_S4_PS3_21rocsparse_index_base_b.uses_flat_scratch, 0
	.set _ZN9rocsparseL19gebsrmvn_2xn_kernelILj128ELj14ELj16EdEEvi20rocsparse_direction_NS_24const_host_device_scalarIT2_EEPKiS6_PKS3_S8_S4_PS3_21rocsparse_index_base_b.has_dyn_sized_stack, 0
	.set _ZN9rocsparseL19gebsrmvn_2xn_kernelILj128ELj14ELj16EdEEvi20rocsparse_direction_NS_24const_host_device_scalarIT2_EEPKiS6_PKS3_S8_S4_PS3_21rocsparse_index_base_b.has_recursion, 0
	.set _ZN9rocsparseL19gebsrmvn_2xn_kernelILj128ELj14ELj16EdEEvi20rocsparse_direction_NS_24const_host_device_scalarIT2_EEPKiS6_PKS3_S8_S4_PS3_21rocsparse_index_base_b.has_indirect_call, 0
	.section	.AMDGPU.csdata,"",@progbits
; Kernel info:
; codeLenInByte = 3008
; TotalNumSgprs: 20
; NumVgprs: 50
; ScratchSize: 0
; MemoryBound: 1
; FloatMode: 240
; IeeeMode: 1
; LDSByteSize: 0 bytes/workgroup (compile time only)
; SGPRBlocks: 2
; VGPRBlocks: 12
; NumSGPRsForWavesPerEU: 20
; NumVGPRsForWavesPerEU: 50
; Occupancy: 4
; WaveLimiterHint : 1
; COMPUTE_PGM_RSRC2:SCRATCH_EN: 0
; COMPUTE_PGM_RSRC2:USER_SGPR: 6
; COMPUTE_PGM_RSRC2:TRAP_HANDLER: 0
; COMPUTE_PGM_RSRC2:TGID_X_EN: 1
; COMPUTE_PGM_RSRC2:TGID_Y_EN: 0
; COMPUTE_PGM_RSRC2:TGID_Z_EN: 0
; COMPUTE_PGM_RSRC2:TIDIG_COMP_CNT: 0
	.section	.text._ZN9rocsparseL19gebsrmvn_2xn_kernelILj128ELj14ELj32EdEEvi20rocsparse_direction_NS_24const_host_device_scalarIT2_EEPKiS6_PKS3_S8_S4_PS3_21rocsparse_index_base_b,"axG",@progbits,_ZN9rocsparseL19gebsrmvn_2xn_kernelILj128ELj14ELj32EdEEvi20rocsparse_direction_NS_24const_host_device_scalarIT2_EEPKiS6_PKS3_S8_S4_PS3_21rocsparse_index_base_b,comdat
	.globl	_ZN9rocsparseL19gebsrmvn_2xn_kernelILj128ELj14ELj32EdEEvi20rocsparse_direction_NS_24const_host_device_scalarIT2_EEPKiS6_PKS3_S8_S4_PS3_21rocsparse_index_base_b ; -- Begin function _ZN9rocsparseL19gebsrmvn_2xn_kernelILj128ELj14ELj32EdEEvi20rocsparse_direction_NS_24const_host_device_scalarIT2_EEPKiS6_PKS3_S8_S4_PS3_21rocsparse_index_base_b
	.p2align	8
	.type	_ZN9rocsparseL19gebsrmvn_2xn_kernelILj128ELj14ELj32EdEEvi20rocsparse_direction_NS_24const_host_device_scalarIT2_EEPKiS6_PKS3_S8_S4_PS3_21rocsparse_index_base_b,@function
_ZN9rocsparseL19gebsrmvn_2xn_kernelILj128ELj14ELj32EdEEvi20rocsparse_direction_NS_24const_host_device_scalarIT2_EEPKiS6_PKS3_S8_S4_PS3_21rocsparse_index_base_b: ; @_ZN9rocsparseL19gebsrmvn_2xn_kernelILj128ELj14ELj32EdEEvi20rocsparse_direction_NS_24const_host_device_scalarIT2_EEPKiS6_PKS3_S8_S4_PS3_21rocsparse_index_base_b
; %bb.0:
	s_load_dwordx2 s[2:3], s[4:5], 0x40
	s_load_dwordx2 s[10:11], s[4:5], 0x8
	;; [unrolled: 1-line block ×3, first 2 shown]
	s_waitcnt lgkmcnt(0)
	s_bitcmp1_b32 s3, 0
	s_cselect_b64 s[12:13], -1, 0
	v_mov_b32_e32 v1, s10
	s_xor_b64 s[8:9], s[12:13], -1
	s_and_b64 vcc, exec, s[12:13]
	v_mov_b32_e32 v2, s11
	s_cbranch_vccnz .LBB139_2
; %bb.1:
	v_mov_b32_e32 v1, s10
	v_mov_b32_e32 v2, s11
	flat_load_dwordx2 v[1:2], v[1:2]
.LBB139_2:
	v_mov_b32_e32 v4, s1
	s_andn2_b64 vcc, exec, s[8:9]
	v_mov_b32_e32 v3, s0
	s_cbranch_vccnz .LBB139_4
; %bb.3:
	v_mov_b32_e32 v4, s1
	v_mov_b32_e32 v3, s0
	flat_load_dwordx2 v[3:4], v[3:4]
.LBB139_4:
	s_waitcnt vmcnt(0) lgkmcnt(0)
	v_cmp_neq_f64_e32 vcc, 0, v[1:2]
	v_cmp_neq_f64_e64 s[0:1], 1.0, v[3:4]
	s_or_b64 s[0:1], vcc, s[0:1]
	s_and_saveexec_b64 s[8:9], s[0:1]
	s_cbranch_execz .LBB139_23
; %bb.5:
	s_load_dwordx2 s[0:1], s[4:5], 0x0
	v_lshrrev_b32_e32 v5, 5, v0
	v_lshl_or_b32 v5, s6, 2, v5
	s_waitcnt lgkmcnt(0)
	v_cmp_gt_i32_e32 vcc, s0, v5
	s_and_b64 exec, exec, vcc
	s_cbranch_execz .LBB139_23
; %bb.6:
	s_load_dwordx8 s[8:15], s[4:5], 0x10
	v_ashrrev_i32_e32 v6, 31, v5
	v_lshlrev_b64 v[6:7], 2, v[5:6]
	v_and_b32_e32 v0, 31, v0
	s_cmp_lg_u32 s1, 0
	s_waitcnt lgkmcnt(0)
	v_mov_b32_e32 v8, s9
	v_add_co_u32_e32 v6, vcc, s8, v6
	v_addc_co_u32_e32 v7, vcc, v8, v7, vcc
	global_load_dwordx2 v[6:7], v[6:7], off
	s_waitcnt vmcnt(0)
	v_subrev_u32_e32 v6, s2, v6
	v_subrev_u32_e32 v19, s2, v7
	v_add_u32_e32 v6, v6, v0
	v_cmp_lt_i32_e64 s[0:1], v6, v19
	s_cbranch_scc0 .LBB139_12
; %bb.7:
	v_mov_b32_e32 v10, 0
	v_mov_b32_e32 v8, 0
	;; [unrolled: 1-line block ×4, first 2 shown]
	s_and_saveexec_b64 s[6:7], s[0:1]
	s_cbranch_execz .LBB139_11
; %bb.8:
	v_mad_u64_u32 v[12:13], s[8:9], v6, 28, 26
	v_mov_b32_e32 v10, 0
	v_mov_b32_e32 v8, 0
	;; [unrolled: 1-line block ×3, first 2 shown]
	s_mov_b64 s[8:9], 0
	v_mov_b32_e32 v7, s11
	v_mov_b32_e32 v15, 0
	;; [unrolled: 1-line block ×6, first 2 shown]
.LBB139_9:                              ; =>This Inner Loop Header: Depth=1
	v_ashrrev_i32_e32 v17, 31, v16
	v_lshlrev_b64 v[22:23], 2, v[16:17]
	v_subrev_u32_e32 v14, 26, v12
	v_lshlrev_b64 v[24:25], 3, v[14:15]
	v_add_co_u32_e32 v30, vcc, s10, v22
	v_mov_b32_e32 v13, v15
	v_addc_co_u32_e32 v31, vcc, v7, v23, vcc
	v_lshlrev_b64 v[26:27], 3, v[12:13]
	v_add_co_u32_e32 v32, vcc, s12, v24
	v_addc_co_u32_e32 v33, vcc, v20, v25, vcc
	v_add_co_u32_e32 v46, vcc, s12, v26
	v_addc_co_u32_e32 v47, vcc, v20, v27, vcc
	global_load_dword v17, v[30:31], off
	global_load_dwordx4 v[22:25], v[32:33], off
	global_load_dwordx4 v[26:29], v[32:33], off offset:16
	v_subrev_u32_e32 v14, 22, v12
	v_lshlrev_b64 v[13:14], 3, v[14:15]
	v_mov_b32_e32 v18, v15
	v_add_co_u32_e32 v13, vcc, s12, v13
	v_addc_co_u32_e32 v14, vcc, v20, v14, vcc
	global_load_dwordx4 v[30:33], v[13:14], off
	v_add_u32_e32 v16, 32, v16
	s_waitcnt vmcnt(3)
	v_subrev_u32_e32 v13, s2, v17
	v_mul_lo_u32 v17, v13, 14
	v_lshlrev_b64 v[34:35], 3, v[17:18]
	v_add_u32_e32 v14, 2, v17
	v_add_co_u32_e32 v34, vcc, s14, v34
	v_addc_co_u32_e32 v35, vcc, v21, v35, vcc
	global_load_dwordx4 v[34:37], v[34:35], off
	v_lshlrev_b64 v[38:39], 3, v[14:15]
	v_subrev_u32_e32 v14, 20, v12
	v_add_co_u32_e32 v38, vcc, s14, v38
	v_addc_co_u32_e32 v39, vcc, v21, v39, vcc
	global_load_dwordx4 v[38:41], v[38:39], off
	v_lshlrev_b64 v[42:43], 3, v[14:15]
	v_subrev_u32_e32 v14, 18, v12
	v_add_co_u32_e32 v42, vcc, s12, v42
	v_addc_co_u32_e32 v43, vcc, v20, v43, vcc
	v_lshlrev_b64 v[44:45], 3, v[14:15]
	v_add_u32_e32 v14, 4, v17
	v_lshlrev_b64 v[48:49], 3, v[14:15]
	v_add_u32_e32 v14, -16, v12
	s_waitcnt vmcnt(1)
	v_fma_f64 v[22:23], v[22:23], v[34:35], v[10:11]
	v_fma_f64 v[24:25], v[24:25], v[34:35], v[8:9]
	global_load_dwordx4 v[8:11], v[42:43], off
	v_add_co_u32_e32 v34, vcc, s12, v44
	v_addc_co_u32_e32 v35, vcc, v20, v45, vcc
	v_fma_f64 v[44:45], v[26:27], v[36:37], v[22:23]
	v_add_co_u32_e32 v26, vcc, s14, v48
	v_addc_co_u32_e32 v27, vcc, v21, v49, vcc
	v_fma_f64 v[36:37], v[28:29], v[36:37], v[24:25]
	global_load_dwordx4 v[22:25], v[34:35], off
	v_lshlrev_b64 v[42:43], 3, v[14:15]
	global_load_dwordx4 v[26:29], v[26:27], off
	v_add_co_u32_e32 v42, vcc, s12, v42
	v_addc_co_u32_e32 v43, vcc, v20, v43, vcc
	s_waitcnt vmcnt(3)
	v_fma_f64 v[44:45], v[30:31], v[38:39], v[44:45]
	v_fma_f64 v[36:37], v[32:33], v[38:39], v[36:37]
	global_load_dwordx4 v[30:33], v[42:43], off
	v_add_u32_e32 v14, -14, v12
	v_lshlrev_b64 v[34:35], 3, v[14:15]
	v_add_u32_e32 v14, 6, v17
	v_lshlrev_b64 v[48:49], 3, v[14:15]
	v_add_co_u32_e32 v34, vcc, s12, v34
	v_addc_co_u32_e32 v35, vcc, v20, v35, vcc
	v_add_u32_e32 v14, -12, v12
	v_lshlrev_b64 v[38:39], 3, v[14:15]
	v_add_u32_e32 v14, -10, v12
	s_waitcnt vmcnt(3)
	v_fma_f64 v[42:43], v[8:9], v[40:41], v[44:45]
	v_fma_f64 v[40:41], v[10:11], v[40:41], v[36:37]
	global_load_dwordx4 v[8:11], v[34:35], off
	v_add_co_u32_e32 v34, vcc, s14, v48
	v_addc_co_u32_e32 v35, vcc, v21, v49, vcc
	global_load_dwordx4 v[34:37], v[34:35], off
	v_add_co_u32_e32 v38, vcc, s12, v38
	v_addc_co_u32_e32 v39, vcc, v20, v39, vcc
	v_lshlrev_b64 v[44:45], 3, v[14:15]
	v_add_u32_e32 v14, 8, v17
	s_waitcnt vmcnt(3)
	v_fma_f64 v[42:43], v[22:23], v[26:27], v[42:43]
	v_fma_f64 v[26:27], v[24:25], v[26:27], v[40:41]
	global_load_dwordx4 v[22:25], v[38:39], off
	v_lshlrev_b64 v[48:49], 3, v[14:15]
	v_add_co_u32_e32 v38, vcc, s12, v44
	v_addc_co_u32_e32 v39, vcc, v20, v45, vcc
	s_waitcnt vmcnt(3)
	v_fma_f64 v[42:43], v[30:31], v[28:29], v[42:43]
	v_add_co_u32_e32 v30, vcc, s14, v48
	v_addc_co_u32_e32 v31, vcc, v21, v49, vcc
	v_fma_f64 v[44:45], v[32:33], v[28:29], v[26:27]
	global_load_dwordx4 v[26:29], v[38:39], off
	v_add_u32_e32 v14, -8, v12
	global_load_dwordx4 v[30:33], v[30:31], off
	v_lshlrev_b64 v[40:41], 3, v[14:15]
	v_add_u32_e32 v14, -6, v12
	v_add_co_u32_e32 v40, vcc, s12, v40
	v_addc_co_u32_e32 v41, vcc, v20, v41, vcc
	s_waitcnt vmcnt(3)
	v_fma_f64 v[42:43], v[8:9], v[34:35], v[42:43]
	v_fma_f64 v[34:35], v[10:11], v[34:35], v[44:45]
	global_load_dwordx4 v[8:11], v[40:41], off
	v_lshlrev_b64 v[38:39], 3, v[14:15]
	v_add_u32_e32 v14, 10, v17
	v_lshlrev_b64 v[48:49], 3, v[14:15]
	v_add_co_u32_e32 v38, vcc, s12, v38
	v_addc_co_u32_e32 v39, vcc, v20, v39, vcc
	s_waitcnt vmcnt(3)
	v_fma_f64 v[44:45], v[24:25], v[36:37], v[34:35]
	v_add_co_u32_e32 v34, vcc, s14, v48
	v_addc_co_u32_e32 v35, vcc, v21, v49, vcc
	v_fma_f64 v[42:43], v[22:23], v[36:37], v[42:43]
	global_load_dwordx4 v[22:25], v[38:39], off
	v_add_u32_e32 v14, -4, v12
	global_load_dwordx4 v[34:37], v[34:35], off
	v_lshlrev_b64 v[40:41], 3, v[14:15]
	v_add_u32_e32 v14, -2, v12
	v_lshlrev_b64 v[38:39], 3, v[14:15]
	v_add_u32_e32 v14, 12, v17
	v_add_co_u32_e32 v17, vcc, s12, v40
	v_addc_co_u32_e32 v18, vcc, v20, v41, vcc
	v_add_co_u32_e32 v48, vcc, s12, v38
	v_addc_co_u32_e32 v49, vcc, v20, v39, vcc
	global_load_dwordx4 v[38:41], v[17:18], off
	v_lshlrev_b64 v[13:14], 3, v[14:15]
	s_waitcnt vmcnt(4)
	v_fma_f64 v[17:18], v[26:27], v[30:31], v[42:43]
	v_add_co_u32_e32 v13, vcc, s14, v13
	v_addc_co_u32_e32 v14, vcc, v21, v14, vcc
	v_fma_f64 v[30:31], v[28:29], v[30:31], v[44:45]
	global_load_dwordx4 v[26:29], v[48:49], off
	global_load_dwordx4 v[42:45], v[13:14], off
	v_cmp_ge_i32_e32 vcc, v16, v19
	s_or_b64 s[8:9], vcc, s[8:9]
	v_add_u32_e32 v12, 0x380, v12
	s_waitcnt vmcnt(5)
	v_fma_f64 v[8:9], v[8:9], v[32:33], v[17:18]
	v_fma_f64 v[10:11], v[10:11], v[32:33], v[30:31]
	global_load_dwordx4 v[30:33], v[46:47], off
	s_waitcnt vmcnt(4)
	v_fma_f64 v[8:9], v[22:23], v[34:35], v[8:9]
	v_fma_f64 v[10:11], v[24:25], v[34:35], v[10:11]
	s_waitcnt vmcnt(3)
	v_fma_f64 v[8:9], v[38:39], v[36:37], v[8:9]
	v_fma_f64 v[10:11], v[40:41], v[36:37], v[10:11]
	s_waitcnt vmcnt(1)
	v_fma_f64 v[8:9], v[26:27], v[42:43], v[8:9]
	v_fma_f64 v[13:14], v[28:29], v[42:43], v[10:11]
	s_waitcnt vmcnt(0)
	v_fma_f64 v[10:11], v[30:31], v[44:45], v[8:9]
	v_fma_f64 v[8:9], v[32:33], v[44:45], v[13:14]
	s_andn2_b64 exec, exec, s[8:9]
	s_cbranch_execnz .LBB139_9
; %bb.10:
	s_or_b64 exec, exec, s[8:9]
.LBB139_11:
	s_or_b64 exec, exec, s[6:7]
	s_cbranch_execz .LBB139_13
	s_branch .LBB139_18
.LBB139_12:
                                        ; implicit-def: $vgpr10_vgpr11
                                        ; implicit-def: $vgpr8_vgpr9
.LBB139_13:
	v_mov_b32_e32 v10, 0
	v_mov_b32_e32 v8, 0
	;; [unrolled: 1-line block ×4, first 2 shown]
	s_and_saveexec_b64 s[6:7], s[0:1]
	s_cbranch_execz .LBB139_17
; %bb.14:
	v_mad_u64_u32 v[12:13], s[0:1], v6, 28, 27
	v_mov_b32_e32 v10, 0
	v_mov_b32_e32 v8, 0
	;; [unrolled: 1-line block ×3, first 2 shown]
	s_mov_b64 s[0:1], 0
	v_mov_b32_e32 v18, s11
	v_mov_b32_e32 v15, 0
	;; [unrolled: 1-line block ×5, first 2 shown]
.LBB139_15:                             ; =>This Inner Loop Header: Depth=1
	v_ashrrev_i32_e32 v7, 31, v6
	v_lshlrev_b64 v[24:25], 2, v[6:7]
	v_subrev_u32_e32 v14, 27, v12
	v_lshlrev_b64 v[26:27], 3, v[14:15]
	v_add_co_u32_e32 v30, vcc, s10, v24
	v_addc_co_u32_e32 v31, vcc, v18, v25, vcc
	v_add_u32_e32 v22, -13, v12
	v_mov_b32_e32 v23, v15
	v_add_co_u32_e32 v32, vcc, s12, v26
	v_lshlrev_b64 v[34:35], 3, v[22:23]
	v_addc_co_u32_e32 v33, vcc, v20, v27, vcc
	global_load_dword v7, v[30:31], off
	global_load_dwordx4 v[22:25], v[32:33], off
	global_load_dwordx4 v[26:29], v[32:33], off offset:16
	v_mov_b32_e32 v17, v15
	v_mov_b32_e32 v13, v15
	v_lshlrev_b64 v[36:37], 3, v[12:13]
	v_add_u32_e32 v14, -12, v12
	v_add_u32_e32 v6, 32, v6
	s_waitcnt vmcnt(2)
	v_subrev_u32_e32 v7, s2, v7
	v_mul_lo_u32 v16, v7, 14
	v_lshlrev_b64 v[30:31], 3, v[16:17]
	v_add_co_u32_e32 v30, vcc, s14, v30
	v_addc_co_u32_e32 v31, vcc, v21, v31, vcc
	global_load_dwordx4 v[30:33], v[30:31], off
	s_waitcnt vmcnt(0)
	v_fma_f64 v[10:11], v[22:23], v[30:31], v[10:11]
	v_fma_f64 v[22:23], v[24:25], v[32:33], v[10:11]
	v_add_co_u32_e32 v24, vcc, s12, v34
	v_addc_co_u32_e32 v25, vcc, v20, v35, vcc
	v_lshlrev_b64 v[10:11], 3, v[14:15]
	v_add_co_u32_e32 v34, vcc, s12, v36
	v_addc_co_u32_e32 v35, vcc, v20, v37, vcc
	v_add_co_u32_e32 v10, vcc, s12, v10
	v_addc_co_u32_e32 v11, vcc, v20, v11, vcc
	global_load_dwordx2 v[38:39], v[24:25], off
	global_load_dwordx2 v[40:41], v[10:11], off
	v_add_u32_e32 v14, 2, v16
	v_lshlrev_b64 v[13:14], 3, v[14:15]
	v_add_co_u32_e32 v36, vcc, s14, v13
	v_addc_co_u32_e32 v37, vcc, v21, v14, vcc
	v_add_u32_e32 v14, -11, v12
	v_lshlrev_b64 v[24:25], 3, v[14:15]
	v_add_u32_e32 v14, -10, v12
	v_add_co_u32_e32 v24, vcc, s12, v24
	v_addc_co_u32_e32 v25, vcc, v20, v25, vcc
	s_waitcnt vmcnt(1)
	v_fma_f64 v[7:8], v[38:39], v[30:31], v[8:9]
	s_waitcnt vmcnt(0)
	v_fma_f64 v[30:31], v[40:41], v[32:33], v[7:8]
	global_load_dwordx4 v[7:10], v[36:37], off
	v_lshlrev_b64 v[32:33], 3, v[14:15]
	v_subrev_u32_e32 v14, 23, v12
	v_add_co_u32_e32 v32, vcc, s12, v32
	v_addc_co_u32_e32 v33, vcc, v20, v33, vcc
	global_load_dwordx2 v[38:39], v[24:25], off
	global_load_dwordx2 v[40:41], v[32:33], off
	v_lshlrev_b64 v[36:37], 3, v[14:15]
	v_add_u32_e32 v14, 4, v16
	s_waitcnt vmcnt(2)
	v_fma_f64 v[22:23], v[26:27], v[7:8], v[22:23]
	v_lshlrev_b64 v[26:27], 3, v[14:15]
	v_add_u32_e32 v14, -9, v12
	v_lshlrev_b64 v[13:14], 3, v[14:15]
	s_waitcnt vmcnt(1)
	v_fma_f64 v[7:8], v[38:39], v[7:8], v[30:31]
	v_fma_f64 v[22:23], v[28:29], v[9:10], v[22:23]
	v_add_co_u32_e32 v28, vcc, s12, v36
	v_addc_co_u32_e32 v29, vcc, v20, v37, vcc
	v_add_co_u32_e32 v26, vcc, s14, v26
	v_addc_co_u32_e32 v27, vcc, v21, v27, vcc
	;; [unrolled: 2-line block ×3, first 2 shown]
	v_subrev_u32_e32 v14, 22, v12
	global_load_dwordx2 v[24:25], v[28:29], off
	v_lshlrev_b64 v[28:29], 3, v[14:15]
	v_add_u32_e32 v14, -8, v12
	s_waitcnt vmcnt(1)
	v_fma_f64 v[30:31], v[40:41], v[9:10], v[7:8]
	v_lshlrev_b64 v[7:8], 3, v[14:15]
	v_add_co_u32_e32 v28, vcc, s12, v28
	v_subrev_u32_e32 v14, 21, v12
	v_addc_co_u32_e32 v29, vcc, v20, v29, vcc
	v_lshlrev_b64 v[9:10], 3, v[14:15]
	v_add_co_u32_e32 v32, vcc, s12, v7
	v_add_u32_e32 v14, 6, v16
	v_addc_co_u32_e32 v33, vcc, v20, v8, vcc
	v_add_co_u32_e32 v38, vcc, s12, v9
	v_lshlrev_b64 v[7:8], 3, v[14:15]
	v_addc_co_u32_e32 v39, vcc, v20, v10, vcc
	v_add_co_u32_e32 v40, vcc, s14, v7
	v_add_u32_e32 v14, -7, v12
	v_addc_co_u32_e32 v41, vcc, v21, v8, vcc
	v_lshlrev_b64 v[7:8], 3, v[14:15]
	v_add_co_u32_e32 v42, vcc, s12, v7
	v_addc_co_u32_e32 v43, vcc, v20, v8, vcc
	global_load_dwordx4 v[7:10], v[26:27], off
	s_waitcnt vmcnt(0)
	v_fma_f64 v[22:23], v[24:25], v[7:8], v[22:23]
	global_load_dwordx2 v[13:14], v[36:37], off
	global_load_dwordx2 v[24:25], v[28:29], off
	;; [unrolled: 1-line block ×4, first 2 shown]
	s_waitcnt vmcnt(3)
	v_fma_f64 v[7:8], v[13:14], v[7:8], v[30:31]
	v_subrev_u32_e32 v14, 20, v12
	s_waitcnt vmcnt(2)
	v_fma_f64 v[22:23], v[24:25], v[9:10], v[22:23]
	v_lshlrev_b64 v[24:25], 3, v[14:15]
	v_add_u32_e32 v14, -6, v12
	v_add_co_u32_e32 v24, vcc, s12, v24
	v_addc_co_u32_e32 v25, vcc, v20, v25, vcc
	s_waitcnt vmcnt(1)
	v_fma_f64 v[26:27], v[26:27], v[9:10], v[7:8]
	v_lshlrev_b64 v[7:8], 3, v[14:15]
	v_subrev_u32_e32 v14, 19, v12
	v_lshlrev_b64 v[9:10], 3, v[14:15]
	v_add_co_u32_e32 v28, vcc, s12, v7
	v_add_u32_e32 v14, 8, v16
	v_addc_co_u32_e32 v29, vcc, v20, v8, vcc
	v_add_co_u32_e32 v30, vcc, s12, v9
	v_lshlrev_b64 v[7:8], 3, v[14:15]
	v_addc_co_u32_e32 v31, vcc, v20, v10, vcc
	v_add_co_u32_e32 v32, vcc, s14, v7
	v_add_u32_e32 v14, -5, v12
	v_addc_co_u32_e32 v33, vcc, v21, v8, vcc
	v_lshlrev_b64 v[7:8], 3, v[14:15]
	v_add_co_u32_e32 v36, vcc, s12, v7
	v_addc_co_u32_e32 v37, vcc, v20, v8, vcc
	global_load_dwordx4 v[7:10], v[40:41], off
	s_waitcnt vmcnt(0)
	v_fma_f64 v[22:23], v[44:45], v[7:8], v[22:23]
	global_load_dwordx2 v[13:14], v[42:43], off
	global_load_dwordx2 v[38:39], v[24:25], off
	;; [unrolled: 1-line block ×4, first 2 shown]
	s_waitcnt vmcnt(3)
	v_fma_f64 v[7:8], v[13:14], v[7:8], v[26:27]
	v_subrev_u32_e32 v14, 18, v12
	v_lshlrev_b64 v[24:25], 3, v[14:15]
	v_add_u32_e32 v14, -4, v12
	v_add_co_u32_e32 v24, vcc, s12, v24
	v_addc_co_u32_e32 v25, vcc, v20, v25, vcc
	s_waitcnt vmcnt(1)
	v_fma_f64 v[26:27], v[40:41], v[9:10], v[7:8]
	v_lshlrev_b64 v[7:8], 3, v[14:15]
	v_subrev_u32_e32 v14, 17, v12
	v_fma_f64 v[22:23], v[38:39], v[9:10], v[22:23]
	v_lshlrev_b64 v[9:10], 3, v[14:15]
	v_add_co_u32_e32 v28, vcc, s12, v7
	v_add_u32_e32 v14, 10, v16
	v_addc_co_u32_e32 v29, vcc, v20, v8, vcc
	v_add_co_u32_e32 v30, vcc, s12, v9
	v_lshlrev_b64 v[7:8], 3, v[14:15]
	v_addc_co_u32_e32 v31, vcc, v20, v10, vcc
	v_add_co_u32_e32 v38, vcc, s14, v7
	v_add_u32_e32 v14, -3, v12
	v_addc_co_u32_e32 v39, vcc, v21, v8, vcc
	v_lshlrev_b64 v[7:8], 3, v[14:15]
	v_add_co_u32_e32 v40, vcc, s12, v7
	v_addc_co_u32_e32 v41, vcc, v20, v8, vcc
	global_load_dwordx4 v[7:10], v[32:33], off
	s_waitcnt vmcnt(0)
	v_fma_f64 v[22:23], v[44:45], v[7:8], v[22:23]
	global_load_dwordx2 v[13:14], v[36:37], off
	global_load_dwordx2 v[32:33], v[24:25], off
	;; [unrolled: 1-line block ×4, first 2 shown]
	s_waitcnt vmcnt(3)
	v_fma_f64 v[7:8], v[13:14], v[7:8], v[26:27]
	v_add_u32_e32 v14, -16, v12
	v_lshlrev_b64 v[24:25], 3, v[14:15]
	v_add_u32_e32 v14, -2, v12
	v_add_co_u32_e32 v24, vcc, s12, v24
	v_addc_co_u32_e32 v25, vcc, v20, v25, vcc
	s_waitcnt vmcnt(1)
	v_fma_f64 v[26:27], v[42:43], v[9:10], v[7:8]
	v_lshlrev_b64 v[7:8], 3, v[14:15]
	v_add_u32_e32 v14, -15, v12
	v_fma_f64 v[22:23], v[32:33], v[9:10], v[22:23]
	v_lshlrev_b64 v[9:10], 3, v[14:15]
	v_add_u32_e32 v14, 12, v16
	v_add_co_u32_e32 v16, vcc, s12, v7
	v_addc_co_u32_e32 v17, vcc, v20, v8, vcc
	v_lshlrev_b64 v[7:8], 3, v[14:15]
	v_add_co_u32_e32 v28, vcc, s12, v9
	v_addc_co_u32_e32 v29, vcc, v20, v10, vcc
	v_add_u32_e32 v14, -1, v12
	v_add_co_u32_e32 v30, vcc, s14, v7
	v_addc_co_u32_e32 v31, vcc, v21, v8, vcc
	v_lshlrev_b64 v[7:8], 3, v[14:15]
	v_add_u32_e32 v14, -14, v12
	v_add_co_u32_e32 v32, vcc, s12, v7
	v_addc_co_u32_e32 v33, vcc, v20, v8, vcc
	v_lshlrev_b64 v[7:8], 3, v[14:15]
	v_add_u32_e32 v12, 0x380, v12
	v_add_co_u32_e32 v13, vcc, s12, v7
	v_addc_co_u32_e32 v14, vcc, v20, v8, vcc
	global_load_dwordx4 v[7:10], v[38:39], off
	v_cmp_ge_i32_e32 vcc, v6, v19
	s_or_b64 s[0:1], vcc, s[0:1]
	s_waitcnt vmcnt(0)
	v_fma_f64 v[22:23], v[44:45], v[7:8], v[22:23]
	global_load_dwordx2 v[36:37], v[40:41], off
	global_load_dwordx2 v[38:39], v[24:25], off
	;; [unrolled: 1-line block ×4, first 2 shown]
	s_waitcnt vmcnt(3)
	v_fma_f64 v[7:8], v[36:37], v[7:8], v[26:27]
	s_waitcnt vmcnt(2)
	v_fma_f64 v[16:17], v[38:39], v[9:10], v[22:23]
	global_load_dwordx4 v[22:25], v[30:31], off
	global_load_dwordx2 v[26:27], v[32:33], off
	global_load_dwordx2 v[28:29], v[13:14], off
	;; [unrolled: 1-line block ×3, first 2 shown]
	s_waitcnt vmcnt(5)
	v_fma_f64 v[7:8], v[42:43], v[9:10], v[7:8]
	s_waitcnt vmcnt(3)
	v_fma_f64 v[9:10], v[44:45], v[22:23], v[16:17]
	;; [unrolled: 2-line block ×5, first 2 shown]
	s_andn2_b64 exec, exec, s[0:1]
	s_cbranch_execnz .LBB139_15
; %bb.16:
	s_or_b64 exec, exec, s[0:1]
.LBB139_17:
	s_or_b64 exec, exec, s[6:7]
.LBB139_18:
	v_mov_b32_dpp v6, v10 row_shr:1 row_mask:0xf bank_mask:0xf
	v_mov_b32_dpp v7, v11 row_shr:1 row_mask:0xf bank_mask:0xf
	v_add_f64 v[6:7], v[10:11], v[6:7]
	v_mov_b32_dpp v10, v8 row_shr:1 row_mask:0xf bank_mask:0xf
	v_mov_b32_dpp v11, v9 row_shr:1 row_mask:0xf bank_mask:0xf
	v_add_f64 v[8:9], v[8:9], v[10:11]
	v_cmp_eq_u32_e32 vcc, 31, v0
	v_mov_b32_dpp v10, v6 row_shr:2 row_mask:0xf bank_mask:0xf
	v_mov_b32_dpp v11, v7 row_shr:2 row_mask:0xf bank_mask:0xf
	v_add_f64 v[6:7], v[6:7], v[10:11]
	v_mov_b32_dpp v12, v8 row_shr:2 row_mask:0xf bank_mask:0xf
	v_mov_b32_dpp v13, v9 row_shr:2 row_mask:0xf bank_mask:0xf
	v_add_f64 v[8:9], v[8:9], v[12:13]
	;; [unrolled: 3-line block ×6, first 2 shown]
	v_mov_b32_dpp v8, v6 row_bcast:15 row_mask:0xa bank_mask:0xf
	v_mov_b32_dpp v9, v7 row_bcast:15 row_mask:0xa bank_mask:0xf
	v_mov_b32_dpp v12, v10 row_bcast:15 row_mask:0xa bank_mask:0xf
	v_mov_b32_dpp v13, v11 row_bcast:15 row_mask:0xa bank_mask:0xf
	s_and_b64 exec, exec, vcc
	s_cbranch_execz .LBB139_23
; %bb.19:
	v_add_f64 v[8:9], v[6:7], v[8:9]
	v_add_f64 v[6:7], v[10:11], v[12:13]
	v_cmp_eq_f64_e32 vcc, 0, v[3:4]
	s_load_dwordx2 s[0:1], s[4:5], 0x38
	s_and_saveexec_b64 s[2:3], vcc
	s_xor_b64 s[2:3], exec, s[2:3]
	s_cbranch_execz .LBB139_21
; %bb.20:
	v_mul_f64 v[3:4], v[1:2], v[8:9]
	v_lshlrev_b32_e32 v0, 1, v5
	v_mul_f64 v[5:6], v[1:2], v[6:7]
	v_ashrrev_i32_e32 v1, 31, v0
	v_lshlrev_b64 v[0:1], 3, v[0:1]
	s_waitcnt lgkmcnt(0)
	v_mov_b32_e32 v2, s1
	v_add_co_u32_e32 v0, vcc, s0, v0
	v_addc_co_u32_e32 v1, vcc, v2, v1, vcc
	global_store_dwordx4 v[0:1], v[3:6], off
                                        ; implicit-def: $vgpr5
                                        ; implicit-def: $vgpr1_vgpr2
                                        ; implicit-def: $vgpr8_vgpr9
                                        ; implicit-def: $vgpr3_vgpr4
                                        ; implicit-def: $vgpr6_vgpr7
.LBB139_21:
	s_andn2_saveexec_b64 s[2:3], s[2:3]
	s_cbranch_execz .LBB139_23
; %bb.22:
	v_lshlrev_b32_e32 v10, 1, v5
	v_ashrrev_i32_e32 v11, 31, v10
	v_lshlrev_b64 v[10:11], 3, v[10:11]
	s_waitcnt lgkmcnt(0)
	v_mov_b32_e32 v0, s1
	v_add_co_u32_e32 v14, vcc, s0, v10
	v_addc_co_u32_e32 v15, vcc, v0, v11, vcc
	global_load_dwordx4 v[10:13], v[14:15], off
	v_mul_f64 v[8:9], v[1:2], v[8:9]
	v_mul_f64 v[5:6], v[1:2], v[6:7]
	s_waitcnt vmcnt(0)
	v_fma_f64 v[0:1], v[3:4], v[10:11], v[8:9]
	v_fma_f64 v[2:3], v[3:4], v[12:13], v[5:6]
	global_store_dwordx4 v[14:15], v[0:3], off
.LBB139_23:
	s_endpgm
	.section	.rodata,"a",@progbits
	.p2align	6, 0x0
	.amdhsa_kernel _ZN9rocsparseL19gebsrmvn_2xn_kernelILj128ELj14ELj32EdEEvi20rocsparse_direction_NS_24const_host_device_scalarIT2_EEPKiS6_PKS3_S8_S4_PS3_21rocsparse_index_base_b
		.amdhsa_group_segment_fixed_size 0
		.amdhsa_private_segment_fixed_size 0
		.amdhsa_kernarg_size 72
		.amdhsa_user_sgpr_count 6
		.amdhsa_user_sgpr_private_segment_buffer 1
		.amdhsa_user_sgpr_dispatch_ptr 0
		.amdhsa_user_sgpr_queue_ptr 0
		.amdhsa_user_sgpr_kernarg_segment_ptr 1
		.amdhsa_user_sgpr_dispatch_id 0
		.amdhsa_user_sgpr_flat_scratch_init 0
		.amdhsa_user_sgpr_private_segment_size 0
		.amdhsa_uses_dynamic_stack 0
		.amdhsa_system_sgpr_private_segment_wavefront_offset 0
		.amdhsa_system_sgpr_workgroup_id_x 1
		.amdhsa_system_sgpr_workgroup_id_y 0
		.amdhsa_system_sgpr_workgroup_id_z 0
		.amdhsa_system_sgpr_workgroup_info 0
		.amdhsa_system_vgpr_workitem_id 0
		.amdhsa_next_free_vgpr 50
		.amdhsa_next_free_sgpr 16
		.amdhsa_reserve_vcc 1
		.amdhsa_reserve_flat_scratch 0
		.amdhsa_float_round_mode_32 0
		.amdhsa_float_round_mode_16_64 0
		.amdhsa_float_denorm_mode_32 3
		.amdhsa_float_denorm_mode_16_64 3
		.amdhsa_dx10_clamp 1
		.amdhsa_ieee_mode 1
		.amdhsa_fp16_overflow 0
		.amdhsa_exception_fp_ieee_invalid_op 0
		.amdhsa_exception_fp_denorm_src 0
		.amdhsa_exception_fp_ieee_div_zero 0
		.amdhsa_exception_fp_ieee_overflow 0
		.amdhsa_exception_fp_ieee_underflow 0
		.amdhsa_exception_fp_ieee_inexact 0
		.amdhsa_exception_int_div_zero 0
	.end_amdhsa_kernel
	.section	.text._ZN9rocsparseL19gebsrmvn_2xn_kernelILj128ELj14ELj32EdEEvi20rocsparse_direction_NS_24const_host_device_scalarIT2_EEPKiS6_PKS3_S8_S4_PS3_21rocsparse_index_base_b,"axG",@progbits,_ZN9rocsparseL19gebsrmvn_2xn_kernelILj128ELj14ELj32EdEEvi20rocsparse_direction_NS_24const_host_device_scalarIT2_EEPKiS6_PKS3_S8_S4_PS3_21rocsparse_index_base_b,comdat
.Lfunc_end139:
	.size	_ZN9rocsparseL19gebsrmvn_2xn_kernelILj128ELj14ELj32EdEEvi20rocsparse_direction_NS_24const_host_device_scalarIT2_EEPKiS6_PKS3_S8_S4_PS3_21rocsparse_index_base_b, .Lfunc_end139-_ZN9rocsparseL19gebsrmvn_2xn_kernelILj128ELj14ELj32EdEEvi20rocsparse_direction_NS_24const_host_device_scalarIT2_EEPKiS6_PKS3_S8_S4_PS3_21rocsparse_index_base_b
                                        ; -- End function
	.set _ZN9rocsparseL19gebsrmvn_2xn_kernelILj128ELj14ELj32EdEEvi20rocsparse_direction_NS_24const_host_device_scalarIT2_EEPKiS6_PKS3_S8_S4_PS3_21rocsparse_index_base_b.num_vgpr, 50
	.set _ZN9rocsparseL19gebsrmvn_2xn_kernelILj128ELj14ELj32EdEEvi20rocsparse_direction_NS_24const_host_device_scalarIT2_EEPKiS6_PKS3_S8_S4_PS3_21rocsparse_index_base_b.num_agpr, 0
	.set _ZN9rocsparseL19gebsrmvn_2xn_kernelILj128ELj14ELj32EdEEvi20rocsparse_direction_NS_24const_host_device_scalarIT2_EEPKiS6_PKS3_S8_S4_PS3_21rocsparse_index_base_b.numbered_sgpr, 16
	.set _ZN9rocsparseL19gebsrmvn_2xn_kernelILj128ELj14ELj32EdEEvi20rocsparse_direction_NS_24const_host_device_scalarIT2_EEPKiS6_PKS3_S8_S4_PS3_21rocsparse_index_base_b.num_named_barrier, 0
	.set _ZN9rocsparseL19gebsrmvn_2xn_kernelILj128ELj14ELj32EdEEvi20rocsparse_direction_NS_24const_host_device_scalarIT2_EEPKiS6_PKS3_S8_S4_PS3_21rocsparse_index_base_b.private_seg_size, 0
	.set _ZN9rocsparseL19gebsrmvn_2xn_kernelILj128ELj14ELj32EdEEvi20rocsparse_direction_NS_24const_host_device_scalarIT2_EEPKiS6_PKS3_S8_S4_PS3_21rocsparse_index_base_b.uses_vcc, 1
	.set _ZN9rocsparseL19gebsrmvn_2xn_kernelILj128ELj14ELj32EdEEvi20rocsparse_direction_NS_24const_host_device_scalarIT2_EEPKiS6_PKS3_S8_S4_PS3_21rocsparse_index_base_b.uses_flat_scratch, 0
	.set _ZN9rocsparseL19gebsrmvn_2xn_kernelILj128ELj14ELj32EdEEvi20rocsparse_direction_NS_24const_host_device_scalarIT2_EEPKiS6_PKS3_S8_S4_PS3_21rocsparse_index_base_b.has_dyn_sized_stack, 0
	.set _ZN9rocsparseL19gebsrmvn_2xn_kernelILj128ELj14ELj32EdEEvi20rocsparse_direction_NS_24const_host_device_scalarIT2_EEPKiS6_PKS3_S8_S4_PS3_21rocsparse_index_base_b.has_recursion, 0
	.set _ZN9rocsparseL19gebsrmvn_2xn_kernelILj128ELj14ELj32EdEEvi20rocsparse_direction_NS_24const_host_device_scalarIT2_EEPKiS6_PKS3_S8_S4_PS3_21rocsparse_index_base_b.has_indirect_call, 0
	.section	.AMDGPU.csdata,"",@progbits
; Kernel info:
; codeLenInByte = 3056
; TotalNumSgprs: 20
; NumVgprs: 50
; ScratchSize: 0
; MemoryBound: 1
; FloatMode: 240
; IeeeMode: 1
; LDSByteSize: 0 bytes/workgroup (compile time only)
; SGPRBlocks: 2
; VGPRBlocks: 12
; NumSGPRsForWavesPerEU: 20
; NumVGPRsForWavesPerEU: 50
; Occupancy: 4
; WaveLimiterHint : 1
; COMPUTE_PGM_RSRC2:SCRATCH_EN: 0
; COMPUTE_PGM_RSRC2:USER_SGPR: 6
; COMPUTE_PGM_RSRC2:TRAP_HANDLER: 0
; COMPUTE_PGM_RSRC2:TGID_X_EN: 1
; COMPUTE_PGM_RSRC2:TGID_Y_EN: 0
; COMPUTE_PGM_RSRC2:TGID_Z_EN: 0
; COMPUTE_PGM_RSRC2:TIDIG_COMP_CNT: 0
	.section	.text._ZN9rocsparseL19gebsrmvn_2xn_kernelILj128ELj14ELj64EdEEvi20rocsparse_direction_NS_24const_host_device_scalarIT2_EEPKiS6_PKS3_S8_S4_PS3_21rocsparse_index_base_b,"axG",@progbits,_ZN9rocsparseL19gebsrmvn_2xn_kernelILj128ELj14ELj64EdEEvi20rocsparse_direction_NS_24const_host_device_scalarIT2_EEPKiS6_PKS3_S8_S4_PS3_21rocsparse_index_base_b,comdat
	.globl	_ZN9rocsparseL19gebsrmvn_2xn_kernelILj128ELj14ELj64EdEEvi20rocsparse_direction_NS_24const_host_device_scalarIT2_EEPKiS6_PKS3_S8_S4_PS3_21rocsparse_index_base_b ; -- Begin function _ZN9rocsparseL19gebsrmvn_2xn_kernelILj128ELj14ELj64EdEEvi20rocsparse_direction_NS_24const_host_device_scalarIT2_EEPKiS6_PKS3_S8_S4_PS3_21rocsparse_index_base_b
	.p2align	8
	.type	_ZN9rocsparseL19gebsrmvn_2xn_kernelILj128ELj14ELj64EdEEvi20rocsparse_direction_NS_24const_host_device_scalarIT2_EEPKiS6_PKS3_S8_S4_PS3_21rocsparse_index_base_b,@function
_ZN9rocsparseL19gebsrmvn_2xn_kernelILj128ELj14ELj64EdEEvi20rocsparse_direction_NS_24const_host_device_scalarIT2_EEPKiS6_PKS3_S8_S4_PS3_21rocsparse_index_base_b: ; @_ZN9rocsparseL19gebsrmvn_2xn_kernelILj128ELj14ELj64EdEEvi20rocsparse_direction_NS_24const_host_device_scalarIT2_EEPKiS6_PKS3_S8_S4_PS3_21rocsparse_index_base_b
; %bb.0:
	s_load_dwordx2 s[2:3], s[4:5], 0x40
	s_load_dwordx2 s[10:11], s[4:5], 0x8
	;; [unrolled: 1-line block ×3, first 2 shown]
	s_waitcnt lgkmcnt(0)
	s_bitcmp1_b32 s3, 0
	s_cselect_b64 s[12:13], -1, 0
	v_mov_b32_e32 v1, s10
	s_xor_b64 s[8:9], s[12:13], -1
	s_and_b64 vcc, exec, s[12:13]
	v_mov_b32_e32 v2, s11
	s_cbranch_vccnz .LBB140_2
; %bb.1:
	v_mov_b32_e32 v1, s10
	v_mov_b32_e32 v2, s11
	flat_load_dwordx2 v[1:2], v[1:2]
.LBB140_2:
	v_mov_b32_e32 v4, s1
	s_andn2_b64 vcc, exec, s[8:9]
	v_mov_b32_e32 v3, s0
	s_cbranch_vccnz .LBB140_4
; %bb.3:
	v_mov_b32_e32 v4, s1
	v_mov_b32_e32 v3, s0
	flat_load_dwordx2 v[3:4], v[3:4]
.LBB140_4:
	s_waitcnt vmcnt(0) lgkmcnt(0)
	v_cmp_neq_f64_e32 vcc, 0, v[1:2]
	v_cmp_neq_f64_e64 s[0:1], 1.0, v[3:4]
	s_or_b64 s[0:1], vcc, s[0:1]
	s_and_saveexec_b64 s[8:9], s[0:1]
	s_cbranch_execz .LBB140_23
; %bb.5:
	s_load_dwordx2 s[0:1], s[4:5], 0x0
	v_lshrrev_b32_e32 v5, 6, v0
	v_lshl_or_b32 v5, s6, 1, v5
	s_waitcnt lgkmcnt(0)
	v_cmp_gt_i32_e32 vcc, s0, v5
	s_and_b64 exec, exec, vcc
	s_cbranch_execz .LBB140_23
; %bb.6:
	s_load_dwordx8 s[8:15], s[4:5], 0x10
	v_ashrrev_i32_e32 v6, 31, v5
	v_lshlrev_b64 v[6:7], 2, v[5:6]
	v_and_b32_e32 v0, 63, v0
	s_cmp_lg_u32 s1, 0
	s_waitcnt lgkmcnt(0)
	v_mov_b32_e32 v8, s9
	v_add_co_u32_e32 v6, vcc, s8, v6
	v_addc_co_u32_e32 v7, vcc, v8, v7, vcc
	global_load_dwordx2 v[6:7], v[6:7], off
	s_waitcnt vmcnt(0)
	v_subrev_u32_e32 v6, s2, v6
	v_subrev_u32_e32 v19, s2, v7
	v_add_u32_e32 v6, v6, v0
	v_cmp_lt_i32_e64 s[0:1], v6, v19
	s_cbranch_scc0 .LBB140_12
; %bb.7:
	v_mov_b32_e32 v10, 0
	v_mov_b32_e32 v8, 0
	;; [unrolled: 1-line block ×4, first 2 shown]
	s_and_saveexec_b64 s[6:7], s[0:1]
	s_cbranch_execz .LBB140_11
; %bb.8:
	v_mad_u64_u32 v[12:13], s[8:9], v6, 28, 26
	v_mov_b32_e32 v10, 0
	v_mov_b32_e32 v8, 0
	;; [unrolled: 1-line block ×3, first 2 shown]
	s_mov_b64 s[8:9], 0
	v_mov_b32_e32 v7, s11
	v_mov_b32_e32 v15, 0
	;; [unrolled: 1-line block ×6, first 2 shown]
.LBB140_9:                              ; =>This Inner Loop Header: Depth=1
	v_ashrrev_i32_e32 v17, 31, v16
	v_lshlrev_b64 v[22:23], 2, v[16:17]
	v_subrev_u32_e32 v14, 26, v12
	v_lshlrev_b64 v[24:25], 3, v[14:15]
	v_add_co_u32_e32 v30, vcc, s10, v22
	v_mov_b32_e32 v13, v15
	v_addc_co_u32_e32 v31, vcc, v7, v23, vcc
	v_lshlrev_b64 v[26:27], 3, v[12:13]
	v_add_co_u32_e32 v32, vcc, s12, v24
	v_addc_co_u32_e32 v33, vcc, v20, v25, vcc
	v_add_co_u32_e32 v46, vcc, s12, v26
	v_addc_co_u32_e32 v47, vcc, v20, v27, vcc
	global_load_dword v17, v[30:31], off
	global_load_dwordx4 v[22:25], v[32:33], off
	global_load_dwordx4 v[26:29], v[32:33], off offset:16
	v_subrev_u32_e32 v14, 22, v12
	v_lshlrev_b64 v[13:14], 3, v[14:15]
	v_mov_b32_e32 v18, v15
	v_add_co_u32_e32 v13, vcc, s12, v13
	v_addc_co_u32_e32 v14, vcc, v20, v14, vcc
	global_load_dwordx4 v[30:33], v[13:14], off
	v_add_u32_e32 v16, 64, v16
	s_waitcnt vmcnt(3)
	v_subrev_u32_e32 v13, s2, v17
	v_mul_lo_u32 v17, v13, 14
	v_lshlrev_b64 v[34:35], 3, v[17:18]
	v_add_u32_e32 v14, 2, v17
	v_add_co_u32_e32 v34, vcc, s14, v34
	v_addc_co_u32_e32 v35, vcc, v21, v35, vcc
	global_load_dwordx4 v[34:37], v[34:35], off
	v_lshlrev_b64 v[38:39], 3, v[14:15]
	v_subrev_u32_e32 v14, 20, v12
	v_add_co_u32_e32 v38, vcc, s14, v38
	v_addc_co_u32_e32 v39, vcc, v21, v39, vcc
	global_load_dwordx4 v[38:41], v[38:39], off
	v_lshlrev_b64 v[42:43], 3, v[14:15]
	v_subrev_u32_e32 v14, 18, v12
	v_add_co_u32_e32 v42, vcc, s12, v42
	v_addc_co_u32_e32 v43, vcc, v20, v43, vcc
	v_lshlrev_b64 v[44:45], 3, v[14:15]
	v_add_u32_e32 v14, 4, v17
	v_lshlrev_b64 v[48:49], 3, v[14:15]
	v_add_u32_e32 v14, -16, v12
	s_waitcnt vmcnt(1)
	v_fma_f64 v[22:23], v[22:23], v[34:35], v[10:11]
	v_fma_f64 v[24:25], v[24:25], v[34:35], v[8:9]
	global_load_dwordx4 v[8:11], v[42:43], off
	v_add_co_u32_e32 v34, vcc, s12, v44
	v_addc_co_u32_e32 v35, vcc, v20, v45, vcc
	v_fma_f64 v[44:45], v[26:27], v[36:37], v[22:23]
	v_add_co_u32_e32 v26, vcc, s14, v48
	v_addc_co_u32_e32 v27, vcc, v21, v49, vcc
	v_fma_f64 v[36:37], v[28:29], v[36:37], v[24:25]
	global_load_dwordx4 v[22:25], v[34:35], off
	v_lshlrev_b64 v[42:43], 3, v[14:15]
	global_load_dwordx4 v[26:29], v[26:27], off
	v_add_co_u32_e32 v42, vcc, s12, v42
	v_addc_co_u32_e32 v43, vcc, v20, v43, vcc
	s_waitcnt vmcnt(3)
	v_fma_f64 v[44:45], v[30:31], v[38:39], v[44:45]
	v_fma_f64 v[36:37], v[32:33], v[38:39], v[36:37]
	global_load_dwordx4 v[30:33], v[42:43], off
	v_add_u32_e32 v14, -14, v12
	v_lshlrev_b64 v[34:35], 3, v[14:15]
	v_add_u32_e32 v14, 6, v17
	v_lshlrev_b64 v[48:49], 3, v[14:15]
	v_add_co_u32_e32 v34, vcc, s12, v34
	v_addc_co_u32_e32 v35, vcc, v20, v35, vcc
	v_add_u32_e32 v14, -12, v12
	v_lshlrev_b64 v[38:39], 3, v[14:15]
	v_add_u32_e32 v14, -10, v12
	s_waitcnt vmcnt(3)
	v_fma_f64 v[42:43], v[8:9], v[40:41], v[44:45]
	v_fma_f64 v[40:41], v[10:11], v[40:41], v[36:37]
	global_load_dwordx4 v[8:11], v[34:35], off
	v_add_co_u32_e32 v34, vcc, s14, v48
	v_addc_co_u32_e32 v35, vcc, v21, v49, vcc
	global_load_dwordx4 v[34:37], v[34:35], off
	v_add_co_u32_e32 v38, vcc, s12, v38
	v_addc_co_u32_e32 v39, vcc, v20, v39, vcc
	v_lshlrev_b64 v[44:45], 3, v[14:15]
	v_add_u32_e32 v14, 8, v17
	s_waitcnt vmcnt(3)
	v_fma_f64 v[42:43], v[22:23], v[26:27], v[42:43]
	v_fma_f64 v[26:27], v[24:25], v[26:27], v[40:41]
	global_load_dwordx4 v[22:25], v[38:39], off
	v_lshlrev_b64 v[48:49], 3, v[14:15]
	v_add_co_u32_e32 v38, vcc, s12, v44
	v_addc_co_u32_e32 v39, vcc, v20, v45, vcc
	s_waitcnt vmcnt(3)
	v_fma_f64 v[42:43], v[30:31], v[28:29], v[42:43]
	v_add_co_u32_e32 v30, vcc, s14, v48
	v_addc_co_u32_e32 v31, vcc, v21, v49, vcc
	v_fma_f64 v[44:45], v[32:33], v[28:29], v[26:27]
	global_load_dwordx4 v[26:29], v[38:39], off
	v_add_u32_e32 v14, -8, v12
	global_load_dwordx4 v[30:33], v[30:31], off
	v_lshlrev_b64 v[40:41], 3, v[14:15]
	v_add_u32_e32 v14, -6, v12
	v_add_co_u32_e32 v40, vcc, s12, v40
	v_addc_co_u32_e32 v41, vcc, v20, v41, vcc
	s_waitcnt vmcnt(3)
	v_fma_f64 v[42:43], v[8:9], v[34:35], v[42:43]
	v_fma_f64 v[34:35], v[10:11], v[34:35], v[44:45]
	global_load_dwordx4 v[8:11], v[40:41], off
	v_lshlrev_b64 v[38:39], 3, v[14:15]
	v_add_u32_e32 v14, 10, v17
	v_lshlrev_b64 v[48:49], 3, v[14:15]
	v_add_co_u32_e32 v38, vcc, s12, v38
	v_addc_co_u32_e32 v39, vcc, v20, v39, vcc
	s_waitcnt vmcnt(3)
	v_fma_f64 v[44:45], v[24:25], v[36:37], v[34:35]
	v_add_co_u32_e32 v34, vcc, s14, v48
	v_addc_co_u32_e32 v35, vcc, v21, v49, vcc
	v_fma_f64 v[42:43], v[22:23], v[36:37], v[42:43]
	global_load_dwordx4 v[22:25], v[38:39], off
	v_add_u32_e32 v14, -4, v12
	global_load_dwordx4 v[34:37], v[34:35], off
	v_lshlrev_b64 v[40:41], 3, v[14:15]
	v_add_u32_e32 v14, -2, v12
	v_lshlrev_b64 v[38:39], 3, v[14:15]
	v_add_u32_e32 v14, 12, v17
	v_add_co_u32_e32 v17, vcc, s12, v40
	v_addc_co_u32_e32 v18, vcc, v20, v41, vcc
	v_add_co_u32_e32 v48, vcc, s12, v38
	v_addc_co_u32_e32 v49, vcc, v20, v39, vcc
	global_load_dwordx4 v[38:41], v[17:18], off
	v_lshlrev_b64 v[13:14], 3, v[14:15]
	s_waitcnt vmcnt(4)
	v_fma_f64 v[17:18], v[26:27], v[30:31], v[42:43]
	v_add_co_u32_e32 v13, vcc, s14, v13
	v_addc_co_u32_e32 v14, vcc, v21, v14, vcc
	v_fma_f64 v[30:31], v[28:29], v[30:31], v[44:45]
	global_load_dwordx4 v[26:29], v[48:49], off
	global_load_dwordx4 v[42:45], v[13:14], off
	v_cmp_ge_i32_e32 vcc, v16, v19
	s_or_b64 s[8:9], vcc, s[8:9]
	v_add_u32_e32 v12, 0x700, v12
	s_waitcnt vmcnt(5)
	v_fma_f64 v[8:9], v[8:9], v[32:33], v[17:18]
	v_fma_f64 v[10:11], v[10:11], v[32:33], v[30:31]
	global_load_dwordx4 v[30:33], v[46:47], off
	s_waitcnt vmcnt(4)
	v_fma_f64 v[8:9], v[22:23], v[34:35], v[8:9]
	v_fma_f64 v[10:11], v[24:25], v[34:35], v[10:11]
	s_waitcnt vmcnt(3)
	v_fma_f64 v[8:9], v[38:39], v[36:37], v[8:9]
	v_fma_f64 v[10:11], v[40:41], v[36:37], v[10:11]
	;; [unrolled: 3-line block ×4, first 2 shown]
	s_andn2_b64 exec, exec, s[8:9]
	s_cbranch_execnz .LBB140_9
; %bb.10:
	s_or_b64 exec, exec, s[8:9]
.LBB140_11:
	s_or_b64 exec, exec, s[6:7]
	s_cbranch_execz .LBB140_13
	s_branch .LBB140_18
.LBB140_12:
                                        ; implicit-def: $vgpr10_vgpr11
                                        ; implicit-def: $vgpr8_vgpr9
.LBB140_13:
	v_mov_b32_e32 v10, 0
	v_mov_b32_e32 v8, 0
	;; [unrolled: 1-line block ×4, first 2 shown]
	s_and_saveexec_b64 s[6:7], s[0:1]
	s_cbranch_execz .LBB140_17
; %bb.14:
	v_mad_u64_u32 v[12:13], s[0:1], v6, 28, 27
	v_mov_b32_e32 v10, 0
	v_mov_b32_e32 v8, 0
	;; [unrolled: 1-line block ×3, first 2 shown]
	s_mov_b64 s[0:1], 0
	v_mov_b32_e32 v18, s11
	v_mov_b32_e32 v15, 0
	;; [unrolled: 1-line block ×5, first 2 shown]
.LBB140_15:                             ; =>This Inner Loop Header: Depth=1
	v_ashrrev_i32_e32 v7, 31, v6
	v_lshlrev_b64 v[24:25], 2, v[6:7]
	v_subrev_u32_e32 v14, 27, v12
	v_lshlrev_b64 v[26:27], 3, v[14:15]
	v_add_co_u32_e32 v30, vcc, s10, v24
	v_addc_co_u32_e32 v31, vcc, v18, v25, vcc
	v_add_u32_e32 v22, -13, v12
	v_mov_b32_e32 v23, v15
	v_add_co_u32_e32 v32, vcc, s12, v26
	v_lshlrev_b64 v[34:35], 3, v[22:23]
	v_addc_co_u32_e32 v33, vcc, v20, v27, vcc
	global_load_dword v7, v[30:31], off
	global_load_dwordx4 v[22:25], v[32:33], off
	global_load_dwordx4 v[26:29], v[32:33], off offset:16
	v_mov_b32_e32 v17, v15
	v_mov_b32_e32 v13, v15
	v_lshlrev_b64 v[36:37], 3, v[12:13]
	v_add_u32_e32 v14, -12, v12
	v_add_u32_e32 v6, 64, v6
	s_waitcnt vmcnt(2)
	v_subrev_u32_e32 v7, s2, v7
	v_mul_lo_u32 v16, v7, 14
	v_lshlrev_b64 v[30:31], 3, v[16:17]
	v_add_co_u32_e32 v30, vcc, s14, v30
	v_addc_co_u32_e32 v31, vcc, v21, v31, vcc
	global_load_dwordx4 v[30:33], v[30:31], off
	s_waitcnt vmcnt(0)
	v_fma_f64 v[10:11], v[22:23], v[30:31], v[10:11]
	v_fma_f64 v[22:23], v[24:25], v[32:33], v[10:11]
	v_add_co_u32_e32 v24, vcc, s12, v34
	v_addc_co_u32_e32 v25, vcc, v20, v35, vcc
	v_lshlrev_b64 v[10:11], 3, v[14:15]
	v_add_co_u32_e32 v34, vcc, s12, v36
	v_addc_co_u32_e32 v35, vcc, v20, v37, vcc
	v_add_co_u32_e32 v10, vcc, s12, v10
	v_addc_co_u32_e32 v11, vcc, v20, v11, vcc
	global_load_dwordx2 v[38:39], v[24:25], off
	global_load_dwordx2 v[40:41], v[10:11], off
	v_add_u32_e32 v14, 2, v16
	v_lshlrev_b64 v[13:14], 3, v[14:15]
	v_add_co_u32_e32 v36, vcc, s14, v13
	v_addc_co_u32_e32 v37, vcc, v21, v14, vcc
	v_add_u32_e32 v14, -11, v12
	v_lshlrev_b64 v[24:25], 3, v[14:15]
	v_add_u32_e32 v14, -10, v12
	v_add_co_u32_e32 v24, vcc, s12, v24
	v_addc_co_u32_e32 v25, vcc, v20, v25, vcc
	s_waitcnt vmcnt(1)
	v_fma_f64 v[7:8], v[38:39], v[30:31], v[8:9]
	s_waitcnt vmcnt(0)
	v_fma_f64 v[30:31], v[40:41], v[32:33], v[7:8]
	global_load_dwordx4 v[7:10], v[36:37], off
	v_lshlrev_b64 v[32:33], 3, v[14:15]
	v_subrev_u32_e32 v14, 23, v12
	v_add_co_u32_e32 v32, vcc, s12, v32
	v_addc_co_u32_e32 v33, vcc, v20, v33, vcc
	global_load_dwordx2 v[38:39], v[24:25], off
	global_load_dwordx2 v[40:41], v[32:33], off
	v_lshlrev_b64 v[36:37], 3, v[14:15]
	v_add_u32_e32 v14, 4, v16
	s_waitcnt vmcnt(2)
	v_fma_f64 v[22:23], v[26:27], v[7:8], v[22:23]
	v_lshlrev_b64 v[26:27], 3, v[14:15]
	v_add_u32_e32 v14, -9, v12
	v_lshlrev_b64 v[13:14], 3, v[14:15]
	s_waitcnt vmcnt(1)
	v_fma_f64 v[7:8], v[38:39], v[7:8], v[30:31]
	v_fma_f64 v[22:23], v[28:29], v[9:10], v[22:23]
	v_add_co_u32_e32 v28, vcc, s12, v36
	v_addc_co_u32_e32 v29, vcc, v20, v37, vcc
	v_add_co_u32_e32 v26, vcc, s14, v26
	v_addc_co_u32_e32 v27, vcc, v21, v27, vcc
	;; [unrolled: 2-line block ×3, first 2 shown]
	v_subrev_u32_e32 v14, 22, v12
	global_load_dwordx2 v[24:25], v[28:29], off
	v_lshlrev_b64 v[28:29], 3, v[14:15]
	v_add_u32_e32 v14, -8, v12
	s_waitcnt vmcnt(1)
	v_fma_f64 v[30:31], v[40:41], v[9:10], v[7:8]
	v_lshlrev_b64 v[7:8], 3, v[14:15]
	v_add_co_u32_e32 v28, vcc, s12, v28
	v_subrev_u32_e32 v14, 21, v12
	v_addc_co_u32_e32 v29, vcc, v20, v29, vcc
	v_lshlrev_b64 v[9:10], 3, v[14:15]
	v_add_co_u32_e32 v32, vcc, s12, v7
	v_add_u32_e32 v14, 6, v16
	v_addc_co_u32_e32 v33, vcc, v20, v8, vcc
	v_add_co_u32_e32 v38, vcc, s12, v9
	v_lshlrev_b64 v[7:8], 3, v[14:15]
	v_addc_co_u32_e32 v39, vcc, v20, v10, vcc
	v_add_co_u32_e32 v40, vcc, s14, v7
	v_add_u32_e32 v14, -7, v12
	v_addc_co_u32_e32 v41, vcc, v21, v8, vcc
	v_lshlrev_b64 v[7:8], 3, v[14:15]
	v_add_co_u32_e32 v42, vcc, s12, v7
	v_addc_co_u32_e32 v43, vcc, v20, v8, vcc
	global_load_dwordx4 v[7:10], v[26:27], off
	s_waitcnt vmcnt(0)
	v_fma_f64 v[22:23], v[24:25], v[7:8], v[22:23]
	global_load_dwordx2 v[13:14], v[36:37], off
	global_load_dwordx2 v[24:25], v[28:29], off
	;; [unrolled: 1-line block ×4, first 2 shown]
	s_waitcnt vmcnt(3)
	v_fma_f64 v[7:8], v[13:14], v[7:8], v[30:31]
	v_subrev_u32_e32 v14, 20, v12
	s_waitcnt vmcnt(2)
	v_fma_f64 v[22:23], v[24:25], v[9:10], v[22:23]
	v_lshlrev_b64 v[24:25], 3, v[14:15]
	v_add_u32_e32 v14, -6, v12
	v_add_co_u32_e32 v24, vcc, s12, v24
	v_addc_co_u32_e32 v25, vcc, v20, v25, vcc
	s_waitcnt vmcnt(1)
	v_fma_f64 v[26:27], v[26:27], v[9:10], v[7:8]
	v_lshlrev_b64 v[7:8], 3, v[14:15]
	v_subrev_u32_e32 v14, 19, v12
	v_lshlrev_b64 v[9:10], 3, v[14:15]
	v_add_co_u32_e32 v28, vcc, s12, v7
	v_add_u32_e32 v14, 8, v16
	v_addc_co_u32_e32 v29, vcc, v20, v8, vcc
	v_add_co_u32_e32 v30, vcc, s12, v9
	v_lshlrev_b64 v[7:8], 3, v[14:15]
	v_addc_co_u32_e32 v31, vcc, v20, v10, vcc
	v_add_co_u32_e32 v32, vcc, s14, v7
	v_add_u32_e32 v14, -5, v12
	v_addc_co_u32_e32 v33, vcc, v21, v8, vcc
	v_lshlrev_b64 v[7:8], 3, v[14:15]
	v_add_co_u32_e32 v36, vcc, s12, v7
	v_addc_co_u32_e32 v37, vcc, v20, v8, vcc
	global_load_dwordx4 v[7:10], v[40:41], off
	s_waitcnt vmcnt(0)
	v_fma_f64 v[22:23], v[44:45], v[7:8], v[22:23]
	global_load_dwordx2 v[13:14], v[42:43], off
	global_load_dwordx2 v[38:39], v[24:25], off
	;; [unrolled: 1-line block ×4, first 2 shown]
	s_waitcnt vmcnt(3)
	v_fma_f64 v[7:8], v[13:14], v[7:8], v[26:27]
	v_subrev_u32_e32 v14, 18, v12
	v_lshlrev_b64 v[24:25], 3, v[14:15]
	v_add_u32_e32 v14, -4, v12
	v_add_co_u32_e32 v24, vcc, s12, v24
	v_addc_co_u32_e32 v25, vcc, v20, v25, vcc
	s_waitcnt vmcnt(1)
	v_fma_f64 v[26:27], v[40:41], v[9:10], v[7:8]
	v_lshlrev_b64 v[7:8], 3, v[14:15]
	v_subrev_u32_e32 v14, 17, v12
	v_fma_f64 v[22:23], v[38:39], v[9:10], v[22:23]
	v_lshlrev_b64 v[9:10], 3, v[14:15]
	v_add_co_u32_e32 v28, vcc, s12, v7
	v_add_u32_e32 v14, 10, v16
	v_addc_co_u32_e32 v29, vcc, v20, v8, vcc
	v_add_co_u32_e32 v30, vcc, s12, v9
	v_lshlrev_b64 v[7:8], 3, v[14:15]
	v_addc_co_u32_e32 v31, vcc, v20, v10, vcc
	v_add_co_u32_e32 v38, vcc, s14, v7
	v_add_u32_e32 v14, -3, v12
	v_addc_co_u32_e32 v39, vcc, v21, v8, vcc
	v_lshlrev_b64 v[7:8], 3, v[14:15]
	v_add_co_u32_e32 v40, vcc, s12, v7
	v_addc_co_u32_e32 v41, vcc, v20, v8, vcc
	global_load_dwordx4 v[7:10], v[32:33], off
	s_waitcnt vmcnt(0)
	v_fma_f64 v[22:23], v[44:45], v[7:8], v[22:23]
	global_load_dwordx2 v[13:14], v[36:37], off
	global_load_dwordx2 v[32:33], v[24:25], off
	;; [unrolled: 1-line block ×4, first 2 shown]
	s_waitcnt vmcnt(3)
	v_fma_f64 v[7:8], v[13:14], v[7:8], v[26:27]
	v_add_u32_e32 v14, -16, v12
	v_lshlrev_b64 v[24:25], 3, v[14:15]
	v_add_u32_e32 v14, -2, v12
	v_add_co_u32_e32 v24, vcc, s12, v24
	v_addc_co_u32_e32 v25, vcc, v20, v25, vcc
	s_waitcnt vmcnt(1)
	v_fma_f64 v[26:27], v[42:43], v[9:10], v[7:8]
	v_lshlrev_b64 v[7:8], 3, v[14:15]
	v_add_u32_e32 v14, -15, v12
	v_fma_f64 v[22:23], v[32:33], v[9:10], v[22:23]
	v_lshlrev_b64 v[9:10], 3, v[14:15]
	v_add_u32_e32 v14, 12, v16
	v_add_co_u32_e32 v16, vcc, s12, v7
	v_addc_co_u32_e32 v17, vcc, v20, v8, vcc
	v_lshlrev_b64 v[7:8], 3, v[14:15]
	v_add_co_u32_e32 v28, vcc, s12, v9
	v_addc_co_u32_e32 v29, vcc, v20, v10, vcc
	v_add_u32_e32 v14, -1, v12
	v_add_co_u32_e32 v30, vcc, s14, v7
	v_addc_co_u32_e32 v31, vcc, v21, v8, vcc
	v_lshlrev_b64 v[7:8], 3, v[14:15]
	v_add_u32_e32 v14, -14, v12
	v_add_co_u32_e32 v32, vcc, s12, v7
	v_addc_co_u32_e32 v33, vcc, v20, v8, vcc
	v_lshlrev_b64 v[7:8], 3, v[14:15]
	v_add_u32_e32 v12, 0x700, v12
	v_add_co_u32_e32 v13, vcc, s12, v7
	v_addc_co_u32_e32 v14, vcc, v20, v8, vcc
	global_load_dwordx4 v[7:10], v[38:39], off
	v_cmp_ge_i32_e32 vcc, v6, v19
	s_or_b64 s[0:1], vcc, s[0:1]
	s_waitcnt vmcnt(0)
	v_fma_f64 v[22:23], v[44:45], v[7:8], v[22:23]
	global_load_dwordx2 v[36:37], v[40:41], off
	global_load_dwordx2 v[38:39], v[24:25], off
	;; [unrolled: 1-line block ×4, first 2 shown]
	s_waitcnt vmcnt(3)
	v_fma_f64 v[7:8], v[36:37], v[7:8], v[26:27]
	s_waitcnt vmcnt(2)
	v_fma_f64 v[16:17], v[38:39], v[9:10], v[22:23]
	global_load_dwordx4 v[22:25], v[30:31], off
	global_load_dwordx2 v[26:27], v[32:33], off
	global_load_dwordx2 v[28:29], v[13:14], off
	;; [unrolled: 1-line block ×3, first 2 shown]
	s_waitcnt vmcnt(5)
	v_fma_f64 v[7:8], v[42:43], v[9:10], v[7:8]
	s_waitcnt vmcnt(3)
	v_fma_f64 v[9:10], v[44:45], v[22:23], v[16:17]
	;; [unrolled: 2-line block ×5, first 2 shown]
	s_andn2_b64 exec, exec, s[0:1]
	s_cbranch_execnz .LBB140_15
; %bb.16:
	s_or_b64 exec, exec, s[0:1]
.LBB140_17:
	s_or_b64 exec, exec, s[6:7]
.LBB140_18:
	v_mov_b32_dpp v6, v10 row_shr:1 row_mask:0xf bank_mask:0xf
	v_mov_b32_dpp v7, v11 row_shr:1 row_mask:0xf bank_mask:0xf
	v_add_f64 v[6:7], v[10:11], v[6:7]
	v_mov_b32_dpp v10, v8 row_shr:1 row_mask:0xf bank_mask:0xf
	v_mov_b32_dpp v11, v9 row_shr:1 row_mask:0xf bank_mask:0xf
	v_add_f64 v[8:9], v[8:9], v[10:11]
	v_cmp_eq_u32_e32 vcc, 63, v0
	v_mov_b32_dpp v10, v6 row_shr:2 row_mask:0xf bank_mask:0xf
	v_mov_b32_dpp v11, v7 row_shr:2 row_mask:0xf bank_mask:0xf
	v_add_f64 v[6:7], v[6:7], v[10:11]
	v_mov_b32_dpp v12, v8 row_shr:2 row_mask:0xf bank_mask:0xf
	v_mov_b32_dpp v13, v9 row_shr:2 row_mask:0xf bank_mask:0xf
	v_add_f64 v[8:9], v[8:9], v[12:13]
	;; [unrolled: 3-line block ×6, first 2 shown]
	v_mov_b32_dpp v10, v6 row_bcast:15 row_mask:0xa bank_mask:0xf
	v_mov_b32_dpp v11, v7 row_bcast:15 row_mask:0xa bank_mask:0xf
	v_add_f64 v[6:7], v[6:7], v[10:11]
	v_mov_b32_dpp v12, v8 row_bcast:15 row_mask:0xa bank_mask:0xf
	v_mov_b32_dpp v13, v9 row_bcast:15 row_mask:0xa bank_mask:0xf
	v_add_f64 v[10:11], v[8:9], v[12:13]
	v_mov_b32_dpp v8, v6 row_bcast:31 row_mask:0xc bank_mask:0xf
	v_mov_b32_dpp v9, v7 row_bcast:31 row_mask:0xc bank_mask:0xf
	;; [unrolled: 1-line block ×4, first 2 shown]
	s_and_b64 exec, exec, vcc
	s_cbranch_execz .LBB140_23
; %bb.19:
	v_add_f64 v[8:9], v[6:7], v[8:9]
	v_add_f64 v[6:7], v[10:11], v[12:13]
	v_cmp_eq_f64_e32 vcc, 0, v[3:4]
	s_load_dwordx2 s[0:1], s[4:5], 0x38
	s_and_saveexec_b64 s[2:3], vcc
	s_xor_b64 s[2:3], exec, s[2:3]
	s_cbranch_execz .LBB140_21
; %bb.20:
	v_mul_f64 v[3:4], v[1:2], v[8:9]
	v_lshlrev_b32_e32 v0, 1, v5
	v_mul_f64 v[5:6], v[1:2], v[6:7]
	v_ashrrev_i32_e32 v1, 31, v0
	v_lshlrev_b64 v[0:1], 3, v[0:1]
	s_waitcnt lgkmcnt(0)
	v_mov_b32_e32 v2, s1
	v_add_co_u32_e32 v0, vcc, s0, v0
	v_addc_co_u32_e32 v1, vcc, v2, v1, vcc
	global_store_dwordx4 v[0:1], v[3:6], off
                                        ; implicit-def: $vgpr5
                                        ; implicit-def: $vgpr1_vgpr2
                                        ; implicit-def: $vgpr8_vgpr9
                                        ; implicit-def: $vgpr3_vgpr4
                                        ; implicit-def: $vgpr6_vgpr7
.LBB140_21:
	s_andn2_saveexec_b64 s[2:3], s[2:3]
	s_cbranch_execz .LBB140_23
; %bb.22:
	v_lshlrev_b32_e32 v10, 1, v5
	v_ashrrev_i32_e32 v11, 31, v10
	v_lshlrev_b64 v[10:11], 3, v[10:11]
	s_waitcnt lgkmcnt(0)
	v_mov_b32_e32 v0, s1
	v_add_co_u32_e32 v14, vcc, s0, v10
	v_addc_co_u32_e32 v15, vcc, v0, v11, vcc
	global_load_dwordx4 v[10:13], v[14:15], off
	v_mul_f64 v[8:9], v[1:2], v[8:9]
	v_mul_f64 v[5:6], v[1:2], v[6:7]
	s_waitcnt vmcnt(0)
	v_fma_f64 v[0:1], v[3:4], v[10:11], v[8:9]
	v_fma_f64 v[2:3], v[3:4], v[12:13], v[5:6]
	global_store_dwordx4 v[14:15], v[0:3], off
.LBB140_23:
	s_endpgm
	.section	.rodata,"a",@progbits
	.p2align	6, 0x0
	.amdhsa_kernel _ZN9rocsparseL19gebsrmvn_2xn_kernelILj128ELj14ELj64EdEEvi20rocsparse_direction_NS_24const_host_device_scalarIT2_EEPKiS6_PKS3_S8_S4_PS3_21rocsparse_index_base_b
		.amdhsa_group_segment_fixed_size 0
		.amdhsa_private_segment_fixed_size 0
		.amdhsa_kernarg_size 72
		.amdhsa_user_sgpr_count 6
		.amdhsa_user_sgpr_private_segment_buffer 1
		.amdhsa_user_sgpr_dispatch_ptr 0
		.amdhsa_user_sgpr_queue_ptr 0
		.amdhsa_user_sgpr_kernarg_segment_ptr 1
		.amdhsa_user_sgpr_dispatch_id 0
		.amdhsa_user_sgpr_flat_scratch_init 0
		.amdhsa_user_sgpr_private_segment_size 0
		.amdhsa_uses_dynamic_stack 0
		.amdhsa_system_sgpr_private_segment_wavefront_offset 0
		.amdhsa_system_sgpr_workgroup_id_x 1
		.amdhsa_system_sgpr_workgroup_id_y 0
		.amdhsa_system_sgpr_workgroup_id_z 0
		.amdhsa_system_sgpr_workgroup_info 0
		.amdhsa_system_vgpr_workitem_id 0
		.amdhsa_next_free_vgpr 50
		.amdhsa_next_free_sgpr 16
		.amdhsa_reserve_vcc 1
		.amdhsa_reserve_flat_scratch 0
		.amdhsa_float_round_mode_32 0
		.amdhsa_float_round_mode_16_64 0
		.amdhsa_float_denorm_mode_32 3
		.amdhsa_float_denorm_mode_16_64 3
		.amdhsa_dx10_clamp 1
		.amdhsa_ieee_mode 1
		.amdhsa_fp16_overflow 0
		.amdhsa_exception_fp_ieee_invalid_op 0
		.amdhsa_exception_fp_denorm_src 0
		.amdhsa_exception_fp_ieee_div_zero 0
		.amdhsa_exception_fp_ieee_overflow 0
		.amdhsa_exception_fp_ieee_underflow 0
		.amdhsa_exception_fp_ieee_inexact 0
		.amdhsa_exception_int_div_zero 0
	.end_amdhsa_kernel
	.section	.text._ZN9rocsparseL19gebsrmvn_2xn_kernelILj128ELj14ELj64EdEEvi20rocsparse_direction_NS_24const_host_device_scalarIT2_EEPKiS6_PKS3_S8_S4_PS3_21rocsparse_index_base_b,"axG",@progbits,_ZN9rocsparseL19gebsrmvn_2xn_kernelILj128ELj14ELj64EdEEvi20rocsparse_direction_NS_24const_host_device_scalarIT2_EEPKiS6_PKS3_S8_S4_PS3_21rocsparse_index_base_b,comdat
.Lfunc_end140:
	.size	_ZN9rocsparseL19gebsrmvn_2xn_kernelILj128ELj14ELj64EdEEvi20rocsparse_direction_NS_24const_host_device_scalarIT2_EEPKiS6_PKS3_S8_S4_PS3_21rocsparse_index_base_b, .Lfunc_end140-_ZN9rocsparseL19gebsrmvn_2xn_kernelILj128ELj14ELj64EdEEvi20rocsparse_direction_NS_24const_host_device_scalarIT2_EEPKiS6_PKS3_S8_S4_PS3_21rocsparse_index_base_b
                                        ; -- End function
	.set _ZN9rocsparseL19gebsrmvn_2xn_kernelILj128ELj14ELj64EdEEvi20rocsparse_direction_NS_24const_host_device_scalarIT2_EEPKiS6_PKS3_S8_S4_PS3_21rocsparse_index_base_b.num_vgpr, 50
	.set _ZN9rocsparseL19gebsrmvn_2xn_kernelILj128ELj14ELj64EdEEvi20rocsparse_direction_NS_24const_host_device_scalarIT2_EEPKiS6_PKS3_S8_S4_PS3_21rocsparse_index_base_b.num_agpr, 0
	.set _ZN9rocsparseL19gebsrmvn_2xn_kernelILj128ELj14ELj64EdEEvi20rocsparse_direction_NS_24const_host_device_scalarIT2_EEPKiS6_PKS3_S8_S4_PS3_21rocsparse_index_base_b.numbered_sgpr, 16
	.set _ZN9rocsparseL19gebsrmvn_2xn_kernelILj128ELj14ELj64EdEEvi20rocsparse_direction_NS_24const_host_device_scalarIT2_EEPKiS6_PKS3_S8_S4_PS3_21rocsparse_index_base_b.num_named_barrier, 0
	.set _ZN9rocsparseL19gebsrmvn_2xn_kernelILj128ELj14ELj64EdEEvi20rocsparse_direction_NS_24const_host_device_scalarIT2_EEPKiS6_PKS3_S8_S4_PS3_21rocsparse_index_base_b.private_seg_size, 0
	.set _ZN9rocsparseL19gebsrmvn_2xn_kernelILj128ELj14ELj64EdEEvi20rocsparse_direction_NS_24const_host_device_scalarIT2_EEPKiS6_PKS3_S8_S4_PS3_21rocsparse_index_base_b.uses_vcc, 1
	.set _ZN9rocsparseL19gebsrmvn_2xn_kernelILj128ELj14ELj64EdEEvi20rocsparse_direction_NS_24const_host_device_scalarIT2_EEPKiS6_PKS3_S8_S4_PS3_21rocsparse_index_base_b.uses_flat_scratch, 0
	.set _ZN9rocsparseL19gebsrmvn_2xn_kernelILj128ELj14ELj64EdEEvi20rocsparse_direction_NS_24const_host_device_scalarIT2_EEPKiS6_PKS3_S8_S4_PS3_21rocsparse_index_base_b.has_dyn_sized_stack, 0
	.set _ZN9rocsparseL19gebsrmvn_2xn_kernelILj128ELj14ELj64EdEEvi20rocsparse_direction_NS_24const_host_device_scalarIT2_EEPKiS6_PKS3_S8_S4_PS3_21rocsparse_index_base_b.has_recursion, 0
	.set _ZN9rocsparseL19gebsrmvn_2xn_kernelILj128ELj14ELj64EdEEvi20rocsparse_direction_NS_24const_host_device_scalarIT2_EEPKiS6_PKS3_S8_S4_PS3_21rocsparse_index_base_b.has_indirect_call, 0
	.section	.AMDGPU.csdata,"",@progbits
; Kernel info:
; codeLenInByte = 3104
; TotalNumSgprs: 20
; NumVgprs: 50
; ScratchSize: 0
; MemoryBound: 1
; FloatMode: 240
; IeeeMode: 1
; LDSByteSize: 0 bytes/workgroup (compile time only)
; SGPRBlocks: 2
; VGPRBlocks: 12
; NumSGPRsForWavesPerEU: 20
; NumVGPRsForWavesPerEU: 50
; Occupancy: 4
; WaveLimiterHint : 1
; COMPUTE_PGM_RSRC2:SCRATCH_EN: 0
; COMPUTE_PGM_RSRC2:USER_SGPR: 6
; COMPUTE_PGM_RSRC2:TRAP_HANDLER: 0
; COMPUTE_PGM_RSRC2:TGID_X_EN: 1
; COMPUTE_PGM_RSRC2:TGID_Y_EN: 0
; COMPUTE_PGM_RSRC2:TGID_Z_EN: 0
; COMPUTE_PGM_RSRC2:TIDIG_COMP_CNT: 0
	.section	.text._ZN9rocsparseL19gebsrmvn_2xn_kernelILj128ELj15ELj4EdEEvi20rocsparse_direction_NS_24const_host_device_scalarIT2_EEPKiS6_PKS3_S8_S4_PS3_21rocsparse_index_base_b,"axG",@progbits,_ZN9rocsparseL19gebsrmvn_2xn_kernelILj128ELj15ELj4EdEEvi20rocsparse_direction_NS_24const_host_device_scalarIT2_EEPKiS6_PKS3_S8_S4_PS3_21rocsparse_index_base_b,comdat
	.globl	_ZN9rocsparseL19gebsrmvn_2xn_kernelILj128ELj15ELj4EdEEvi20rocsparse_direction_NS_24const_host_device_scalarIT2_EEPKiS6_PKS3_S8_S4_PS3_21rocsparse_index_base_b ; -- Begin function _ZN9rocsparseL19gebsrmvn_2xn_kernelILj128ELj15ELj4EdEEvi20rocsparse_direction_NS_24const_host_device_scalarIT2_EEPKiS6_PKS3_S8_S4_PS3_21rocsparse_index_base_b
	.p2align	8
	.type	_ZN9rocsparseL19gebsrmvn_2xn_kernelILj128ELj15ELj4EdEEvi20rocsparse_direction_NS_24const_host_device_scalarIT2_EEPKiS6_PKS3_S8_S4_PS3_21rocsparse_index_base_b,@function
_ZN9rocsparseL19gebsrmvn_2xn_kernelILj128ELj15ELj4EdEEvi20rocsparse_direction_NS_24const_host_device_scalarIT2_EEPKiS6_PKS3_S8_S4_PS3_21rocsparse_index_base_b: ; @_ZN9rocsparseL19gebsrmvn_2xn_kernelILj128ELj15ELj4EdEEvi20rocsparse_direction_NS_24const_host_device_scalarIT2_EEPKiS6_PKS3_S8_S4_PS3_21rocsparse_index_base_b
; %bb.0:
	s_load_dwordx2 s[2:3], s[4:5], 0x40
	s_load_dwordx2 s[10:11], s[4:5], 0x8
	;; [unrolled: 1-line block ×3, first 2 shown]
	s_waitcnt lgkmcnt(0)
	s_bitcmp1_b32 s3, 0
	s_cselect_b64 s[12:13], -1, 0
	v_mov_b32_e32 v1, s10
	s_xor_b64 s[8:9], s[12:13], -1
	s_and_b64 vcc, exec, s[12:13]
	v_mov_b32_e32 v2, s11
	s_cbranch_vccnz .LBB141_2
; %bb.1:
	v_mov_b32_e32 v1, s10
	v_mov_b32_e32 v2, s11
	flat_load_dwordx2 v[1:2], v[1:2]
.LBB141_2:
	v_mov_b32_e32 v4, s1
	s_andn2_b64 vcc, exec, s[8:9]
	v_mov_b32_e32 v3, s0
	s_cbranch_vccnz .LBB141_4
; %bb.3:
	v_mov_b32_e32 v4, s1
	v_mov_b32_e32 v3, s0
	flat_load_dwordx2 v[3:4], v[3:4]
.LBB141_4:
	s_waitcnt vmcnt(0) lgkmcnt(0)
	v_cmp_neq_f64_e32 vcc, 0, v[1:2]
	v_cmp_neq_f64_e64 s[0:1], 1.0, v[3:4]
	s_or_b64 s[0:1], vcc, s[0:1]
	s_and_saveexec_b64 s[8:9], s[0:1]
	s_cbranch_execz .LBB141_23
; %bb.5:
	s_load_dwordx2 s[0:1], s[4:5], 0x0
	v_lshrrev_b32_e32 v5, 2, v0
	v_lshl_or_b32 v5, s6, 5, v5
	s_waitcnt lgkmcnt(0)
	v_cmp_gt_i32_e32 vcc, s0, v5
	s_and_b64 exec, exec, vcc
	s_cbranch_execz .LBB141_23
; %bb.6:
	s_load_dwordx8 s[8:15], s[4:5], 0x10
	v_ashrrev_i32_e32 v6, 31, v5
	v_lshlrev_b64 v[6:7], 2, v[5:6]
	v_and_b32_e32 v0, 3, v0
	s_cmp_lg_u32 s1, 0
	s_waitcnt lgkmcnt(0)
	v_mov_b32_e32 v8, s9
	v_add_co_u32_e32 v6, vcc, s8, v6
	v_addc_co_u32_e32 v7, vcc, v8, v7, vcc
	global_load_dwordx2 v[6:7], v[6:7], off
	s_waitcnt vmcnt(0)
	v_subrev_u32_e32 v6, s2, v6
	v_subrev_u32_e32 v18, s2, v7
	v_add_u32_e32 v6, v6, v0
	v_cmp_lt_i32_e64 s[0:1], v6, v18
	s_cbranch_scc0 .LBB141_12
; %bb.7:
	v_mov_b32_e32 v8, 0
	v_mov_b32_e32 v10, 0
	;; [unrolled: 1-line block ×4, first 2 shown]
	s_and_saveexec_b64 s[6:7], s[0:1]
	s_cbranch_execz .LBB141_11
; %bb.8:
	v_mad_u64_u32 v[12:13], s[8:9], v6, 30, 28
	v_mov_b32_e32 v8, 0
	v_mov_b32_e32 v10, 0
	;; [unrolled: 1-line block ×3, first 2 shown]
	s_mov_b64 s[8:9], 0
	v_mov_b32_e32 v7, s11
	v_mov_b32_e32 v15, 0
	;; [unrolled: 1-line block ×6, first 2 shown]
.LBB141_9:                              ; =>This Inner Loop Header: Depth=1
	v_ashrrev_i32_e32 v17, 31, v16
	v_lshlrev_b64 v[21:22], 2, v[16:17]
	v_subrev_u32_e32 v14, 28, v12
	v_lshlrev_b64 v[23:24], 3, v[14:15]
	v_add_co_u32_e32 v27, vcc, s10, v21
	v_addc_co_u32_e32 v28, vcc, v7, v22, vcc
	v_add_co_u32_e32 v31, vcc, s12, v23
	v_addc_co_u32_e32 v32, vcc, v19, v24, vcc
	global_load_dword v17, v[27:28], off
	global_load_dwordx4 v[21:24], v[31:32], off
	v_mov_b32_e32 v13, v15
	v_lshlrev_b64 v[25:26], 3, v[12:13]
	v_subrev_u32_e32 v14, 26, v12
	v_lshlrev_b64 v[13:14], 3, v[14:15]
	v_add_co_u32_e32 v33, vcc, s12, v25
	v_mov_b32_e32 v30, v15
	v_addc_co_u32_e32 v34, vcc, v19, v26, vcc
	v_add_co_u32_e32 v13, vcc, s12, v13
	v_addc_co_u32_e32 v14, vcc, v19, v14, vcc
	v_add_u32_e32 v16, 4, v16
	s_waitcnt vmcnt(1)
	v_subrev_u32_e32 v17, s2, v17
	v_mul_lo_u32 v29, v17, 15
	v_lshlrev_b64 v[25:26], 3, v[29:30]
	v_add_co_u32_e32 v30, vcc, s14, v25
	v_addc_co_u32_e32 v31, vcc, v20, v26, vcc
	global_load_dwordx4 v[25:28], v[33:34], off
	global_load_dwordx2 v[35:36], v[30:31], off
	s_waitcnt vmcnt(0)
	v_fma_f64 v[21:22], v[21:22], v[35:36], v[8:9]
	v_fma_f64 v[23:24], v[23:24], v[35:36], v[10:11]
	global_load_dwordx4 v[8:11], v[13:14], off
	v_add_u32_e32 v14, 1, v29
	v_lshlrev_b64 v[30:31], 3, v[14:15]
	v_subrev_u32_e32 v14, 24, v12
	v_add_co_u32_e32 v30, vcc, s14, v30
	v_addc_co_u32_e32 v31, vcc, v20, v31, vcc
	global_load_dwordx2 v[30:31], v[30:31], off
	v_lshlrev_b64 v[32:33], 3, v[14:15]
	v_add_u32_e32 v14, 2, v29
	s_waitcnt vmcnt(0)
	v_fma_f64 v[21:22], v[8:9], v[30:31], v[21:22]
	v_fma_f64 v[23:24], v[10:11], v[30:31], v[23:24]
	v_lshlrev_b64 v[8:9], 3, v[14:15]
	v_add_co_u32_e32 v30, vcc, s12, v32
	v_addc_co_u32_e32 v31, vcc, v19, v33, vcc
	v_add_co_u32_e32 v34, vcc, s14, v8
	v_addc_co_u32_e32 v35, vcc, v20, v9, vcc
	global_load_dwordx4 v[8:11], v[30:31], off
	global_load_dwordx2 v[36:37], v[34:35], off
	v_subrev_u32_e32 v14, 22, v12
	v_lshlrev_b64 v[32:33], 3, v[14:15]
	v_add_u32_e32 v14, 3, v29
	v_add_co_u32_e32 v30, vcc, s12, v32
	v_addc_co_u32_e32 v31, vcc, v19, v33, vcc
	s_waitcnt vmcnt(0)
	v_fma_f64 v[21:22], v[8:9], v[36:37], v[21:22]
	v_lshlrev_b64 v[8:9], 3, v[14:15]
	v_fma_f64 v[23:24], v[10:11], v[36:37], v[23:24]
	v_add_co_u32_e32 v34, vcc, s14, v8
	v_addc_co_u32_e32 v35, vcc, v20, v9, vcc
	global_load_dwordx4 v[8:11], v[30:31], off
	global_load_dwordx2 v[36:37], v[34:35], off
	v_subrev_u32_e32 v14, 20, v12
	v_lshlrev_b64 v[32:33], 3, v[14:15]
	v_add_u32_e32 v14, 4, v29
	v_add_co_u32_e32 v30, vcc, s12, v32
	v_addc_co_u32_e32 v31, vcc, v19, v33, vcc
	s_waitcnt vmcnt(0)
	v_fma_f64 v[21:22], v[8:9], v[36:37], v[21:22]
	v_lshlrev_b64 v[8:9], 3, v[14:15]
	v_fma_f64 v[23:24], v[10:11], v[36:37], v[23:24]
	v_add_co_u32_e32 v34, vcc, s14, v8
	v_addc_co_u32_e32 v35, vcc, v20, v9, vcc
	global_load_dwordx4 v[8:11], v[30:31], off
	global_load_dwordx2 v[36:37], v[34:35], off
	v_subrev_u32_e32 v14, 18, v12
	v_lshlrev_b64 v[32:33], 3, v[14:15]
	v_add_u32_e32 v14, 5, v29
	v_add_co_u32_e32 v30, vcc, s12, v32
	v_addc_co_u32_e32 v31, vcc, v19, v33, vcc
	s_waitcnt vmcnt(0)
	v_fma_f64 v[21:22], v[8:9], v[36:37], v[21:22]
	v_lshlrev_b64 v[8:9], 3, v[14:15]
	v_fma_f64 v[23:24], v[10:11], v[36:37], v[23:24]
	v_add_co_u32_e32 v34, vcc, s14, v8
	v_addc_co_u32_e32 v35, vcc, v20, v9, vcc
	global_load_dwordx4 v[8:11], v[30:31], off
	global_load_dwordx2 v[36:37], v[34:35], off
	v_add_u32_e32 v14, -16, v12
	v_lshlrev_b64 v[32:33], 3, v[14:15]
	v_add_u32_e32 v14, 6, v29
	v_add_co_u32_e32 v30, vcc, s12, v32
	v_addc_co_u32_e32 v31, vcc, v19, v33, vcc
	s_waitcnt vmcnt(0)
	v_fma_f64 v[21:22], v[8:9], v[36:37], v[21:22]
	v_lshlrev_b64 v[8:9], 3, v[14:15]
	v_fma_f64 v[23:24], v[10:11], v[36:37], v[23:24]
	v_add_co_u32_e32 v34, vcc, s14, v8
	v_addc_co_u32_e32 v35, vcc, v20, v9, vcc
	global_load_dwordx4 v[8:11], v[30:31], off
	global_load_dwordx2 v[36:37], v[34:35], off
	v_add_u32_e32 v14, -14, v12
	v_lshlrev_b64 v[32:33], 3, v[14:15]
	v_add_u32_e32 v14, 7, v29
	v_add_co_u32_e32 v30, vcc, s12, v32
	v_addc_co_u32_e32 v31, vcc, v19, v33, vcc
	s_waitcnt vmcnt(0)
	v_fma_f64 v[21:22], v[8:9], v[36:37], v[21:22]
	v_lshlrev_b64 v[8:9], 3, v[14:15]
	v_fma_f64 v[23:24], v[10:11], v[36:37], v[23:24]
	;; [unrolled: 13-line block ×7, first 2 shown]
	v_add_co_u32_e32 v34, vcc, s14, v8
	v_addc_co_u32_e32 v35, vcc, v20, v9, vcc
	global_load_dwordx4 v[8:11], v[30:31], off
	global_load_dwordx2 v[36:37], v[34:35], off
	v_add_u32_e32 v14, -2, v12
	v_lshlrev_b64 v[32:33], 3, v[14:15]
	v_add_u32_e32 v14, 13, v29
	v_add_co_u32_e32 v13, vcc, s12, v32
	v_add_u32_e32 v12, 0x78, v12
	s_waitcnt vmcnt(0)
	v_fma_f64 v[21:22], v[8:9], v[36:37], v[21:22]
	v_lshlrev_b64 v[8:9], 3, v[14:15]
	v_addc_co_u32_e32 v14, vcc, v19, v33, vcc
	v_add_co_u32_e32 v30, vcc, s14, v8
	v_fma_f64 v[23:24], v[10:11], v[36:37], v[23:24]
	v_addc_co_u32_e32 v31, vcc, v20, v9, vcc
	global_load_dwordx4 v[8:11], v[13:14], off
	global_load_dwordx2 v[32:33], v[30:31], off
	v_add_u32_e32 v14, 14, v29
	v_lshlrev_b64 v[13:14], 3, v[14:15]
	v_add_co_u32_e32 v13, vcc, s14, v13
	v_addc_co_u32_e32 v14, vcc, v20, v14, vcc
	global_load_dwordx2 v[13:14], v[13:14], off
	v_cmp_ge_i32_e32 vcc, v16, v18
	s_or_b64 s[8:9], vcc, s[8:9]
	s_waitcnt vmcnt(1)
	v_fma_f64 v[8:9], v[8:9], v[32:33], v[21:22]
	v_fma_f64 v[10:11], v[10:11], v[32:33], v[23:24]
	s_waitcnt vmcnt(0)
	v_fma_f64 v[8:9], v[25:26], v[13:14], v[8:9]
	v_fma_f64 v[10:11], v[27:28], v[13:14], v[10:11]
	s_andn2_b64 exec, exec, s[8:9]
	s_cbranch_execnz .LBB141_9
; %bb.10:
	s_or_b64 exec, exec, s[8:9]
.LBB141_11:
	s_or_b64 exec, exec, s[6:7]
	s_cbranch_execz .LBB141_13
	s_branch .LBB141_18
.LBB141_12:
                                        ; implicit-def: $vgpr8_vgpr9
                                        ; implicit-def: $vgpr10_vgpr11
.LBB141_13:
	v_mov_b32_e32 v8, 0
	v_mov_b32_e32 v10, 0
	;; [unrolled: 1-line block ×4, first 2 shown]
	s_and_saveexec_b64 s[6:7], s[0:1]
	s_cbranch_execz .LBB141_17
; %bb.14:
	v_mad_u64_u32 v[12:13], s[0:1], v6, 30, 29
	v_mov_b32_e32 v8, 0
	v_mov_b32_e32 v10, 0
	;; [unrolled: 1-line block ×3, first 2 shown]
	s_mov_b64 s[0:1], 0
	v_mov_b32_e32 v16, s11
	v_mov_b32_e32 v15, 0
	;; [unrolled: 1-line block ×5, first 2 shown]
.LBB141_15:                             ; =>This Inner Loop Header: Depth=1
	v_ashrrev_i32_e32 v7, 31, v6
	v_lshlrev_b64 v[22:23], 2, v[6:7]
	v_subrev_u32_e32 v14, 29, v12
	v_add_co_u32_e32 v22, vcc, s10, v22
	v_addc_co_u32_e32 v23, vcc, v16, v23, vcc
	global_load_dword v7, v[22:23], off
	v_lshlrev_b64 v[24:25], 3, v[14:15]
	v_add_u32_e32 v20, -14, v12
	v_mov_b32_e32 v21, v15
	v_lshlrev_b64 v[20:21], 3, v[20:21]
	v_add_co_u32_e32 v24, vcc, s12, v24
	v_mov_b32_e32 v13, v15
	v_addc_co_u32_e32 v25, vcc, v17, v25, vcc
	v_lshlrev_b64 v[13:14], 3, v[12:13]
	v_add_co_u32_e32 v20, vcc, s12, v20
	v_addc_co_u32_e32 v21, vcc, v17, v21, vcc
	v_add_co_u32_e32 v26, vcc, s12, v13
	v_addc_co_u32_e32 v27, vcc, v17, v14, vcc
	v_mov_b32_e32 v14, v15
	v_add_u32_e32 v6, 4, v6
	s_waitcnt vmcnt(0)
	v_subrev_u32_e32 v7, s2, v7
	v_mul_lo_u32 v13, v7, 15
	v_lshlrev_b64 v[22:23], 3, v[13:14]
	v_add_u32_e32 v14, 1, v13
	v_add_co_u32_e32 v22, vcc, s14, v22
	v_addc_co_u32_e32 v23, vcc, v19, v23, vcc
	global_load_dwordx2 v[30:31], v[20:21], off
	global_load_dwordx2 v[32:33], v[22:23], off
	v_lshlrev_b64 v[28:29], 3, v[14:15]
	global_load_dwordx4 v[20:23], v[24:25], off
	v_add_co_u32_e32 v28, vcc, s14, v28
	v_addc_co_u32_e32 v29, vcc, v19, v29, vcc
	v_add_u32_e32 v14, -13, v12
	s_waitcnt vmcnt(1)
	v_fma_f64 v[10:11], v[30:31], v[32:33], v[10:11]
	s_waitcnt vmcnt(0)
	v_fma_f64 v[7:8], v[20:21], v[32:33], v[8:9]
	global_load_dwordx2 v[20:21], v[28:29], off
	s_waitcnt vmcnt(0)
	v_fma_f64 v[7:8], v[22:23], v[20:21], v[7:8]
	v_lshlrev_b64 v[22:23], 3, v[14:15]
	v_subrev_u32_e32 v14, 27, v12
	v_add_co_u32_e32 v22, vcc, s12, v22
	v_lshlrev_b64 v[24:25], 3, v[14:15]
	v_addc_co_u32_e32 v23, vcc, v17, v23, vcc
	v_add_co_u32_e32 v24, vcc, s12, v24
	v_addc_co_u32_e32 v25, vcc, v17, v25, vcc
	global_load_dwordx2 v[28:29], v[22:23], off
	global_load_dwordx2 v[30:31], v[24:25], off
	v_add_u32_e32 v14, 2, v13
	s_waitcnt vmcnt(1)
	v_fma_f64 v[9:10], v[28:29], v[20:21], v[10:11]
	v_lshlrev_b64 v[20:21], 3, v[14:15]
	v_add_u32_e32 v14, -12, v12
	v_add_co_u32_e32 v20, vcc, s14, v20
	v_addc_co_u32_e32 v21, vcc, v19, v21, vcc
	global_load_dwordx2 v[20:21], v[20:21], off
	v_lshlrev_b64 v[22:23], 3, v[14:15]
	v_subrev_u32_e32 v14, 26, v12
	v_add_co_u32_e32 v22, vcc, s12, v22
	v_lshlrev_b64 v[24:25], 3, v[14:15]
	v_addc_co_u32_e32 v23, vcc, v17, v23, vcc
	v_add_co_u32_e32 v24, vcc, s12, v24
	v_addc_co_u32_e32 v25, vcc, v17, v25, vcc
	v_add_u32_e32 v14, 3, v13
	s_waitcnt vmcnt(0)
	v_fma_f64 v[7:8], v[30:31], v[20:21], v[7:8]
	global_load_dwordx2 v[28:29], v[22:23], off
	global_load_dwordx2 v[30:31], v[24:25], off
	s_waitcnt vmcnt(1)
	v_fma_f64 v[9:10], v[28:29], v[20:21], v[9:10]
	v_lshlrev_b64 v[20:21], 3, v[14:15]
	v_add_u32_e32 v14, -11, v12
	v_add_co_u32_e32 v20, vcc, s14, v20
	v_addc_co_u32_e32 v21, vcc, v19, v21, vcc
	global_load_dwordx2 v[20:21], v[20:21], off
	v_lshlrev_b64 v[22:23], 3, v[14:15]
	v_subrev_u32_e32 v14, 25, v12
	v_add_co_u32_e32 v22, vcc, s12, v22
	v_lshlrev_b64 v[24:25], 3, v[14:15]
	v_addc_co_u32_e32 v23, vcc, v17, v23, vcc
	v_add_co_u32_e32 v24, vcc, s12, v24
	v_addc_co_u32_e32 v25, vcc, v17, v25, vcc
	v_add_u32_e32 v14, 4, v13
	s_waitcnt vmcnt(0)
	v_fma_f64 v[7:8], v[30:31], v[20:21], v[7:8]
	global_load_dwordx2 v[28:29], v[22:23], off
	global_load_dwordx2 v[30:31], v[24:25], off
	;; [unrolled: 19-line block ×10, first 2 shown]
	s_waitcnt vmcnt(1)
	v_fma_f64 v[9:10], v[28:29], v[20:21], v[9:10]
	v_lshlrev_b64 v[20:21], 3, v[14:15]
	v_add_u32_e32 v14, -2, v12
	v_add_co_u32_e32 v20, vcc, s14, v20
	v_addc_co_u32_e32 v21, vcc, v19, v21, vcc
	global_load_dwordx2 v[20:21], v[20:21], off
	v_lshlrev_b64 v[22:23], 3, v[14:15]
	v_add_u32_e32 v14, -16, v12
	v_add_co_u32_e32 v22, vcc, s12, v22
	v_lshlrev_b64 v[24:25], 3, v[14:15]
	v_addc_co_u32_e32 v23, vcc, v17, v23, vcc
	v_add_co_u32_e32 v24, vcc, s12, v24
	v_addc_co_u32_e32 v25, vcc, v17, v25, vcc
	v_add_u32_e32 v14, 13, v13
	s_waitcnt vmcnt(0)
	v_fma_f64 v[7:8], v[30:31], v[20:21], v[7:8]
	global_load_dwordx2 v[28:29], v[22:23], off
	global_load_dwordx2 v[30:31], v[24:25], off
	s_waitcnt vmcnt(1)
	v_fma_f64 v[9:10], v[28:29], v[20:21], v[9:10]
	v_lshlrev_b64 v[20:21], 3, v[14:15]
	v_add_u32_e32 v14, -1, v12
	v_add_co_u32_e32 v20, vcc, s14, v20
	v_addc_co_u32_e32 v21, vcc, v19, v21, vcc
	global_load_dwordx2 v[20:21], v[20:21], off
	v_lshlrev_b64 v[22:23], 3, v[14:15]
	v_add_u32_e32 v14, -15, v12
	v_lshlrev_b64 v[24:25], 3, v[14:15]
	v_add_co_u32_e32 v22, vcc, s12, v22
	v_add_u32_e32 v14, 14, v13
	v_addc_co_u32_e32 v23, vcc, v17, v23, vcc
	v_add_co_u32_e32 v24, vcc, s12, v24
	v_lshlrev_b64 v[13:14], 3, v[14:15]
	v_addc_co_u32_e32 v25, vcc, v17, v25, vcc
	v_add_co_u32_e32 v13, vcc, s14, v13
	v_addc_co_u32_e32 v14, vcc, v19, v14, vcc
	v_cmp_ge_i32_e32 vcc, v6, v18
	s_or_b64 s[0:1], vcc, s[0:1]
	v_add_u32_e32 v12, 0x78, v12
	s_waitcnt vmcnt(0)
	v_fma_f64 v[7:8], v[30:31], v[20:21], v[7:8]
	global_load_dwordx2 v[28:29], v[22:23], off
	global_load_dwordx2 v[30:31], v[26:27], off
	;; [unrolled: 1-line block ×4, first 2 shown]
	s_waitcnt vmcnt(3)
	v_fma_f64 v[10:11], v[28:29], v[20:21], v[9:10]
	s_waitcnt vmcnt(0)
	v_fma_f64 v[8:9], v[32:33], v[34:35], v[7:8]
	v_fma_f64 v[10:11], v[30:31], v[34:35], v[10:11]
	s_andn2_b64 exec, exec, s[0:1]
	s_cbranch_execnz .LBB141_15
; %bb.16:
	s_or_b64 exec, exec, s[0:1]
.LBB141_17:
	s_or_b64 exec, exec, s[6:7]
.LBB141_18:
	v_mov_b32_dpp v6, v8 row_shr:1 row_mask:0xf bank_mask:0xf
	v_mov_b32_dpp v7, v9 row_shr:1 row_mask:0xf bank_mask:0xf
	v_add_f64 v[6:7], v[8:9], v[6:7]
	v_mov_b32_dpp v8, v10 row_shr:1 row_mask:0xf bank_mask:0xf
	v_mov_b32_dpp v9, v11 row_shr:1 row_mask:0xf bank_mask:0xf
	v_add_f64 v[10:11], v[10:11], v[8:9]
	v_cmp_eq_u32_e32 vcc, 3, v0
	v_mov_b32_dpp v8, v6 row_shr:2 row_mask:0xf bank_mask:0xf
	v_mov_b32_dpp v9, v7 row_shr:2 row_mask:0xf bank_mask:0xf
	;; [unrolled: 1-line block ×4, first 2 shown]
	s_and_b64 exec, exec, vcc
	s_cbranch_execz .LBB141_23
; %bb.19:
	v_add_f64 v[8:9], v[6:7], v[8:9]
	v_add_f64 v[6:7], v[10:11], v[12:13]
	v_cmp_eq_f64_e32 vcc, 0, v[3:4]
	s_load_dwordx2 s[0:1], s[4:5], 0x38
	s_and_saveexec_b64 s[2:3], vcc
	s_xor_b64 s[2:3], exec, s[2:3]
	s_cbranch_execz .LBB141_21
; %bb.20:
	v_mul_f64 v[3:4], v[1:2], v[8:9]
	v_lshlrev_b32_e32 v0, 1, v5
	v_mul_f64 v[5:6], v[1:2], v[6:7]
	v_ashrrev_i32_e32 v1, 31, v0
	v_lshlrev_b64 v[0:1], 3, v[0:1]
	s_waitcnt lgkmcnt(0)
	v_mov_b32_e32 v2, s1
	v_add_co_u32_e32 v0, vcc, s0, v0
	v_addc_co_u32_e32 v1, vcc, v2, v1, vcc
	global_store_dwordx4 v[0:1], v[3:6], off
                                        ; implicit-def: $vgpr5
                                        ; implicit-def: $vgpr1_vgpr2
                                        ; implicit-def: $vgpr8_vgpr9
                                        ; implicit-def: $vgpr3_vgpr4
                                        ; implicit-def: $vgpr6_vgpr7
.LBB141_21:
	s_andn2_saveexec_b64 s[2:3], s[2:3]
	s_cbranch_execz .LBB141_23
; %bb.22:
	v_lshlrev_b32_e32 v10, 1, v5
	v_ashrrev_i32_e32 v11, 31, v10
	v_lshlrev_b64 v[10:11], 3, v[10:11]
	s_waitcnt lgkmcnt(0)
	v_mov_b32_e32 v0, s1
	v_add_co_u32_e32 v14, vcc, s0, v10
	v_addc_co_u32_e32 v15, vcc, v0, v11, vcc
	global_load_dwordx4 v[10:13], v[14:15], off
	v_mul_f64 v[8:9], v[1:2], v[8:9]
	v_mul_f64 v[5:6], v[1:2], v[6:7]
	s_waitcnt vmcnt(0)
	v_fma_f64 v[0:1], v[3:4], v[10:11], v[8:9]
	v_fma_f64 v[2:3], v[3:4], v[12:13], v[5:6]
	global_store_dwordx4 v[14:15], v[0:3], off
.LBB141_23:
	s_endpgm
	.section	.rodata,"a",@progbits
	.p2align	6, 0x0
	.amdhsa_kernel _ZN9rocsparseL19gebsrmvn_2xn_kernelILj128ELj15ELj4EdEEvi20rocsparse_direction_NS_24const_host_device_scalarIT2_EEPKiS6_PKS3_S8_S4_PS3_21rocsparse_index_base_b
		.amdhsa_group_segment_fixed_size 0
		.amdhsa_private_segment_fixed_size 0
		.amdhsa_kernarg_size 72
		.amdhsa_user_sgpr_count 6
		.amdhsa_user_sgpr_private_segment_buffer 1
		.amdhsa_user_sgpr_dispatch_ptr 0
		.amdhsa_user_sgpr_queue_ptr 0
		.amdhsa_user_sgpr_kernarg_segment_ptr 1
		.amdhsa_user_sgpr_dispatch_id 0
		.amdhsa_user_sgpr_flat_scratch_init 0
		.amdhsa_user_sgpr_private_segment_size 0
		.amdhsa_uses_dynamic_stack 0
		.amdhsa_system_sgpr_private_segment_wavefront_offset 0
		.amdhsa_system_sgpr_workgroup_id_x 1
		.amdhsa_system_sgpr_workgroup_id_y 0
		.amdhsa_system_sgpr_workgroup_id_z 0
		.amdhsa_system_sgpr_workgroup_info 0
		.amdhsa_system_vgpr_workitem_id 0
		.amdhsa_next_free_vgpr 38
		.amdhsa_next_free_sgpr 16
		.amdhsa_reserve_vcc 1
		.amdhsa_reserve_flat_scratch 0
		.amdhsa_float_round_mode_32 0
		.amdhsa_float_round_mode_16_64 0
		.amdhsa_float_denorm_mode_32 3
		.amdhsa_float_denorm_mode_16_64 3
		.amdhsa_dx10_clamp 1
		.amdhsa_ieee_mode 1
		.amdhsa_fp16_overflow 0
		.amdhsa_exception_fp_ieee_invalid_op 0
		.amdhsa_exception_fp_denorm_src 0
		.amdhsa_exception_fp_ieee_div_zero 0
		.amdhsa_exception_fp_ieee_overflow 0
		.amdhsa_exception_fp_ieee_underflow 0
		.amdhsa_exception_fp_ieee_inexact 0
		.amdhsa_exception_int_div_zero 0
	.end_amdhsa_kernel
	.section	.text._ZN9rocsparseL19gebsrmvn_2xn_kernelILj128ELj15ELj4EdEEvi20rocsparse_direction_NS_24const_host_device_scalarIT2_EEPKiS6_PKS3_S8_S4_PS3_21rocsparse_index_base_b,"axG",@progbits,_ZN9rocsparseL19gebsrmvn_2xn_kernelILj128ELj15ELj4EdEEvi20rocsparse_direction_NS_24const_host_device_scalarIT2_EEPKiS6_PKS3_S8_S4_PS3_21rocsparse_index_base_b,comdat
.Lfunc_end141:
	.size	_ZN9rocsparseL19gebsrmvn_2xn_kernelILj128ELj15ELj4EdEEvi20rocsparse_direction_NS_24const_host_device_scalarIT2_EEPKiS6_PKS3_S8_S4_PS3_21rocsparse_index_base_b, .Lfunc_end141-_ZN9rocsparseL19gebsrmvn_2xn_kernelILj128ELj15ELj4EdEEvi20rocsparse_direction_NS_24const_host_device_scalarIT2_EEPKiS6_PKS3_S8_S4_PS3_21rocsparse_index_base_b
                                        ; -- End function
	.set _ZN9rocsparseL19gebsrmvn_2xn_kernelILj128ELj15ELj4EdEEvi20rocsparse_direction_NS_24const_host_device_scalarIT2_EEPKiS6_PKS3_S8_S4_PS3_21rocsparse_index_base_b.num_vgpr, 38
	.set _ZN9rocsparseL19gebsrmvn_2xn_kernelILj128ELj15ELj4EdEEvi20rocsparse_direction_NS_24const_host_device_scalarIT2_EEPKiS6_PKS3_S8_S4_PS3_21rocsparse_index_base_b.num_agpr, 0
	.set _ZN9rocsparseL19gebsrmvn_2xn_kernelILj128ELj15ELj4EdEEvi20rocsparse_direction_NS_24const_host_device_scalarIT2_EEPKiS6_PKS3_S8_S4_PS3_21rocsparse_index_base_b.numbered_sgpr, 16
	.set _ZN9rocsparseL19gebsrmvn_2xn_kernelILj128ELj15ELj4EdEEvi20rocsparse_direction_NS_24const_host_device_scalarIT2_EEPKiS6_PKS3_S8_S4_PS3_21rocsparse_index_base_b.num_named_barrier, 0
	.set _ZN9rocsparseL19gebsrmvn_2xn_kernelILj128ELj15ELj4EdEEvi20rocsparse_direction_NS_24const_host_device_scalarIT2_EEPKiS6_PKS3_S8_S4_PS3_21rocsparse_index_base_b.private_seg_size, 0
	.set _ZN9rocsparseL19gebsrmvn_2xn_kernelILj128ELj15ELj4EdEEvi20rocsparse_direction_NS_24const_host_device_scalarIT2_EEPKiS6_PKS3_S8_S4_PS3_21rocsparse_index_base_b.uses_vcc, 1
	.set _ZN9rocsparseL19gebsrmvn_2xn_kernelILj128ELj15ELj4EdEEvi20rocsparse_direction_NS_24const_host_device_scalarIT2_EEPKiS6_PKS3_S8_S4_PS3_21rocsparse_index_base_b.uses_flat_scratch, 0
	.set _ZN9rocsparseL19gebsrmvn_2xn_kernelILj128ELj15ELj4EdEEvi20rocsparse_direction_NS_24const_host_device_scalarIT2_EEPKiS6_PKS3_S8_S4_PS3_21rocsparse_index_base_b.has_dyn_sized_stack, 0
	.set _ZN9rocsparseL19gebsrmvn_2xn_kernelILj128ELj15ELj4EdEEvi20rocsparse_direction_NS_24const_host_device_scalarIT2_EEPKiS6_PKS3_S8_S4_PS3_21rocsparse_index_base_b.has_recursion, 0
	.set _ZN9rocsparseL19gebsrmvn_2xn_kernelILj128ELj15ELj4EdEEvi20rocsparse_direction_NS_24const_host_device_scalarIT2_EEPKiS6_PKS3_S8_S4_PS3_21rocsparse_index_base_b.has_indirect_call, 0
	.section	.AMDGPU.csdata,"",@progbits
; Kernel info:
; codeLenInByte = 3572
; TotalNumSgprs: 20
; NumVgprs: 38
; ScratchSize: 0
; MemoryBound: 0
; FloatMode: 240
; IeeeMode: 1
; LDSByteSize: 0 bytes/workgroup (compile time only)
; SGPRBlocks: 2
; VGPRBlocks: 9
; NumSGPRsForWavesPerEU: 20
; NumVGPRsForWavesPerEU: 38
; Occupancy: 6
; WaveLimiterHint : 1
; COMPUTE_PGM_RSRC2:SCRATCH_EN: 0
; COMPUTE_PGM_RSRC2:USER_SGPR: 6
; COMPUTE_PGM_RSRC2:TRAP_HANDLER: 0
; COMPUTE_PGM_RSRC2:TGID_X_EN: 1
; COMPUTE_PGM_RSRC2:TGID_Y_EN: 0
; COMPUTE_PGM_RSRC2:TGID_Z_EN: 0
; COMPUTE_PGM_RSRC2:TIDIG_COMP_CNT: 0
	.section	.text._ZN9rocsparseL19gebsrmvn_2xn_kernelILj128ELj15ELj8EdEEvi20rocsparse_direction_NS_24const_host_device_scalarIT2_EEPKiS6_PKS3_S8_S4_PS3_21rocsparse_index_base_b,"axG",@progbits,_ZN9rocsparseL19gebsrmvn_2xn_kernelILj128ELj15ELj8EdEEvi20rocsparse_direction_NS_24const_host_device_scalarIT2_EEPKiS6_PKS3_S8_S4_PS3_21rocsparse_index_base_b,comdat
	.globl	_ZN9rocsparseL19gebsrmvn_2xn_kernelILj128ELj15ELj8EdEEvi20rocsparse_direction_NS_24const_host_device_scalarIT2_EEPKiS6_PKS3_S8_S4_PS3_21rocsparse_index_base_b ; -- Begin function _ZN9rocsparseL19gebsrmvn_2xn_kernelILj128ELj15ELj8EdEEvi20rocsparse_direction_NS_24const_host_device_scalarIT2_EEPKiS6_PKS3_S8_S4_PS3_21rocsparse_index_base_b
	.p2align	8
	.type	_ZN9rocsparseL19gebsrmvn_2xn_kernelILj128ELj15ELj8EdEEvi20rocsparse_direction_NS_24const_host_device_scalarIT2_EEPKiS6_PKS3_S8_S4_PS3_21rocsparse_index_base_b,@function
_ZN9rocsparseL19gebsrmvn_2xn_kernelILj128ELj15ELj8EdEEvi20rocsparse_direction_NS_24const_host_device_scalarIT2_EEPKiS6_PKS3_S8_S4_PS3_21rocsparse_index_base_b: ; @_ZN9rocsparseL19gebsrmvn_2xn_kernelILj128ELj15ELj8EdEEvi20rocsparse_direction_NS_24const_host_device_scalarIT2_EEPKiS6_PKS3_S8_S4_PS3_21rocsparse_index_base_b
; %bb.0:
	s_load_dwordx2 s[2:3], s[4:5], 0x40
	s_load_dwordx2 s[10:11], s[4:5], 0x8
	;; [unrolled: 1-line block ×3, first 2 shown]
	s_waitcnt lgkmcnt(0)
	s_bitcmp1_b32 s3, 0
	s_cselect_b64 s[12:13], -1, 0
	v_mov_b32_e32 v1, s10
	s_xor_b64 s[8:9], s[12:13], -1
	s_and_b64 vcc, exec, s[12:13]
	v_mov_b32_e32 v2, s11
	s_cbranch_vccnz .LBB142_2
; %bb.1:
	v_mov_b32_e32 v1, s10
	v_mov_b32_e32 v2, s11
	flat_load_dwordx2 v[1:2], v[1:2]
.LBB142_2:
	v_mov_b32_e32 v4, s1
	s_andn2_b64 vcc, exec, s[8:9]
	v_mov_b32_e32 v3, s0
	s_cbranch_vccnz .LBB142_4
; %bb.3:
	v_mov_b32_e32 v4, s1
	v_mov_b32_e32 v3, s0
	flat_load_dwordx2 v[3:4], v[3:4]
.LBB142_4:
	s_waitcnt vmcnt(0) lgkmcnt(0)
	v_cmp_neq_f64_e32 vcc, 0, v[1:2]
	v_cmp_neq_f64_e64 s[0:1], 1.0, v[3:4]
	s_or_b64 s[0:1], vcc, s[0:1]
	s_and_saveexec_b64 s[8:9], s[0:1]
	s_cbranch_execz .LBB142_23
; %bb.5:
	s_load_dwordx2 s[0:1], s[4:5], 0x0
	v_lshrrev_b32_e32 v5, 3, v0
	v_lshl_or_b32 v5, s6, 4, v5
	s_waitcnt lgkmcnt(0)
	v_cmp_gt_i32_e32 vcc, s0, v5
	s_and_b64 exec, exec, vcc
	s_cbranch_execz .LBB142_23
; %bb.6:
	s_load_dwordx8 s[8:15], s[4:5], 0x10
	v_ashrrev_i32_e32 v6, 31, v5
	v_lshlrev_b64 v[6:7], 2, v[5:6]
	v_and_b32_e32 v0, 7, v0
	s_cmp_lg_u32 s1, 0
	s_waitcnt lgkmcnt(0)
	v_mov_b32_e32 v8, s9
	v_add_co_u32_e32 v6, vcc, s8, v6
	v_addc_co_u32_e32 v7, vcc, v8, v7, vcc
	global_load_dwordx2 v[6:7], v[6:7], off
	s_waitcnt vmcnt(0)
	v_subrev_u32_e32 v6, s2, v6
	v_subrev_u32_e32 v18, s2, v7
	v_add_u32_e32 v6, v6, v0
	v_cmp_lt_i32_e64 s[0:1], v6, v18
	s_cbranch_scc0 .LBB142_12
; %bb.7:
	v_mov_b32_e32 v8, 0
	v_mov_b32_e32 v10, 0
	;; [unrolled: 1-line block ×4, first 2 shown]
	s_and_saveexec_b64 s[6:7], s[0:1]
	s_cbranch_execz .LBB142_11
; %bb.8:
	v_mad_u64_u32 v[12:13], s[8:9], v6, 30, 28
	v_mov_b32_e32 v8, 0
	v_mov_b32_e32 v10, 0
	;; [unrolled: 1-line block ×3, first 2 shown]
	s_mov_b64 s[8:9], 0
	v_mov_b32_e32 v7, s11
	v_mov_b32_e32 v15, 0
	;; [unrolled: 1-line block ×6, first 2 shown]
.LBB142_9:                              ; =>This Inner Loop Header: Depth=1
	v_ashrrev_i32_e32 v17, 31, v16
	v_lshlrev_b64 v[21:22], 2, v[16:17]
	v_subrev_u32_e32 v14, 28, v12
	v_lshlrev_b64 v[23:24], 3, v[14:15]
	v_add_co_u32_e32 v27, vcc, s10, v21
	v_addc_co_u32_e32 v28, vcc, v7, v22, vcc
	v_add_co_u32_e32 v31, vcc, s12, v23
	v_addc_co_u32_e32 v32, vcc, v19, v24, vcc
	global_load_dword v17, v[27:28], off
	global_load_dwordx4 v[21:24], v[31:32], off
	v_mov_b32_e32 v13, v15
	v_lshlrev_b64 v[25:26], 3, v[12:13]
	v_subrev_u32_e32 v14, 26, v12
	v_lshlrev_b64 v[13:14], 3, v[14:15]
	v_add_co_u32_e32 v33, vcc, s12, v25
	v_mov_b32_e32 v30, v15
	v_addc_co_u32_e32 v34, vcc, v19, v26, vcc
	v_add_co_u32_e32 v13, vcc, s12, v13
	v_addc_co_u32_e32 v14, vcc, v19, v14, vcc
	v_add_u32_e32 v16, 8, v16
	s_waitcnt vmcnt(1)
	v_subrev_u32_e32 v17, s2, v17
	v_mul_lo_u32 v29, v17, 15
	v_lshlrev_b64 v[25:26], 3, v[29:30]
	v_add_co_u32_e32 v30, vcc, s14, v25
	v_addc_co_u32_e32 v31, vcc, v20, v26, vcc
	global_load_dwordx4 v[25:28], v[33:34], off
	global_load_dwordx2 v[35:36], v[30:31], off
	s_waitcnt vmcnt(0)
	v_fma_f64 v[21:22], v[21:22], v[35:36], v[8:9]
	v_fma_f64 v[23:24], v[23:24], v[35:36], v[10:11]
	global_load_dwordx4 v[8:11], v[13:14], off
	v_add_u32_e32 v14, 1, v29
	v_lshlrev_b64 v[30:31], 3, v[14:15]
	v_subrev_u32_e32 v14, 24, v12
	v_add_co_u32_e32 v30, vcc, s14, v30
	v_addc_co_u32_e32 v31, vcc, v20, v31, vcc
	global_load_dwordx2 v[30:31], v[30:31], off
	v_lshlrev_b64 v[32:33], 3, v[14:15]
	v_add_u32_e32 v14, 2, v29
	s_waitcnt vmcnt(0)
	v_fma_f64 v[21:22], v[8:9], v[30:31], v[21:22]
	v_fma_f64 v[23:24], v[10:11], v[30:31], v[23:24]
	v_lshlrev_b64 v[8:9], 3, v[14:15]
	v_add_co_u32_e32 v30, vcc, s12, v32
	v_addc_co_u32_e32 v31, vcc, v19, v33, vcc
	v_add_co_u32_e32 v34, vcc, s14, v8
	v_addc_co_u32_e32 v35, vcc, v20, v9, vcc
	global_load_dwordx4 v[8:11], v[30:31], off
	global_load_dwordx2 v[36:37], v[34:35], off
	v_subrev_u32_e32 v14, 22, v12
	v_lshlrev_b64 v[32:33], 3, v[14:15]
	v_add_u32_e32 v14, 3, v29
	v_add_co_u32_e32 v30, vcc, s12, v32
	v_addc_co_u32_e32 v31, vcc, v19, v33, vcc
	s_waitcnt vmcnt(0)
	v_fma_f64 v[21:22], v[8:9], v[36:37], v[21:22]
	v_lshlrev_b64 v[8:9], 3, v[14:15]
	v_fma_f64 v[23:24], v[10:11], v[36:37], v[23:24]
	v_add_co_u32_e32 v34, vcc, s14, v8
	v_addc_co_u32_e32 v35, vcc, v20, v9, vcc
	global_load_dwordx4 v[8:11], v[30:31], off
	global_load_dwordx2 v[36:37], v[34:35], off
	v_subrev_u32_e32 v14, 20, v12
	v_lshlrev_b64 v[32:33], 3, v[14:15]
	v_add_u32_e32 v14, 4, v29
	v_add_co_u32_e32 v30, vcc, s12, v32
	v_addc_co_u32_e32 v31, vcc, v19, v33, vcc
	s_waitcnt vmcnt(0)
	v_fma_f64 v[21:22], v[8:9], v[36:37], v[21:22]
	v_lshlrev_b64 v[8:9], 3, v[14:15]
	v_fma_f64 v[23:24], v[10:11], v[36:37], v[23:24]
	;; [unrolled: 13-line block ×3, first 2 shown]
	v_add_co_u32_e32 v34, vcc, s14, v8
	v_addc_co_u32_e32 v35, vcc, v20, v9, vcc
	global_load_dwordx4 v[8:11], v[30:31], off
	global_load_dwordx2 v[36:37], v[34:35], off
	v_add_u32_e32 v14, -16, v12
	v_lshlrev_b64 v[32:33], 3, v[14:15]
	v_add_u32_e32 v14, 6, v29
	v_add_co_u32_e32 v30, vcc, s12, v32
	v_addc_co_u32_e32 v31, vcc, v19, v33, vcc
	s_waitcnt vmcnt(0)
	v_fma_f64 v[21:22], v[8:9], v[36:37], v[21:22]
	v_lshlrev_b64 v[8:9], 3, v[14:15]
	v_fma_f64 v[23:24], v[10:11], v[36:37], v[23:24]
	v_add_co_u32_e32 v34, vcc, s14, v8
	v_addc_co_u32_e32 v35, vcc, v20, v9, vcc
	global_load_dwordx4 v[8:11], v[30:31], off
	global_load_dwordx2 v[36:37], v[34:35], off
	v_add_u32_e32 v14, -14, v12
	v_lshlrev_b64 v[32:33], 3, v[14:15]
	v_add_u32_e32 v14, 7, v29
	v_add_co_u32_e32 v30, vcc, s12, v32
	v_addc_co_u32_e32 v31, vcc, v19, v33, vcc
	s_waitcnt vmcnt(0)
	v_fma_f64 v[21:22], v[8:9], v[36:37], v[21:22]
	v_lshlrev_b64 v[8:9], 3, v[14:15]
	v_fma_f64 v[23:24], v[10:11], v[36:37], v[23:24]
	;; [unrolled: 13-line block ×7, first 2 shown]
	v_add_co_u32_e32 v34, vcc, s14, v8
	v_addc_co_u32_e32 v35, vcc, v20, v9, vcc
	global_load_dwordx4 v[8:11], v[30:31], off
	global_load_dwordx2 v[36:37], v[34:35], off
	v_add_u32_e32 v14, -2, v12
	v_lshlrev_b64 v[32:33], 3, v[14:15]
	v_add_u32_e32 v14, 13, v29
	v_add_co_u32_e32 v13, vcc, s12, v32
	v_add_u32_e32 v12, 0xf0, v12
	s_waitcnt vmcnt(0)
	v_fma_f64 v[21:22], v[8:9], v[36:37], v[21:22]
	v_lshlrev_b64 v[8:9], 3, v[14:15]
	v_addc_co_u32_e32 v14, vcc, v19, v33, vcc
	v_add_co_u32_e32 v30, vcc, s14, v8
	v_fma_f64 v[23:24], v[10:11], v[36:37], v[23:24]
	v_addc_co_u32_e32 v31, vcc, v20, v9, vcc
	global_load_dwordx4 v[8:11], v[13:14], off
	global_load_dwordx2 v[32:33], v[30:31], off
	v_add_u32_e32 v14, 14, v29
	v_lshlrev_b64 v[13:14], 3, v[14:15]
	v_add_co_u32_e32 v13, vcc, s14, v13
	v_addc_co_u32_e32 v14, vcc, v20, v14, vcc
	global_load_dwordx2 v[13:14], v[13:14], off
	v_cmp_ge_i32_e32 vcc, v16, v18
	s_or_b64 s[8:9], vcc, s[8:9]
	s_waitcnt vmcnt(1)
	v_fma_f64 v[8:9], v[8:9], v[32:33], v[21:22]
	v_fma_f64 v[10:11], v[10:11], v[32:33], v[23:24]
	s_waitcnt vmcnt(0)
	v_fma_f64 v[8:9], v[25:26], v[13:14], v[8:9]
	v_fma_f64 v[10:11], v[27:28], v[13:14], v[10:11]
	s_andn2_b64 exec, exec, s[8:9]
	s_cbranch_execnz .LBB142_9
; %bb.10:
	s_or_b64 exec, exec, s[8:9]
.LBB142_11:
	s_or_b64 exec, exec, s[6:7]
	s_cbranch_execz .LBB142_13
	s_branch .LBB142_18
.LBB142_12:
                                        ; implicit-def: $vgpr8_vgpr9
                                        ; implicit-def: $vgpr10_vgpr11
.LBB142_13:
	v_mov_b32_e32 v8, 0
	v_mov_b32_e32 v10, 0
	;; [unrolled: 1-line block ×4, first 2 shown]
	s_and_saveexec_b64 s[6:7], s[0:1]
	s_cbranch_execz .LBB142_17
; %bb.14:
	v_mad_u64_u32 v[12:13], s[0:1], v6, 30, 29
	v_mov_b32_e32 v8, 0
	v_mov_b32_e32 v10, 0
	;; [unrolled: 1-line block ×3, first 2 shown]
	s_mov_b64 s[0:1], 0
	v_mov_b32_e32 v16, s11
	v_mov_b32_e32 v15, 0
	;; [unrolled: 1-line block ×5, first 2 shown]
.LBB142_15:                             ; =>This Inner Loop Header: Depth=1
	v_ashrrev_i32_e32 v7, 31, v6
	v_lshlrev_b64 v[22:23], 2, v[6:7]
	v_subrev_u32_e32 v14, 29, v12
	v_add_co_u32_e32 v22, vcc, s10, v22
	v_addc_co_u32_e32 v23, vcc, v16, v23, vcc
	global_load_dword v7, v[22:23], off
	v_lshlrev_b64 v[24:25], 3, v[14:15]
	v_add_u32_e32 v20, -14, v12
	v_mov_b32_e32 v21, v15
	v_lshlrev_b64 v[20:21], 3, v[20:21]
	v_add_co_u32_e32 v24, vcc, s12, v24
	v_mov_b32_e32 v13, v15
	v_addc_co_u32_e32 v25, vcc, v17, v25, vcc
	v_lshlrev_b64 v[13:14], 3, v[12:13]
	v_add_co_u32_e32 v20, vcc, s12, v20
	v_addc_co_u32_e32 v21, vcc, v17, v21, vcc
	v_add_co_u32_e32 v26, vcc, s12, v13
	v_addc_co_u32_e32 v27, vcc, v17, v14, vcc
	v_mov_b32_e32 v14, v15
	v_add_u32_e32 v6, 8, v6
	s_waitcnt vmcnt(0)
	v_subrev_u32_e32 v7, s2, v7
	v_mul_lo_u32 v13, v7, 15
	v_lshlrev_b64 v[22:23], 3, v[13:14]
	v_add_u32_e32 v14, 1, v13
	v_add_co_u32_e32 v22, vcc, s14, v22
	v_addc_co_u32_e32 v23, vcc, v19, v23, vcc
	global_load_dwordx2 v[30:31], v[20:21], off
	global_load_dwordx2 v[32:33], v[22:23], off
	v_lshlrev_b64 v[28:29], 3, v[14:15]
	global_load_dwordx4 v[20:23], v[24:25], off
	v_add_co_u32_e32 v28, vcc, s14, v28
	v_addc_co_u32_e32 v29, vcc, v19, v29, vcc
	v_add_u32_e32 v14, -13, v12
	s_waitcnt vmcnt(1)
	v_fma_f64 v[10:11], v[30:31], v[32:33], v[10:11]
	s_waitcnt vmcnt(0)
	v_fma_f64 v[7:8], v[20:21], v[32:33], v[8:9]
	global_load_dwordx2 v[20:21], v[28:29], off
	s_waitcnt vmcnt(0)
	v_fma_f64 v[7:8], v[22:23], v[20:21], v[7:8]
	v_lshlrev_b64 v[22:23], 3, v[14:15]
	v_subrev_u32_e32 v14, 27, v12
	v_add_co_u32_e32 v22, vcc, s12, v22
	v_lshlrev_b64 v[24:25], 3, v[14:15]
	v_addc_co_u32_e32 v23, vcc, v17, v23, vcc
	v_add_co_u32_e32 v24, vcc, s12, v24
	v_addc_co_u32_e32 v25, vcc, v17, v25, vcc
	global_load_dwordx2 v[28:29], v[22:23], off
	global_load_dwordx2 v[30:31], v[24:25], off
	v_add_u32_e32 v14, 2, v13
	s_waitcnt vmcnt(1)
	v_fma_f64 v[9:10], v[28:29], v[20:21], v[10:11]
	v_lshlrev_b64 v[20:21], 3, v[14:15]
	v_add_u32_e32 v14, -12, v12
	v_add_co_u32_e32 v20, vcc, s14, v20
	v_addc_co_u32_e32 v21, vcc, v19, v21, vcc
	global_load_dwordx2 v[20:21], v[20:21], off
	v_lshlrev_b64 v[22:23], 3, v[14:15]
	v_subrev_u32_e32 v14, 26, v12
	v_add_co_u32_e32 v22, vcc, s12, v22
	v_lshlrev_b64 v[24:25], 3, v[14:15]
	v_addc_co_u32_e32 v23, vcc, v17, v23, vcc
	v_add_co_u32_e32 v24, vcc, s12, v24
	v_addc_co_u32_e32 v25, vcc, v17, v25, vcc
	v_add_u32_e32 v14, 3, v13
	s_waitcnt vmcnt(0)
	v_fma_f64 v[7:8], v[30:31], v[20:21], v[7:8]
	global_load_dwordx2 v[28:29], v[22:23], off
	global_load_dwordx2 v[30:31], v[24:25], off
	s_waitcnt vmcnt(1)
	v_fma_f64 v[9:10], v[28:29], v[20:21], v[9:10]
	v_lshlrev_b64 v[20:21], 3, v[14:15]
	v_add_u32_e32 v14, -11, v12
	v_add_co_u32_e32 v20, vcc, s14, v20
	v_addc_co_u32_e32 v21, vcc, v19, v21, vcc
	global_load_dwordx2 v[20:21], v[20:21], off
	v_lshlrev_b64 v[22:23], 3, v[14:15]
	v_subrev_u32_e32 v14, 25, v12
	v_add_co_u32_e32 v22, vcc, s12, v22
	v_lshlrev_b64 v[24:25], 3, v[14:15]
	v_addc_co_u32_e32 v23, vcc, v17, v23, vcc
	v_add_co_u32_e32 v24, vcc, s12, v24
	v_addc_co_u32_e32 v25, vcc, v17, v25, vcc
	v_add_u32_e32 v14, 4, v13
	s_waitcnt vmcnt(0)
	v_fma_f64 v[7:8], v[30:31], v[20:21], v[7:8]
	global_load_dwordx2 v[28:29], v[22:23], off
	global_load_dwordx2 v[30:31], v[24:25], off
	;; [unrolled: 19-line block ×10, first 2 shown]
	s_waitcnt vmcnt(1)
	v_fma_f64 v[9:10], v[28:29], v[20:21], v[9:10]
	v_lshlrev_b64 v[20:21], 3, v[14:15]
	v_add_u32_e32 v14, -2, v12
	v_add_co_u32_e32 v20, vcc, s14, v20
	v_addc_co_u32_e32 v21, vcc, v19, v21, vcc
	global_load_dwordx2 v[20:21], v[20:21], off
	v_lshlrev_b64 v[22:23], 3, v[14:15]
	v_add_u32_e32 v14, -16, v12
	v_add_co_u32_e32 v22, vcc, s12, v22
	v_lshlrev_b64 v[24:25], 3, v[14:15]
	v_addc_co_u32_e32 v23, vcc, v17, v23, vcc
	v_add_co_u32_e32 v24, vcc, s12, v24
	v_addc_co_u32_e32 v25, vcc, v17, v25, vcc
	v_add_u32_e32 v14, 13, v13
	s_waitcnt vmcnt(0)
	v_fma_f64 v[7:8], v[30:31], v[20:21], v[7:8]
	global_load_dwordx2 v[28:29], v[22:23], off
	global_load_dwordx2 v[30:31], v[24:25], off
	s_waitcnt vmcnt(1)
	v_fma_f64 v[9:10], v[28:29], v[20:21], v[9:10]
	v_lshlrev_b64 v[20:21], 3, v[14:15]
	v_add_u32_e32 v14, -1, v12
	v_add_co_u32_e32 v20, vcc, s14, v20
	v_addc_co_u32_e32 v21, vcc, v19, v21, vcc
	global_load_dwordx2 v[20:21], v[20:21], off
	v_lshlrev_b64 v[22:23], 3, v[14:15]
	v_add_u32_e32 v14, -15, v12
	v_lshlrev_b64 v[24:25], 3, v[14:15]
	v_add_co_u32_e32 v22, vcc, s12, v22
	v_add_u32_e32 v14, 14, v13
	v_addc_co_u32_e32 v23, vcc, v17, v23, vcc
	v_add_co_u32_e32 v24, vcc, s12, v24
	v_lshlrev_b64 v[13:14], 3, v[14:15]
	v_addc_co_u32_e32 v25, vcc, v17, v25, vcc
	v_add_co_u32_e32 v13, vcc, s14, v13
	v_addc_co_u32_e32 v14, vcc, v19, v14, vcc
	v_cmp_ge_i32_e32 vcc, v6, v18
	s_or_b64 s[0:1], vcc, s[0:1]
	v_add_u32_e32 v12, 0xf0, v12
	s_waitcnt vmcnt(0)
	v_fma_f64 v[7:8], v[30:31], v[20:21], v[7:8]
	global_load_dwordx2 v[28:29], v[22:23], off
	global_load_dwordx2 v[30:31], v[26:27], off
	;; [unrolled: 1-line block ×4, first 2 shown]
	s_waitcnt vmcnt(3)
	v_fma_f64 v[10:11], v[28:29], v[20:21], v[9:10]
	s_waitcnt vmcnt(0)
	v_fma_f64 v[8:9], v[32:33], v[34:35], v[7:8]
	v_fma_f64 v[10:11], v[30:31], v[34:35], v[10:11]
	s_andn2_b64 exec, exec, s[0:1]
	s_cbranch_execnz .LBB142_15
; %bb.16:
	s_or_b64 exec, exec, s[0:1]
.LBB142_17:
	s_or_b64 exec, exec, s[6:7]
.LBB142_18:
	v_mov_b32_dpp v6, v8 row_shr:1 row_mask:0xf bank_mask:0xf
	v_mov_b32_dpp v7, v9 row_shr:1 row_mask:0xf bank_mask:0xf
	v_add_f64 v[6:7], v[8:9], v[6:7]
	v_mov_b32_dpp v8, v10 row_shr:1 row_mask:0xf bank_mask:0xf
	v_mov_b32_dpp v9, v11 row_shr:1 row_mask:0xf bank_mask:0xf
	v_add_f64 v[8:9], v[10:11], v[8:9]
	v_cmp_eq_u32_e32 vcc, 7, v0
	v_mov_b32_dpp v10, v6 row_shr:2 row_mask:0xf bank_mask:0xf
	v_mov_b32_dpp v11, v7 row_shr:2 row_mask:0xf bank_mask:0xf
	v_add_f64 v[6:7], v[6:7], v[10:11]
	v_mov_b32_dpp v12, v8 row_shr:2 row_mask:0xf bank_mask:0xf
	v_mov_b32_dpp v13, v9 row_shr:2 row_mask:0xf bank_mask:0xf
	v_add_f64 v[10:11], v[8:9], v[12:13]
	v_mov_b32_dpp v8, v6 row_shr:4 row_mask:0xf bank_mask:0xe
	v_mov_b32_dpp v9, v7 row_shr:4 row_mask:0xf bank_mask:0xe
	;; [unrolled: 1-line block ×4, first 2 shown]
	s_and_b64 exec, exec, vcc
	s_cbranch_execz .LBB142_23
; %bb.19:
	v_add_f64 v[8:9], v[6:7], v[8:9]
	v_add_f64 v[6:7], v[10:11], v[12:13]
	v_cmp_eq_f64_e32 vcc, 0, v[3:4]
	s_load_dwordx2 s[0:1], s[4:5], 0x38
	s_and_saveexec_b64 s[2:3], vcc
	s_xor_b64 s[2:3], exec, s[2:3]
	s_cbranch_execz .LBB142_21
; %bb.20:
	v_mul_f64 v[3:4], v[1:2], v[8:9]
	v_lshlrev_b32_e32 v0, 1, v5
	v_mul_f64 v[5:6], v[1:2], v[6:7]
	v_ashrrev_i32_e32 v1, 31, v0
	v_lshlrev_b64 v[0:1], 3, v[0:1]
	s_waitcnt lgkmcnt(0)
	v_mov_b32_e32 v2, s1
	v_add_co_u32_e32 v0, vcc, s0, v0
	v_addc_co_u32_e32 v1, vcc, v2, v1, vcc
	global_store_dwordx4 v[0:1], v[3:6], off
                                        ; implicit-def: $vgpr5
                                        ; implicit-def: $vgpr1_vgpr2
                                        ; implicit-def: $vgpr8_vgpr9
                                        ; implicit-def: $vgpr3_vgpr4
                                        ; implicit-def: $vgpr6_vgpr7
.LBB142_21:
	s_andn2_saveexec_b64 s[2:3], s[2:3]
	s_cbranch_execz .LBB142_23
; %bb.22:
	v_lshlrev_b32_e32 v10, 1, v5
	v_ashrrev_i32_e32 v11, 31, v10
	v_lshlrev_b64 v[10:11], 3, v[10:11]
	s_waitcnt lgkmcnt(0)
	v_mov_b32_e32 v0, s1
	v_add_co_u32_e32 v14, vcc, s0, v10
	v_addc_co_u32_e32 v15, vcc, v0, v11, vcc
	global_load_dwordx4 v[10:13], v[14:15], off
	v_mul_f64 v[8:9], v[1:2], v[8:9]
	v_mul_f64 v[5:6], v[1:2], v[6:7]
	s_waitcnt vmcnt(0)
	v_fma_f64 v[0:1], v[3:4], v[10:11], v[8:9]
	v_fma_f64 v[2:3], v[3:4], v[12:13], v[5:6]
	global_store_dwordx4 v[14:15], v[0:3], off
.LBB142_23:
	s_endpgm
	.section	.rodata,"a",@progbits
	.p2align	6, 0x0
	.amdhsa_kernel _ZN9rocsparseL19gebsrmvn_2xn_kernelILj128ELj15ELj8EdEEvi20rocsparse_direction_NS_24const_host_device_scalarIT2_EEPKiS6_PKS3_S8_S4_PS3_21rocsparse_index_base_b
		.amdhsa_group_segment_fixed_size 0
		.amdhsa_private_segment_fixed_size 0
		.amdhsa_kernarg_size 72
		.amdhsa_user_sgpr_count 6
		.amdhsa_user_sgpr_private_segment_buffer 1
		.amdhsa_user_sgpr_dispatch_ptr 0
		.amdhsa_user_sgpr_queue_ptr 0
		.amdhsa_user_sgpr_kernarg_segment_ptr 1
		.amdhsa_user_sgpr_dispatch_id 0
		.amdhsa_user_sgpr_flat_scratch_init 0
		.amdhsa_user_sgpr_private_segment_size 0
		.amdhsa_uses_dynamic_stack 0
		.amdhsa_system_sgpr_private_segment_wavefront_offset 0
		.amdhsa_system_sgpr_workgroup_id_x 1
		.amdhsa_system_sgpr_workgroup_id_y 0
		.amdhsa_system_sgpr_workgroup_id_z 0
		.amdhsa_system_sgpr_workgroup_info 0
		.amdhsa_system_vgpr_workitem_id 0
		.amdhsa_next_free_vgpr 38
		.amdhsa_next_free_sgpr 16
		.amdhsa_reserve_vcc 1
		.amdhsa_reserve_flat_scratch 0
		.amdhsa_float_round_mode_32 0
		.amdhsa_float_round_mode_16_64 0
		.amdhsa_float_denorm_mode_32 3
		.amdhsa_float_denorm_mode_16_64 3
		.amdhsa_dx10_clamp 1
		.amdhsa_ieee_mode 1
		.amdhsa_fp16_overflow 0
		.amdhsa_exception_fp_ieee_invalid_op 0
		.amdhsa_exception_fp_denorm_src 0
		.amdhsa_exception_fp_ieee_div_zero 0
		.amdhsa_exception_fp_ieee_overflow 0
		.amdhsa_exception_fp_ieee_underflow 0
		.amdhsa_exception_fp_ieee_inexact 0
		.amdhsa_exception_int_div_zero 0
	.end_amdhsa_kernel
	.section	.text._ZN9rocsparseL19gebsrmvn_2xn_kernelILj128ELj15ELj8EdEEvi20rocsparse_direction_NS_24const_host_device_scalarIT2_EEPKiS6_PKS3_S8_S4_PS3_21rocsparse_index_base_b,"axG",@progbits,_ZN9rocsparseL19gebsrmvn_2xn_kernelILj128ELj15ELj8EdEEvi20rocsparse_direction_NS_24const_host_device_scalarIT2_EEPKiS6_PKS3_S8_S4_PS3_21rocsparse_index_base_b,comdat
.Lfunc_end142:
	.size	_ZN9rocsparseL19gebsrmvn_2xn_kernelILj128ELj15ELj8EdEEvi20rocsparse_direction_NS_24const_host_device_scalarIT2_EEPKiS6_PKS3_S8_S4_PS3_21rocsparse_index_base_b, .Lfunc_end142-_ZN9rocsparseL19gebsrmvn_2xn_kernelILj128ELj15ELj8EdEEvi20rocsparse_direction_NS_24const_host_device_scalarIT2_EEPKiS6_PKS3_S8_S4_PS3_21rocsparse_index_base_b
                                        ; -- End function
	.set _ZN9rocsparseL19gebsrmvn_2xn_kernelILj128ELj15ELj8EdEEvi20rocsparse_direction_NS_24const_host_device_scalarIT2_EEPKiS6_PKS3_S8_S4_PS3_21rocsparse_index_base_b.num_vgpr, 38
	.set _ZN9rocsparseL19gebsrmvn_2xn_kernelILj128ELj15ELj8EdEEvi20rocsparse_direction_NS_24const_host_device_scalarIT2_EEPKiS6_PKS3_S8_S4_PS3_21rocsparse_index_base_b.num_agpr, 0
	.set _ZN9rocsparseL19gebsrmvn_2xn_kernelILj128ELj15ELj8EdEEvi20rocsparse_direction_NS_24const_host_device_scalarIT2_EEPKiS6_PKS3_S8_S4_PS3_21rocsparse_index_base_b.numbered_sgpr, 16
	.set _ZN9rocsparseL19gebsrmvn_2xn_kernelILj128ELj15ELj8EdEEvi20rocsparse_direction_NS_24const_host_device_scalarIT2_EEPKiS6_PKS3_S8_S4_PS3_21rocsparse_index_base_b.num_named_barrier, 0
	.set _ZN9rocsparseL19gebsrmvn_2xn_kernelILj128ELj15ELj8EdEEvi20rocsparse_direction_NS_24const_host_device_scalarIT2_EEPKiS6_PKS3_S8_S4_PS3_21rocsparse_index_base_b.private_seg_size, 0
	.set _ZN9rocsparseL19gebsrmvn_2xn_kernelILj128ELj15ELj8EdEEvi20rocsparse_direction_NS_24const_host_device_scalarIT2_EEPKiS6_PKS3_S8_S4_PS3_21rocsparse_index_base_b.uses_vcc, 1
	.set _ZN9rocsparseL19gebsrmvn_2xn_kernelILj128ELj15ELj8EdEEvi20rocsparse_direction_NS_24const_host_device_scalarIT2_EEPKiS6_PKS3_S8_S4_PS3_21rocsparse_index_base_b.uses_flat_scratch, 0
	.set _ZN9rocsparseL19gebsrmvn_2xn_kernelILj128ELj15ELj8EdEEvi20rocsparse_direction_NS_24const_host_device_scalarIT2_EEPKiS6_PKS3_S8_S4_PS3_21rocsparse_index_base_b.has_dyn_sized_stack, 0
	.set _ZN9rocsparseL19gebsrmvn_2xn_kernelILj128ELj15ELj8EdEEvi20rocsparse_direction_NS_24const_host_device_scalarIT2_EEPKiS6_PKS3_S8_S4_PS3_21rocsparse_index_base_b.has_recursion, 0
	.set _ZN9rocsparseL19gebsrmvn_2xn_kernelILj128ELj15ELj8EdEEvi20rocsparse_direction_NS_24const_host_device_scalarIT2_EEPKiS6_PKS3_S8_S4_PS3_21rocsparse_index_base_b.has_indirect_call, 0
	.section	.AMDGPU.csdata,"",@progbits
; Kernel info:
; codeLenInByte = 3620
; TotalNumSgprs: 20
; NumVgprs: 38
; ScratchSize: 0
; MemoryBound: 0
; FloatMode: 240
; IeeeMode: 1
; LDSByteSize: 0 bytes/workgroup (compile time only)
; SGPRBlocks: 2
; VGPRBlocks: 9
; NumSGPRsForWavesPerEU: 20
; NumVGPRsForWavesPerEU: 38
; Occupancy: 6
; WaveLimiterHint : 1
; COMPUTE_PGM_RSRC2:SCRATCH_EN: 0
; COMPUTE_PGM_RSRC2:USER_SGPR: 6
; COMPUTE_PGM_RSRC2:TRAP_HANDLER: 0
; COMPUTE_PGM_RSRC2:TGID_X_EN: 1
; COMPUTE_PGM_RSRC2:TGID_Y_EN: 0
; COMPUTE_PGM_RSRC2:TGID_Z_EN: 0
; COMPUTE_PGM_RSRC2:TIDIG_COMP_CNT: 0
	.section	.text._ZN9rocsparseL19gebsrmvn_2xn_kernelILj128ELj15ELj16EdEEvi20rocsparse_direction_NS_24const_host_device_scalarIT2_EEPKiS6_PKS3_S8_S4_PS3_21rocsparse_index_base_b,"axG",@progbits,_ZN9rocsparseL19gebsrmvn_2xn_kernelILj128ELj15ELj16EdEEvi20rocsparse_direction_NS_24const_host_device_scalarIT2_EEPKiS6_PKS3_S8_S4_PS3_21rocsparse_index_base_b,comdat
	.globl	_ZN9rocsparseL19gebsrmvn_2xn_kernelILj128ELj15ELj16EdEEvi20rocsparse_direction_NS_24const_host_device_scalarIT2_EEPKiS6_PKS3_S8_S4_PS3_21rocsparse_index_base_b ; -- Begin function _ZN9rocsparseL19gebsrmvn_2xn_kernelILj128ELj15ELj16EdEEvi20rocsparse_direction_NS_24const_host_device_scalarIT2_EEPKiS6_PKS3_S8_S4_PS3_21rocsparse_index_base_b
	.p2align	8
	.type	_ZN9rocsparseL19gebsrmvn_2xn_kernelILj128ELj15ELj16EdEEvi20rocsparse_direction_NS_24const_host_device_scalarIT2_EEPKiS6_PKS3_S8_S4_PS3_21rocsparse_index_base_b,@function
_ZN9rocsparseL19gebsrmvn_2xn_kernelILj128ELj15ELj16EdEEvi20rocsparse_direction_NS_24const_host_device_scalarIT2_EEPKiS6_PKS3_S8_S4_PS3_21rocsparse_index_base_b: ; @_ZN9rocsparseL19gebsrmvn_2xn_kernelILj128ELj15ELj16EdEEvi20rocsparse_direction_NS_24const_host_device_scalarIT2_EEPKiS6_PKS3_S8_S4_PS3_21rocsparse_index_base_b
; %bb.0:
	s_load_dwordx2 s[2:3], s[4:5], 0x40
	s_load_dwordx2 s[10:11], s[4:5], 0x8
	s_load_dwordx2 s[0:1], s[4:5], 0x30
	s_waitcnt lgkmcnt(0)
	s_bitcmp1_b32 s3, 0
	s_cselect_b64 s[12:13], -1, 0
	v_mov_b32_e32 v1, s10
	s_xor_b64 s[8:9], s[12:13], -1
	s_and_b64 vcc, exec, s[12:13]
	v_mov_b32_e32 v2, s11
	s_cbranch_vccnz .LBB143_2
; %bb.1:
	v_mov_b32_e32 v1, s10
	v_mov_b32_e32 v2, s11
	flat_load_dwordx2 v[1:2], v[1:2]
.LBB143_2:
	v_mov_b32_e32 v4, s1
	s_andn2_b64 vcc, exec, s[8:9]
	v_mov_b32_e32 v3, s0
	s_cbranch_vccnz .LBB143_4
; %bb.3:
	v_mov_b32_e32 v4, s1
	v_mov_b32_e32 v3, s0
	flat_load_dwordx2 v[3:4], v[3:4]
.LBB143_4:
	s_waitcnt vmcnt(0) lgkmcnt(0)
	v_cmp_neq_f64_e32 vcc, 0, v[1:2]
	v_cmp_neq_f64_e64 s[0:1], 1.0, v[3:4]
	s_or_b64 s[0:1], vcc, s[0:1]
	s_and_saveexec_b64 s[8:9], s[0:1]
	s_cbranch_execz .LBB143_23
; %bb.5:
	s_load_dwordx2 s[0:1], s[4:5], 0x0
	v_lshrrev_b32_e32 v5, 4, v0
	v_lshl_or_b32 v5, s6, 3, v5
	s_waitcnt lgkmcnt(0)
	v_cmp_gt_i32_e32 vcc, s0, v5
	s_and_b64 exec, exec, vcc
	s_cbranch_execz .LBB143_23
; %bb.6:
	s_load_dwordx8 s[8:15], s[4:5], 0x10
	v_ashrrev_i32_e32 v6, 31, v5
	v_lshlrev_b64 v[6:7], 2, v[5:6]
	v_and_b32_e32 v0, 15, v0
	s_cmp_lg_u32 s1, 0
	s_waitcnt lgkmcnt(0)
	v_mov_b32_e32 v8, s9
	v_add_co_u32_e32 v6, vcc, s8, v6
	v_addc_co_u32_e32 v7, vcc, v8, v7, vcc
	global_load_dwordx2 v[6:7], v[6:7], off
	s_waitcnt vmcnt(0)
	v_subrev_u32_e32 v6, s2, v6
	v_subrev_u32_e32 v18, s2, v7
	v_add_u32_e32 v6, v6, v0
	v_cmp_lt_i32_e64 s[0:1], v6, v18
	s_cbranch_scc0 .LBB143_12
; %bb.7:
	v_mov_b32_e32 v8, 0
	v_mov_b32_e32 v10, 0
	v_mov_b32_e32 v9, 0
	v_mov_b32_e32 v11, 0
	s_and_saveexec_b64 s[6:7], s[0:1]
	s_cbranch_execz .LBB143_11
; %bb.8:
	v_mad_u64_u32 v[12:13], s[8:9], v6, 30, 28
	v_mov_b32_e32 v8, 0
	v_mov_b32_e32 v10, 0
	;; [unrolled: 1-line block ×3, first 2 shown]
	s_mov_b64 s[8:9], 0
	v_mov_b32_e32 v7, s11
	v_mov_b32_e32 v15, 0
	;; [unrolled: 1-line block ×6, first 2 shown]
.LBB143_9:                              ; =>This Inner Loop Header: Depth=1
	v_ashrrev_i32_e32 v17, 31, v16
	v_lshlrev_b64 v[21:22], 2, v[16:17]
	v_subrev_u32_e32 v14, 28, v12
	v_lshlrev_b64 v[23:24], 3, v[14:15]
	v_add_co_u32_e32 v27, vcc, s10, v21
	v_addc_co_u32_e32 v28, vcc, v7, v22, vcc
	v_add_co_u32_e32 v31, vcc, s12, v23
	v_addc_co_u32_e32 v32, vcc, v19, v24, vcc
	global_load_dword v17, v[27:28], off
	global_load_dwordx4 v[21:24], v[31:32], off
	v_mov_b32_e32 v13, v15
	v_lshlrev_b64 v[25:26], 3, v[12:13]
	v_subrev_u32_e32 v14, 26, v12
	v_lshlrev_b64 v[13:14], 3, v[14:15]
	v_add_co_u32_e32 v33, vcc, s12, v25
	v_mov_b32_e32 v30, v15
	v_addc_co_u32_e32 v34, vcc, v19, v26, vcc
	v_add_co_u32_e32 v13, vcc, s12, v13
	v_addc_co_u32_e32 v14, vcc, v19, v14, vcc
	v_add_u32_e32 v16, 16, v16
	s_waitcnt vmcnt(1)
	v_subrev_u32_e32 v17, s2, v17
	v_mul_lo_u32 v29, v17, 15
	v_lshlrev_b64 v[25:26], 3, v[29:30]
	v_add_co_u32_e32 v30, vcc, s14, v25
	v_addc_co_u32_e32 v31, vcc, v20, v26, vcc
	global_load_dwordx4 v[25:28], v[33:34], off
	global_load_dwordx2 v[35:36], v[30:31], off
	s_waitcnt vmcnt(0)
	v_fma_f64 v[21:22], v[21:22], v[35:36], v[8:9]
	v_fma_f64 v[23:24], v[23:24], v[35:36], v[10:11]
	global_load_dwordx4 v[8:11], v[13:14], off
	v_add_u32_e32 v14, 1, v29
	v_lshlrev_b64 v[30:31], 3, v[14:15]
	v_subrev_u32_e32 v14, 24, v12
	v_add_co_u32_e32 v30, vcc, s14, v30
	v_addc_co_u32_e32 v31, vcc, v20, v31, vcc
	global_load_dwordx2 v[30:31], v[30:31], off
	v_lshlrev_b64 v[32:33], 3, v[14:15]
	v_add_u32_e32 v14, 2, v29
	s_waitcnt vmcnt(0)
	v_fma_f64 v[21:22], v[8:9], v[30:31], v[21:22]
	v_fma_f64 v[23:24], v[10:11], v[30:31], v[23:24]
	v_lshlrev_b64 v[8:9], 3, v[14:15]
	v_add_co_u32_e32 v30, vcc, s12, v32
	v_addc_co_u32_e32 v31, vcc, v19, v33, vcc
	v_add_co_u32_e32 v34, vcc, s14, v8
	v_addc_co_u32_e32 v35, vcc, v20, v9, vcc
	global_load_dwordx4 v[8:11], v[30:31], off
	global_load_dwordx2 v[36:37], v[34:35], off
	v_subrev_u32_e32 v14, 22, v12
	v_lshlrev_b64 v[32:33], 3, v[14:15]
	v_add_u32_e32 v14, 3, v29
	v_add_co_u32_e32 v30, vcc, s12, v32
	v_addc_co_u32_e32 v31, vcc, v19, v33, vcc
	s_waitcnt vmcnt(0)
	v_fma_f64 v[21:22], v[8:9], v[36:37], v[21:22]
	v_lshlrev_b64 v[8:9], 3, v[14:15]
	v_fma_f64 v[23:24], v[10:11], v[36:37], v[23:24]
	v_add_co_u32_e32 v34, vcc, s14, v8
	v_addc_co_u32_e32 v35, vcc, v20, v9, vcc
	global_load_dwordx4 v[8:11], v[30:31], off
	global_load_dwordx2 v[36:37], v[34:35], off
	v_subrev_u32_e32 v14, 20, v12
	v_lshlrev_b64 v[32:33], 3, v[14:15]
	v_add_u32_e32 v14, 4, v29
	v_add_co_u32_e32 v30, vcc, s12, v32
	v_addc_co_u32_e32 v31, vcc, v19, v33, vcc
	s_waitcnt vmcnt(0)
	v_fma_f64 v[21:22], v[8:9], v[36:37], v[21:22]
	v_lshlrev_b64 v[8:9], 3, v[14:15]
	v_fma_f64 v[23:24], v[10:11], v[36:37], v[23:24]
	;; [unrolled: 13-line block ×3, first 2 shown]
	v_add_co_u32_e32 v34, vcc, s14, v8
	v_addc_co_u32_e32 v35, vcc, v20, v9, vcc
	global_load_dwordx4 v[8:11], v[30:31], off
	global_load_dwordx2 v[36:37], v[34:35], off
	v_add_u32_e32 v14, -16, v12
	v_lshlrev_b64 v[32:33], 3, v[14:15]
	v_add_u32_e32 v14, 6, v29
	v_add_co_u32_e32 v30, vcc, s12, v32
	v_addc_co_u32_e32 v31, vcc, v19, v33, vcc
	s_waitcnt vmcnt(0)
	v_fma_f64 v[21:22], v[8:9], v[36:37], v[21:22]
	v_lshlrev_b64 v[8:9], 3, v[14:15]
	v_fma_f64 v[23:24], v[10:11], v[36:37], v[23:24]
	v_add_co_u32_e32 v34, vcc, s14, v8
	v_addc_co_u32_e32 v35, vcc, v20, v9, vcc
	global_load_dwordx4 v[8:11], v[30:31], off
	global_load_dwordx2 v[36:37], v[34:35], off
	v_add_u32_e32 v14, -14, v12
	v_lshlrev_b64 v[32:33], 3, v[14:15]
	v_add_u32_e32 v14, 7, v29
	v_add_co_u32_e32 v30, vcc, s12, v32
	v_addc_co_u32_e32 v31, vcc, v19, v33, vcc
	s_waitcnt vmcnt(0)
	v_fma_f64 v[21:22], v[8:9], v[36:37], v[21:22]
	v_lshlrev_b64 v[8:9], 3, v[14:15]
	v_fma_f64 v[23:24], v[10:11], v[36:37], v[23:24]
	;; [unrolled: 13-line block ×7, first 2 shown]
	v_add_co_u32_e32 v34, vcc, s14, v8
	v_addc_co_u32_e32 v35, vcc, v20, v9, vcc
	global_load_dwordx4 v[8:11], v[30:31], off
	global_load_dwordx2 v[36:37], v[34:35], off
	v_add_u32_e32 v14, -2, v12
	v_lshlrev_b64 v[32:33], 3, v[14:15]
	v_add_u32_e32 v14, 13, v29
	v_add_co_u32_e32 v13, vcc, s12, v32
	v_add_u32_e32 v12, 0x1e0, v12
	s_waitcnt vmcnt(0)
	v_fma_f64 v[21:22], v[8:9], v[36:37], v[21:22]
	v_lshlrev_b64 v[8:9], 3, v[14:15]
	v_addc_co_u32_e32 v14, vcc, v19, v33, vcc
	v_add_co_u32_e32 v30, vcc, s14, v8
	v_fma_f64 v[23:24], v[10:11], v[36:37], v[23:24]
	v_addc_co_u32_e32 v31, vcc, v20, v9, vcc
	global_load_dwordx4 v[8:11], v[13:14], off
	global_load_dwordx2 v[32:33], v[30:31], off
	v_add_u32_e32 v14, 14, v29
	v_lshlrev_b64 v[13:14], 3, v[14:15]
	v_add_co_u32_e32 v13, vcc, s14, v13
	v_addc_co_u32_e32 v14, vcc, v20, v14, vcc
	global_load_dwordx2 v[13:14], v[13:14], off
	v_cmp_ge_i32_e32 vcc, v16, v18
	s_or_b64 s[8:9], vcc, s[8:9]
	s_waitcnt vmcnt(1)
	v_fma_f64 v[8:9], v[8:9], v[32:33], v[21:22]
	v_fma_f64 v[10:11], v[10:11], v[32:33], v[23:24]
	s_waitcnt vmcnt(0)
	v_fma_f64 v[8:9], v[25:26], v[13:14], v[8:9]
	v_fma_f64 v[10:11], v[27:28], v[13:14], v[10:11]
	s_andn2_b64 exec, exec, s[8:9]
	s_cbranch_execnz .LBB143_9
; %bb.10:
	s_or_b64 exec, exec, s[8:9]
.LBB143_11:
	s_or_b64 exec, exec, s[6:7]
	s_cbranch_execz .LBB143_13
	s_branch .LBB143_18
.LBB143_12:
                                        ; implicit-def: $vgpr8_vgpr9
                                        ; implicit-def: $vgpr10_vgpr11
.LBB143_13:
	v_mov_b32_e32 v8, 0
	v_mov_b32_e32 v10, 0
	;; [unrolled: 1-line block ×4, first 2 shown]
	s_and_saveexec_b64 s[6:7], s[0:1]
	s_cbranch_execz .LBB143_17
; %bb.14:
	v_mad_u64_u32 v[12:13], s[0:1], v6, 30, 29
	v_mov_b32_e32 v8, 0
	v_mov_b32_e32 v10, 0
	;; [unrolled: 1-line block ×3, first 2 shown]
	s_mov_b64 s[0:1], 0
	v_mov_b32_e32 v16, s11
	v_mov_b32_e32 v15, 0
	;; [unrolled: 1-line block ×5, first 2 shown]
.LBB143_15:                             ; =>This Inner Loop Header: Depth=1
	v_ashrrev_i32_e32 v7, 31, v6
	v_lshlrev_b64 v[22:23], 2, v[6:7]
	v_subrev_u32_e32 v14, 29, v12
	v_add_co_u32_e32 v22, vcc, s10, v22
	v_addc_co_u32_e32 v23, vcc, v16, v23, vcc
	global_load_dword v7, v[22:23], off
	v_lshlrev_b64 v[24:25], 3, v[14:15]
	v_add_u32_e32 v20, -14, v12
	v_mov_b32_e32 v21, v15
	v_lshlrev_b64 v[20:21], 3, v[20:21]
	v_add_co_u32_e32 v24, vcc, s12, v24
	v_mov_b32_e32 v13, v15
	v_addc_co_u32_e32 v25, vcc, v17, v25, vcc
	v_lshlrev_b64 v[13:14], 3, v[12:13]
	v_add_co_u32_e32 v20, vcc, s12, v20
	v_addc_co_u32_e32 v21, vcc, v17, v21, vcc
	v_add_co_u32_e32 v26, vcc, s12, v13
	v_addc_co_u32_e32 v27, vcc, v17, v14, vcc
	v_mov_b32_e32 v14, v15
	v_add_u32_e32 v6, 16, v6
	s_waitcnt vmcnt(0)
	v_subrev_u32_e32 v7, s2, v7
	v_mul_lo_u32 v13, v7, 15
	v_lshlrev_b64 v[22:23], 3, v[13:14]
	v_add_u32_e32 v14, 1, v13
	v_add_co_u32_e32 v22, vcc, s14, v22
	v_addc_co_u32_e32 v23, vcc, v19, v23, vcc
	global_load_dwordx2 v[30:31], v[20:21], off
	global_load_dwordx2 v[32:33], v[22:23], off
	v_lshlrev_b64 v[28:29], 3, v[14:15]
	global_load_dwordx4 v[20:23], v[24:25], off
	v_add_co_u32_e32 v28, vcc, s14, v28
	v_addc_co_u32_e32 v29, vcc, v19, v29, vcc
	v_add_u32_e32 v14, -13, v12
	s_waitcnt vmcnt(1)
	v_fma_f64 v[10:11], v[30:31], v[32:33], v[10:11]
	s_waitcnt vmcnt(0)
	v_fma_f64 v[7:8], v[20:21], v[32:33], v[8:9]
	global_load_dwordx2 v[20:21], v[28:29], off
	s_waitcnt vmcnt(0)
	v_fma_f64 v[7:8], v[22:23], v[20:21], v[7:8]
	v_lshlrev_b64 v[22:23], 3, v[14:15]
	v_subrev_u32_e32 v14, 27, v12
	v_add_co_u32_e32 v22, vcc, s12, v22
	v_lshlrev_b64 v[24:25], 3, v[14:15]
	v_addc_co_u32_e32 v23, vcc, v17, v23, vcc
	v_add_co_u32_e32 v24, vcc, s12, v24
	v_addc_co_u32_e32 v25, vcc, v17, v25, vcc
	global_load_dwordx2 v[28:29], v[22:23], off
	global_load_dwordx2 v[30:31], v[24:25], off
	v_add_u32_e32 v14, 2, v13
	s_waitcnt vmcnt(1)
	v_fma_f64 v[9:10], v[28:29], v[20:21], v[10:11]
	v_lshlrev_b64 v[20:21], 3, v[14:15]
	v_add_u32_e32 v14, -12, v12
	v_add_co_u32_e32 v20, vcc, s14, v20
	v_addc_co_u32_e32 v21, vcc, v19, v21, vcc
	global_load_dwordx2 v[20:21], v[20:21], off
	v_lshlrev_b64 v[22:23], 3, v[14:15]
	v_subrev_u32_e32 v14, 26, v12
	v_add_co_u32_e32 v22, vcc, s12, v22
	v_lshlrev_b64 v[24:25], 3, v[14:15]
	v_addc_co_u32_e32 v23, vcc, v17, v23, vcc
	v_add_co_u32_e32 v24, vcc, s12, v24
	v_addc_co_u32_e32 v25, vcc, v17, v25, vcc
	v_add_u32_e32 v14, 3, v13
	s_waitcnt vmcnt(0)
	v_fma_f64 v[7:8], v[30:31], v[20:21], v[7:8]
	global_load_dwordx2 v[28:29], v[22:23], off
	global_load_dwordx2 v[30:31], v[24:25], off
	s_waitcnt vmcnt(1)
	v_fma_f64 v[9:10], v[28:29], v[20:21], v[9:10]
	v_lshlrev_b64 v[20:21], 3, v[14:15]
	v_add_u32_e32 v14, -11, v12
	v_add_co_u32_e32 v20, vcc, s14, v20
	v_addc_co_u32_e32 v21, vcc, v19, v21, vcc
	global_load_dwordx2 v[20:21], v[20:21], off
	v_lshlrev_b64 v[22:23], 3, v[14:15]
	v_subrev_u32_e32 v14, 25, v12
	v_add_co_u32_e32 v22, vcc, s12, v22
	v_lshlrev_b64 v[24:25], 3, v[14:15]
	v_addc_co_u32_e32 v23, vcc, v17, v23, vcc
	v_add_co_u32_e32 v24, vcc, s12, v24
	v_addc_co_u32_e32 v25, vcc, v17, v25, vcc
	v_add_u32_e32 v14, 4, v13
	s_waitcnt vmcnt(0)
	v_fma_f64 v[7:8], v[30:31], v[20:21], v[7:8]
	global_load_dwordx2 v[28:29], v[22:23], off
	global_load_dwordx2 v[30:31], v[24:25], off
	;; [unrolled: 19-line block ×10, first 2 shown]
	s_waitcnt vmcnt(1)
	v_fma_f64 v[9:10], v[28:29], v[20:21], v[9:10]
	v_lshlrev_b64 v[20:21], 3, v[14:15]
	v_add_u32_e32 v14, -2, v12
	v_add_co_u32_e32 v20, vcc, s14, v20
	v_addc_co_u32_e32 v21, vcc, v19, v21, vcc
	global_load_dwordx2 v[20:21], v[20:21], off
	v_lshlrev_b64 v[22:23], 3, v[14:15]
	v_add_u32_e32 v14, -16, v12
	v_add_co_u32_e32 v22, vcc, s12, v22
	v_lshlrev_b64 v[24:25], 3, v[14:15]
	v_addc_co_u32_e32 v23, vcc, v17, v23, vcc
	v_add_co_u32_e32 v24, vcc, s12, v24
	v_addc_co_u32_e32 v25, vcc, v17, v25, vcc
	v_add_u32_e32 v14, 13, v13
	s_waitcnt vmcnt(0)
	v_fma_f64 v[7:8], v[30:31], v[20:21], v[7:8]
	global_load_dwordx2 v[28:29], v[22:23], off
	global_load_dwordx2 v[30:31], v[24:25], off
	s_waitcnt vmcnt(1)
	v_fma_f64 v[9:10], v[28:29], v[20:21], v[9:10]
	v_lshlrev_b64 v[20:21], 3, v[14:15]
	v_add_u32_e32 v14, -1, v12
	v_add_co_u32_e32 v20, vcc, s14, v20
	v_addc_co_u32_e32 v21, vcc, v19, v21, vcc
	global_load_dwordx2 v[20:21], v[20:21], off
	v_lshlrev_b64 v[22:23], 3, v[14:15]
	v_add_u32_e32 v14, -15, v12
	v_lshlrev_b64 v[24:25], 3, v[14:15]
	v_add_co_u32_e32 v22, vcc, s12, v22
	v_add_u32_e32 v14, 14, v13
	v_addc_co_u32_e32 v23, vcc, v17, v23, vcc
	v_add_co_u32_e32 v24, vcc, s12, v24
	v_lshlrev_b64 v[13:14], 3, v[14:15]
	v_addc_co_u32_e32 v25, vcc, v17, v25, vcc
	v_add_co_u32_e32 v13, vcc, s14, v13
	v_addc_co_u32_e32 v14, vcc, v19, v14, vcc
	v_cmp_ge_i32_e32 vcc, v6, v18
	s_or_b64 s[0:1], vcc, s[0:1]
	v_add_u32_e32 v12, 0x1e0, v12
	s_waitcnt vmcnt(0)
	v_fma_f64 v[7:8], v[30:31], v[20:21], v[7:8]
	global_load_dwordx2 v[28:29], v[22:23], off
	global_load_dwordx2 v[30:31], v[26:27], off
	;; [unrolled: 1-line block ×4, first 2 shown]
	s_waitcnt vmcnt(3)
	v_fma_f64 v[10:11], v[28:29], v[20:21], v[9:10]
	s_waitcnt vmcnt(0)
	v_fma_f64 v[8:9], v[32:33], v[34:35], v[7:8]
	v_fma_f64 v[10:11], v[30:31], v[34:35], v[10:11]
	s_andn2_b64 exec, exec, s[0:1]
	s_cbranch_execnz .LBB143_15
; %bb.16:
	s_or_b64 exec, exec, s[0:1]
.LBB143_17:
	s_or_b64 exec, exec, s[6:7]
.LBB143_18:
	v_mov_b32_dpp v6, v8 row_shr:1 row_mask:0xf bank_mask:0xf
	v_mov_b32_dpp v7, v9 row_shr:1 row_mask:0xf bank_mask:0xf
	v_add_f64 v[6:7], v[8:9], v[6:7]
	v_mov_b32_dpp v8, v10 row_shr:1 row_mask:0xf bank_mask:0xf
	v_mov_b32_dpp v9, v11 row_shr:1 row_mask:0xf bank_mask:0xf
	v_add_f64 v[8:9], v[10:11], v[8:9]
	v_cmp_eq_u32_e32 vcc, 15, v0
	v_mov_b32_dpp v10, v6 row_shr:2 row_mask:0xf bank_mask:0xf
	v_mov_b32_dpp v11, v7 row_shr:2 row_mask:0xf bank_mask:0xf
	v_add_f64 v[6:7], v[6:7], v[10:11]
	v_mov_b32_dpp v12, v8 row_shr:2 row_mask:0xf bank_mask:0xf
	v_mov_b32_dpp v13, v9 row_shr:2 row_mask:0xf bank_mask:0xf
	v_add_f64 v[8:9], v[8:9], v[12:13]
	;; [unrolled: 3-line block ×4, first 2 shown]
	v_mov_b32_dpp v8, v6 row_shr:8 row_mask:0xf bank_mask:0xc
	v_mov_b32_dpp v9, v7 row_shr:8 row_mask:0xf bank_mask:0xc
	;; [unrolled: 1-line block ×4, first 2 shown]
	s_and_b64 exec, exec, vcc
	s_cbranch_execz .LBB143_23
; %bb.19:
	v_add_f64 v[8:9], v[6:7], v[8:9]
	v_add_f64 v[6:7], v[10:11], v[12:13]
	v_cmp_eq_f64_e32 vcc, 0, v[3:4]
	s_load_dwordx2 s[0:1], s[4:5], 0x38
	s_and_saveexec_b64 s[2:3], vcc
	s_xor_b64 s[2:3], exec, s[2:3]
	s_cbranch_execz .LBB143_21
; %bb.20:
	v_mul_f64 v[3:4], v[1:2], v[8:9]
	v_lshlrev_b32_e32 v0, 1, v5
	v_mul_f64 v[5:6], v[1:2], v[6:7]
	v_ashrrev_i32_e32 v1, 31, v0
	v_lshlrev_b64 v[0:1], 3, v[0:1]
	s_waitcnt lgkmcnt(0)
	v_mov_b32_e32 v2, s1
	v_add_co_u32_e32 v0, vcc, s0, v0
	v_addc_co_u32_e32 v1, vcc, v2, v1, vcc
	global_store_dwordx4 v[0:1], v[3:6], off
                                        ; implicit-def: $vgpr5
                                        ; implicit-def: $vgpr1_vgpr2
                                        ; implicit-def: $vgpr8_vgpr9
                                        ; implicit-def: $vgpr3_vgpr4
                                        ; implicit-def: $vgpr6_vgpr7
.LBB143_21:
	s_andn2_saveexec_b64 s[2:3], s[2:3]
	s_cbranch_execz .LBB143_23
; %bb.22:
	v_lshlrev_b32_e32 v10, 1, v5
	v_ashrrev_i32_e32 v11, 31, v10
	v_lshlrev_b64 v[10:11], 3, v[10:11]
	s_waitcnt lgkmcnt(0)
	v_mov_b32_e32 v0, s1
	v_add_co_u32_e32 v14, vcc, s0, v10
	v_addc_co_u32_e32 v15, vcc, v0, v11, vcc
	global_load_dwordx4 v[10:13], v[14:15], off
	v_mul_f64 v[8:9], v[1:2], v[8:9]
	v_mul_f64 v[5:6], v[1:2], v[6:7]
	s_waitcnt vmcnt(0)
	v_fma_f64 v[0:1], v[3:4], v[10:11], v[8:9]
	v_fma_f64 v[2:3], v[3:4], v[12:13], v[5:6]
	global_store_dwordx4 v[14:15], v[0:3], off
.LBB143_23:
	s_endpgm
	.section	.rodata,"a",@progbits
	.p2align	6, 0x0
	.amdhsa_kernel _ZN9rocsparseL19gebsrmvn_2xn_kernelILj128ELj15ELj16EdEEvi20rocsparse_direction_NS_24const_host_device_scalarIT2_EEPKiS6_PKS3_S8_S4_PS3_21rocsparse_index_base_b
		.amdhsa_group_segment_fixed_size 0
		.amdhsa_private_segment_fixed_size 0
		.amdhsa_kernarg_size 72
		.amdhsa_user_sgpr_count 6
		.amdhsa_user_sgpr_private_segment_buffer 1
		.amdhsa_user_sgpr_dispatch_ptr 0
		.amdhsa_user_sgpr_queue_ptr 0
		.amdhsa_user_sgpr_kernarg_segment_ptr 1
		.amdhsa_user_sgpr_dispatch_id 0
		.amdhsa_user_sgpr_flat_scratch_init 0
		.amdhsa_user_sgpr_private_segment_size 0
		.amdhsa_uses_dynamic_stack 0
		.amdhsa_system_sgpr_private_segment_wavefront_offset 0
		.amdhsa_system_sgpr_workgroup_id_x 1
		.amdhsa_system_sgpr_workgroup_id_y 0
		.amdhsa_system_sgpr_workgroup_id_z 0
		.amdhsa_system_sgpr_workgroup_info 0
		.amdhsa_system_vgpr_workitem_id 0
		.amdhsa_next_free_vgpr 38
		.amdhsa_next_free_sgpr 16
		.amdhsa_reserve_vcc 1
		.amdhsa_reserve_flat_scratch 0
		.amdhsa_float_round_mode_32 0
		.amdhsa_float_round_mode_16_64 0
		.amdhsa_float_denorm_mode_32 3
		.amdhsa_float_denorm_mode_16_64 3
		.amdhsa_dx10_clamp 1
		.amdhsa_ieee_mode 1
		.amdhsa_fp16_overflow 0
		.amdhsa_exception_fp_ieee_invalid_op 0
		.amdhsa_exception_fp_denorm_src 0
		.amdhsa_exception_fp_ieee_div_zero 0
		.amdhsa_exception_fp_ieee_overflow 0
		.amdhsa_exception_fp_ieee_underflow 0
		.amdhsa_exception_fp_ieee_inexact 0
		.amdhsa_exception_int_div_zero 0
	.end_amdhsa_kernel
	.section	.text._ZN9rocsparseL19gebsrmvn_2xn_kernelILj128ELj15ELj16EdEEvi20rocsparse_direction_NS_24const_host_device_scalarIT2_EEPKiS6_PKS3_S8_S4_PS3_21rocsparse_index_base_b,"axG",@progbits,_ZN9rocsparseL19gebsrmvn_2xn_kernelILj128ELj15ELj16EdEEvi20rocsparse_direction_NS_24const_host_device_scalarIT2_EEPKiS6_PKS3_S8_S4_PS3_21rocsparse_index_base_b,comdat
.Lfunc_end143:
	.size	_ZN9rocsparseL19gebsrmvn_2xn_kernelILj128ELj15ELj16EdEEvi20rocsparse_direction_NS_24const_host_device_scalarIT2_EEPKiS6_PKS3_S8_S4_PS3_21rocsparse_index_base_b, .Lfunc_end143-_ZN9rocsparseL19gebsrmvn_2xn_kernelILj128ELj15ELj16EdEEvi20rocsparse_direction_NS_24const_host_device_scalarIT2_EEPKiS6_PKS3_S8_S4_PS3_21rocsparse_index_base_b
                                        ; -- End function
	.set _ZN9rocsparseL19gebsrmvn_2xn_kernelILj128ELj15ELj16EdEEvi20rocsparse_direction_NS_24const_host_device_scalarIT2_EEPKiS6_PKS3_S8_S4_PS3_21rocsparse_index_base_b.num_vgpr, 38
	.set _ZN9rocsparseL19gebsrmvn_2xn_kernelILj128ELj15ELj16EdEEvi20rocsparse_direction_NS_24const_host_device_scalarIT2_EEPKiS6_PKS3_S8_S4_PS3_21rocsparse_index_base_b.num_agpr, 0
	.set _ZN9rocsparseL19gebsrmvn_2xn_kernelILj128ELj15ELj16EdEEvi20rocsparse_direction_NS_24const_host_device_scalarIT2_EEPKiS6_PKS3_S8_S4_PS3_21rocsparse_index_base_b.numbered_sgpr, 16
	.set _ZN9rocsparseL19gebsrmvn_2xn_kernelILj128ELj15ELj16EdEEvi20rocsparse_direction_NS_24const_host_device_scalarIT2_EEPKiS6_PKS3_S8_S4_PS3_21rocsparse_index_base_b.num_named_barrier, 0
	.set _ZN9rocsparseL19gebsrmvn_2xn_kernelILj128ELj15ELj16EdEEvi20rocsparse_direction_NS_24const_host_device_scalarIT2_EEPKiS6_PKS3_S8_S4_PS3_21rocsparse_index_base_b.private_seg_size, 0
	.set _ZN9rocsparseL19gebsrmvn_2xn_kernelILj128ELj15ELj16EdEEvi20rocsparse_direction_NS_24const_host_device_scalarIT2_EEPKiS6_PKS3_S8_S4_PS3_21rocsparse_index_base_b.uses_vcc, 1
	.set _ZN9rocsparseL19gebsrmvn_2xn_kernelILj128ELj15ELj16EdEEvi20rocsparse_direction_NS_24const_host_device_scalarIT2_EEPKiS6_PKS3_S8_S4_PS3_21rocsparse_index_base_b.uses_flat_scratch, 0
	.set _ZN9rocsparseL19gebsrmvn_2xn_kernelILj128ELj15ELj16EdEEvi20rocsparse_direction_NS_24const_host_device_scalarIT2_EEPKiS6_PKS3_S8_S4_PS3_21rocsparse_index_base_b.has_dyn_sized_stack, 0
	.set _ZN9rocsparseL19gebsrmvn_2xn_kernelILj128ELj15ELj16EdEEvi20rocsparse_direction_NS_24const_host_device_scalarIT2_EEPKiS6_PKS3_S8_S4_PS3_21rocsparse_index_base_b.has_recursion, 0
	.set _ZN9rocsparseL19gebsrmvn_2xn_kernelILj128ELj15ELj16EdEEvi20rocsparse_direction_NS_24const_host_device_scalarIT2_EEPKiS6_PKS3_S8_S4_PS3_21rocsparse_index_base_b.has_indirect_call, 0
	.section	.AMDGPU.csdata,"",@progbits
; Kernel info:
; codeLenInByte = 3668
; TotalNumSgprs: 20
; NumVgprs: 38
; ScratchSize: 0
; MemoryBound: 0
; FloatMode: 240
; IeeeMode: 1
; LDSByteSize: 0 bytes/workgroup (compile time only)
; SGPRBlocks: 2
; VGPRBlocks: 9
; NumSGPRsForWavesPerEU: 20
; NumVGPRsForWavesPerEU: 38
; Occupancy: 6
; WaveLimiterHint : 1
; COMPUTE_PGM_RSRC2:SCRATCH_EN: 0
; COMPUTE_PGM_RSRC2:USER_SGPR: 6
; COMPUTE_PGM_RSRC2:TRAP_HANDLER: 0
; COMPUTE_PGM_RSRC2:TGID_X_EN: 1
; COMPUTE_PGM_RSRC2:TGID_Y_EN: 0
; COMPUTE_PGM_RSRC2:TGID_Z_EN: 0
; COMPUTE_PGM_RSRC2:TIDIG_COMP_CNT: 0
	.section	.text._ZN9rocsparseL19gebsrmvn_2xn_kernelILj128ELj15ELj32EdEEvi20rocsparse_direction_NS_24const_host_device_scalarIT2_EEPKiS6_PKS3_S8_S4_PS3_21rocsparse_index_base_b,"axG",@progbits,_ZN9rocsparseL19gebsrmvn_2xn_kernelILj128ELj15ELj32EdEEvi20rocsparse_direction_NS_24const_host_device_scalarIT2_EEPKiS6_PKS3_S8_S4_PS3_21rocsparse_index_base_b,comdat
	.globl	_ZN9rocsparseL19gebsrmvn_2xn_kernelILj128ELj15ELj32EdEEvi20rocsparse_direction_NS_24const_host_device_scalarIT2_EEPKiS6_PKS3_S8_S4_PS3_21rocsparse_index_base_b ; -- Begin function _ZN9rocsparseL19gebsrmvn_2xn_kernelILj128ELj15ELj32EdEEvi20rocsparse_direction_NS_24const_host_device_scalarIT2_EEPKiS6_PKS3_S8_S4_PS3_21rocsparse_index_base_b
	.p2align	8
	.type	_ZN9rocsparseL19gebsrmvn_2xn_kernelILj128ELj15ELj32EdEEvi20rocsparse_direction_NS_24const_host_device_scalarIT2_EEPKiS6_PKS3_S8_S4_PS3_21rocsparse_index_base_b,@function
_ZN9rocsparseL19gebsrmvn_2xn_kernelILj128ELj15ELj32EdEEvi20rocsparse_direction_NS_24const_host_device_scalarIT2_EEPKiS6_PKS3_S8_S4_PS3_21rocsparse_index_base_b: ; @_ZN9rocsparseL19gebsrmvn_2xn_kernelILj128ELj15ELj32EdEEvi20rocsparse_direction_NS_24const_host_device_scalarIT2_EEPKiS6_PKS3_S8_S4_PS3_21rocsparse_index_base_b
; %bb.0:
	s_load_dwordx2 s[2:3], s[4:5], 0x40
	s_load_dwordx2 s[10:11], s[4:5], 0x8
	;; [unrolled: 1-line block ×3, first 2 shown]
	s_waitcnt lgkmcnt(0)
	s_bitcmp1_b32 s3, 0
	s_cselect_b64 s[12:13], -1, 0
	v_mov_b32_e32 v1, s10
	s_xor_b64 s[8:9], s[12:13], -1
	s_and_b64 vcc, exec, s[12:13]
	v_mov_b32_e32 v2, s11
	s_cbranch_vccnz .LBB144_2
; %bb.1:
	v_mov_b32_e32 v1, s10
	v_mov_b32_e32 v2, s11
	flat_load_dwordx2 v[1:2], v[1:2]
.LBB144_2:
	v_mov_b32_e32 v4, s1
	s_andn2_b64 vcc, exec, s[8:9]
	v_mov_b32_e32 v3, s0
	s_cbranch_vccnz .LBB144_4
; %bb.3:
	v_mov_b32_e32 v4, s1
	v_mov_b32_e32 v3, s0
	flat_load_dwordx2 v[3:4], v[3:4]
.LBB144_4:
	s_waitcnt vmcnt(0) lgkmcnt(0)
	v_cmp_neq_f64_e32 vcc, 0, v[1:2]
	v_cmp_neq_f64_e64 s[0:1], 1.0, v[3:4]
	s_or_b64 s[0:1], vcc, s[0:1]
	s_and_saveexec_b64 s[8:9], s[0:1]
	s_cbranch_execz .LBB144_23
; %bb.5:
	s_load_dwordx2 s[0:1], s[4:5], 0x0
	v_lshrrev_b32_e32 v5, 5, v0
	v_lshl_or_b32 v5, s6, 2, v5
	s_waitcnt lgkmcnt(0)
	v_cmp_gt_i32_e32 vcc, s0, v5
	s_and_b64 exec, exec, vcc
	s_cbranch_execz .LBB144_23
; %bb.6:
	s_load_dwordx8 s[8:15], s[4:5], 0x10
	v_ashrrev_i32_e32 v6, 31, v5
	v_lshlrev_b64 v[6:7], 2, v[5:6]
	v_and_b32_e32 v0, 31, v0
	s_cmp_lg_u32 s1, 0
	s_waitcnt lgkmcnt(0)
	v_mov_b32_e32 v8, s9
	v_add_co_u32_e32 v6, vcc, s8, v6
	v_addc_co_u32_e32 v7, vcc, v8, v7, vcc
	global_load_dwordx2 v[6:7], v[6:7], off
	s_waitcnt vmcnt(0)
	v_subrev_u32_e32 v6, s2, v6
	v_subrev_u32_e32 v18, s2, v7
	v_add_u32_e32 v6, v6, v0
	v_cmp_lt_i32_e64 s[0:1], v6, v18
	s_cbranch_scc0 .LBB144_12
; %bb.7:
	v_mov_b32_e32 v8, 0
	v_mov_b32_e32 v10, 0
	;; [unrolled: 1-line block ×4, first 2 shown]
	s_and_saveexec_b64 s[6:7], s[0:1]
	s_cbranch_execz .LBB144_11
; %bb.8:
	v_mad_u64_u32 v[12:13], s[8:9], v6, 30, 28
	v_mov_b32_e32 v8, 0
	v_mov_b32_e32 v10, 0
	;; [unrolled: 1-line block ×3, first 2 shown]
	s_mov_b64 s[8:9], 0
	v_mov_b32_e32 v7, s11
	v_mov_b32_e32 v15, 0
	;; [unrolled: 1-line block ×6, first 2 shown]
.LBB144_9:                              ; =>This Inner Loop Header: Depth=1
	v_ashrrev_i32_e32 v17, 31, v16
	v_lshlrev_b64 v[21:22], 2, v[16:17]
	v_subrev_u32_e32 v14, 28, v12
	v_lshlrev_b64 v[23:24], 3, v[14:15]
	v_add_co_u32_e32 v27, vcc, s10, v21
	v_addc_co_u32_e32 v28, vcc, v7, v22, vcc
	v_add_co_u32_e32 v31, vcc, s12, v23
	v_addc_co_u32_e32 v32, vcc, v19, v24, vcc
	global_load_dword v17, v[27:28], off
	global_load_dwordx4 v[21:24], v[31:32], off
	v_mov_b32_e32 v13, v15
	v_lshlrev_b64 v[25:26], 3, v[12:13]
	v_subrev_u32_e32 v14, 26, v12
	v_lshlrev_b64 v[13:14], 3, v[14:15]
	v_add_co_u32_e32 v33, vcc, s12, v25
	v_mov_b32_e32 v30, v15
	v_addc_co_u32_e32 v34, vcc, v19, v26, vcc
	v_add_co_u32_e32 v13, vcc, s12, v13
	v_addc_co_u32_e32 v14, vcc, v19, v14, vcc
	v_add_u32_e32 v16, 32, v16
	s_waitcnt vmcnt(1)
	v_subrev_u32_e32 v17, s2, v17
	v_mul_lo_u32 v29, v17, 15
	v_lshlrev_b64 v[25:26], 3, v[29:30]
	v_add_co_u32_e32 v30, vcc, s14, v25
	v_addc_co_u32_e32 v31, vcc, v20, v26, vcc
	global_load_dwordx4 v[25:28], v[33:34], off
	global_load_dwordx2 v[35:36], v[30:31], off
	s_waitcnt vmcnt(0)
	v_fma_f64 v[21:22], v[21:22], v[35:36], v[8:9]
	v_fma_f64 v[23:24], v[23:24], v[35:36], v[10:11]
	global_load_dwordx4 v[8:11], v[13:14], off
	v_add_u32_e32 v14, 1, v29
	v_lshlrev_b64 v[30:31], 3, v[14:15]
	v_subrev_u32_e32 v14, 24, v12
	v_add_co_u32_e32 v30, vcc, s14, v30
	v_addc_co_u32_e32 v31, vcc, v20, v31, vcc
	global_load_dwordx2 v[30:31], v[30:31], off
	v_lshlrev_b64 v[32:33], 3, v[14:15]
	v_add_u32_e32 v14, 2, v29
	s_waitcnt vmcnt(0)
	v_fma_f64 v[21:22], v[8:9], v[30:31], v[21:22]
	v_fma_f64 v[23:24], v[10:11], v[30:31], v[23:24]
	v_lshlrev_b64 v[8:9], 3, v[14:15]
	v_add_co_u32_e32 v30, vcc, s12, v32
	v_addc_co_u32_e32 v31, vcc, v19, v33, vcc
	v_add_co_u32_e32 v34, vcc, s14, v8
	v_addc_co_u32_e32 v35, vcc, v20, v9, vcc
	global_load_dwordx4 v[8:11], v[30:31], off
	global_load_dwordx2 v[36:37], v[34:35], off
	v_subrev_u32_e32 v14, 22, v12
	v_lshlrev_b64 v[32:33], 3, v[14:15]
	v_add_u32_e32 v14, 3, v29
	v_add_co_u32_e32 v30, vcc, s12, v32
	v_addc_co_u32_e32 v31, vcc, v19, v33, vcc
	s_waitcnt vmcnt(0)
	v_fma_f64 v[21:22], v[8:9], v[36:37], v[21:22]
	v_lshlrev_b64 v[8:9], 3, v[14:15]
	v_fma_f64 v[23:24], v[10:11], v[36:37], v[23:24]
	v_add_co_u32_e32 v34, vcc, s14, v8
	v_addc_co_u32_e32 v35, vcc, v20, v9, vcc
	global_load_dwordx4 v[8:11], v[30:31], off
	global_load_dwordx2 v[36:37], v[34:35], off
	v_subrev_u32_e32 v14, 20, v12
	v_lshlrev_b64 v[32:33], 3, v[14:15]
	v_add_u32_e32 v14, 4, v29
	v_add_co_u32_e32 v30, vcc, s12, v32
	v_addc_co_u32_e32 v31, vcc, v19, v33, vcc
	s_waitcnt vmcnt(0)
	v_fma_f64 v[21:22], v[8:9], v[36:37], v[21:22]
	v_lshlrev_b64 v[8:9], 3, v[14:15]
	v_fma_f64 v[23:24], v[10:11], v[36:37], v[23:24]
	;; [unrolled: 13-line block ×3, first 2 shown]
	v_add_co_u32_e32 v34, vcc, s14, v8
	v_addc_co_u32_e32 v35, vcc, v20, v9, vcc
	global_load_dwordx4 v[8:11], v[30:31], off
	global_load_dwordx2 v[36:37], v[34:35], off
	v_add_u32_e32 v14, -16, v12
	v_lshlrev_b64 v[32:33], 3, v[14:15]
	v_add_u32_e32 v14, 6, v29
	v_add_co_u32_e32 v30, vcc, s12, v32
	v_addc_co_u32_e32 v31, vcc, v19, v33, vcc
	s_waitcnt vmcnt(0)
	v_fma_f64 v[21:22], v[8:9], v[36:37], v[21:22]
	v_lshlrev_b64 v[8:9], 3, v[14:15]
	v_fma_f64 v[23:24], v[10:11], v[36:37], v[23:24]
	v_add_co_u32_e32 v34, vcc, s14, v8
	v_addc_co_u32_e32 v35, vcc, v20, v9, vcc
	global_load_dwordx4 v[8:11], v[30:31], off
	global_load_dwordx2 v[36:37], v[34:35], off
	v_add_u32_e32 v14, -14, v12
	v_lshlrev_b64 v[32:33], 3, v[14:15]
	v_add_u32_e32 v14, 7, v29
	v_add_co_u32_e32 v30, vcc, s12, v32
	v_addc_co_u32_e32 v31, vcc, v19, v33, vcc
	s_waitcnt vmcnt(0)
	v_fma_f64 v[21:22], v[8:9], v[36:37], v[21:22]
	v_lshlrev_b64 v[8:9], 3, v[14:15]
	v_fma_f64 v[23:24], v[10:11], v[36:37], v[23:24]
	;; [unrolled: 13-line block ×7, first 2 shown]
	v_add_co_u32_e32 v34, vcc, s14, v8
	v_addc_co_u32_e32 v35, vcc, v20, v9, vcc
	global_load_dwordx4 v[8:11], v[30:31], off
	global_load_dwordx2 v[36:37], v[34:35], off
	v_add_u32_e32 v14, -2, v12
	v_lshlrev_b64 v[32:33], 3, v[14:15]
	v_add_u32_e32 v14, 13, v29
	v_add_co_u32_e32 v13, vcc, s12, v32
	v_add_u32_e32 v12, 0x3c0, v12
	s_waitcnt vmcnt(0)
	v_fma_f64 v[21:22], v[8:9], v[36:37], v[21:22]
	v_lshlrev_b64 v[8:9], 3, v[14:15]
	v_addc_co_u32_e32 v14, vcc, v19, v33, vcc
	v_add_co_u32_e32 v30, vcc, s14, v8
	v_fma_f64 v[23:24], v[10:11], v[36:37], v[23:24]
	v_addc_co_u32_e32 v31, vcc, v20, v9, vcc
	global_load_dwordx4 v[8:11], v[13:14], off
	global_load_dwordx2 v[32:33], v[30:31], off
	v_add_u32_e32 v14, 14, v29
	v_lshlrev_b64 v[13:14], 3, v[14:15]
	v_add_co_u32_e32 v13, vcc, s14, v13
	v_addc_co_u32_e32 v14, vcc, v20, v14, vcc
	global_load_dwordx2 v[13:14], v[13:14], off
	v_cmp_ge_i32_e32 vcc, v16, v18
	s_or_b64 s[8:9], vcc, s[8:9]
	s_waitcnt vmcnt(1)
	v_fma_f64 v[8:9], v[8:9], v[32:33], v[21:22]
	v_fma_f64 v[10:11], v[10:11], v[32:33], v[23:24]
	s_waitcnt vmcnt(0)
	v_fma_f64 v[8:9], v[25:26], v[13:14], v[8:9]
	v_fma_f64 v[10:11], v[27:28], v[13:14], v[10:11]
	s_andn2_b64 exec, exec, s[8:9]
	s_cbranch_execnz .LBB144_9
; %bb.10:
	s_or_b64 exec, exec, s[8:9]
.LBB144_11:
	s_or_b64 exec, exec, s[6:7]
	s_cbranch_execz .LBB144_13
	s_branch .LBB144_18
.LBB144_12:
                                        ; implicit-def: $vgpr8_vgpr9
                                        ; implicit-def: $vgpr10_vgpr11
.LBB144_13:
	v_mov_b32_e32 v8, 0
	v_mov_b32_e32 v10, 0
	;; [unrolled: 1-line block ×4, first 2 shown]
	s_and_saveexec_b64 s[6:7], s[0:1]
	s_cbranch_execz .LBB144_17
; %bb.14:
	v_mad_u64_u32 v[12:13], s[0:1], v6, 30, 29
	v_mov_b32_e32 v8, 0
	v_mov_b32_e32 v10, 0
	;; [unrolled: 1-line block ×3, first 2 shown]
	s_mov_b64 s[0:1], 0
	v_mov_b32_e32 v16, s11
	v_mov_b32_e32 v15, 0
	;; [unrolled: 1-line block ×5, first 2 shown]
.LBB144_15:                             ; =>This Inner Loop Header: Depth=1
	v_ashrrev_i32_e32 v7, 31, v6
	v_lshlrev_b64 v[22:23], 2, v[6:7]
	v_subrev_u32_e32 v14, 29, v12
	v_add_co_u32_e32 v22, vcc, s10, v22
	v_addc_co_u32_e32 v23, vcc, v16, v23, vcc
	global_load_dword v7, v[22:23], off
	v_lshlrev_b64 v[24:25], 3, v[14:15]
	v_add_u32_e32 v20, -14, v12
	v_mov_b32_e32 v21, v15
	v_lshlrev_b64 v[20:21], 3, v[20:21]
	v_add_co_u32_e32 v24, vcc, s12, v24
	v_mov_b32_e32 v13, v15
	v_addc_co_u32_e32 v25, vcc, v17, v25, vcc
	v_lshlrev_b64 v[13:14], 3, v[12:13]
	v_add_co_u32_e32 v20, vcc, s12, v20
	v_addc_co_u32_e32 v21, vcc, v17, v21, vcc
	v_add_co_u32_e32 v26, vcc, s12, v13
	v_addc_co_u32_e32 v27, vcc, v17, v14, vcc
	v_mov_b32_e32 v14, v15
	v_add_u32_e32 v6, 32, v6
	s_waitcnt vmcnt(0)
	v_subrev_u32_e32 v7, s2, v7
	v_mul_lo_u32 v13, v7, 15
	v_lshlrev_b64 v[22:23], 3, v[13:14]
	v_add_u32_e32 v14, 1, v13
	v_add_co_u32_e32 v22, vcc, s14, v22
	v_addc_co_u32_e32 v23, vcc, v19, v23, vcc
	global_load_dwordx2 v[30:31], v[20:21], off
	global_load_dwordx2 v[32:33], v[22:23], off
	v_lshlrev_b64 v[28:29], 3, v[14:15]
	global_load_dwordx4 v[20:23], v[24:25], off
	v_add_co_u32_e32 v28, vcc, s14, v28
	v_addc_co_u32_e32 v29, vcc, v19, v29, vcc
	v_add_u32_e32 v14, -13, v12
	s_waitcnt vmcnt(1)
	v_fma_f64 v[10:11], v[30:31], v[32:33], v[10:11]
	s_waitcnt vmcnt(0)
	v_fma_f64 v[7:8], v[20:21], v[32:33], v[8:9]
	global_load_dwordx2 v[20:21], v[28:29], off
	s_waitcnt vmcnt(0)
	v_fma_f64 v[7:8], v[22:23], v[20:21], v[7:8]
	v_lshlrev_b64 v[22:23], 3, v[14:15]
	v_subrev_u32_e32 v14, 27, v12
	v_add_co_u32_e32 v22, vcc, s12, v22
	v_lshlrev_b64 v[24:25], 3, v[14:15]
	v_addc_co_u32_e32 v23, vcc, v17, v23, vcc
	v_add_co_u32_e32 v24, vcc, s12, v24
	v_addc_co_u32_e32 v25, vcc, v17, v25, vcc
	global_load_dwordx2 v[28:29], v[22:23], off
	global_load_dwordx2 v[30:31], v[24:25], off
	v_add_u32_e32 v14, 2, v13
	s_waitcnt vmcnt(1)
	v_fma_f64 v[9:10], v[28:29], v[20:21], v[10:11]
	v_lshlrev_b64 v[20:21], 3, v[14:15]
	v_add_u32_e32 v14, -12, v12
	v_add_co_u32_e32 v20, vcc, s14, v20
	v_addc_co_u32_e32 v21, vcc, v19, v21, vcc
	global_load_dwordx2 v[20:21], v[20:21], off
	v_lshlrev_b64 v[22:23], 3, v[14:15]
	v_subrev_u32_e32 v14, 26, v12
	v_add_co_u32_e32 v22, vcc, s12, v22
	v_lshlrev_b64 v[24:25], 3, v[14:15]
	v_addc_co_u32_e32 v23, vcc, v17, v23, vcc
	v_add_co_u32_e32 v24, vcc, s12, v24
	v_addc_co_u32_e32 v25, vcc, v17, v25, vcc
	v_add_u32_e32 v14, 3, v13
	s_waitcnt vmcnt(0)
	v_fma_f64 v[7:8], v[30:31], v[20:21], v[7:8]
	global_load_dwordx2 v[28:29], v[22:23], off
	global_load_dwordx2 v[30:31], v[24:25], off
	s_waitcnt vmcnt(1)
	v_fma_f64 v[9:10], v[28:29], v[20:21], v[9:10]
	v_lshlrev_b64 v[20:21], 3, v[14:15]
	v_add_u32_e32 v14, -11, v12
	v_add_co_u32_e32 v20, vcc, s14, v20
	v_addc_co_u32_e32 v21, vcc, v19, v21, vcc
	global_load_dwordx2 v[20:21], v[20:21], off
	v_lshlrev_b64 v[22:23], 3, v[14:15]
	v_subrev_u32_e32 v14, 25, v12
	v_add_co_u32_e32 v22, vcc, s12, v22
	v_lshlrev_b64 v[24:25], 3, v[14:15]
	v_addc_co_u32_e32 v23, vcc, v17, v23, vcc
	v_add_co_u32_e32 v24, vcc, s12, v24
	v_addc_co_u32_e32 v25, vcc, v17, v25, vcc
	v_add_u32_e32 v14, 4, v13
	s_waitcnt vmcnt(0)
	v_fma_f64 v[7:8], v[30:31], v[20:21], v[7:8]
	global_load_dwordx2 v[28:29], v[22:23], off
	global_load_dwordx2 v[30:31], v[24:25], off
	;; [unrolled: 19-line block ×10, first 2 shown]
	s_waitcnt vmcnt(1)
	v_fma_f64 v[9:10], v[28:29], v[20:21], v[9:10]
	v_lshlrev_b64 v[20:21], 3, v[14:15]
	v_add_u32_e32 v14, -2, v12
	v_add_co_u32_e32 v20, vcc, s14, v20
	v_addc_co_u32_e32 v21, vcc, v19, v21, vcc
	global_load_dwordx2 v[20:21], v[20:21], off
	v_lshlrev_b64 v[22:23], 3, v[14:15]
	v_add_u32_e32 v14, -16, v12
	v_add_co_u32_e32 v22, vcc, s12, v22
	v_lshlrev_b64 v[24:25], 3, v[14:15]
	v_addc_co_u32_e32 v23, vcc, v17, v23, vcc
	v_add_co_u32_e32 v24, vcc, s12, v24
	v_addc_co_u32_e32 v25, vcc, v17, v25, vcc
	v_add_u32_e32 v14, 13, v13
	s_waitcnt vmcnt(0)
	v_fma_f64 v[7:8], v[30:31], v[20:21], v[7:8]
	global_load_dwordx2 v[28:29], v[22:23], off
	global_load_dwordx2 v[30:31], v[24:25], off
	s_waitcnt vmcnt(1)
	v_fma_f64 v[9:10], v[28:29], v[20:21], v[9:10]
	v_lshlrev_b64 v[20:21], 3, v[14:15]
	v_add_u32_e32 v14, -1, v12
	v_add_co_u32_e32 v20, vcc, s14, v20
	v_addc_co_u32_e32 v21, vcc, v19, v21, vcc
	global_load_dwordx2 v[20:21], v[20:21], off
	v_lshlrev_b64 v[22:23], 3, v[14:15]
	v_add_u32_e32 v14, -15, v12
	v_lshlrev_b64 v[24:25], 3, v[14:15]
	v_add_co_u32_e32 v22, vcc, s12, v22
	v_add_u32_e32 v14, 14, v13
	v_addc_co_u32_e32 v23, vcc, v17, v23, vcc
	v_add_co_u32_e32 v24, vcc, s12, v24
	v_lshlrev_b64 v[13:14], 3, v[14:15]
	v_addc_co_u32_e32 v25, vcc, v17, v25, vcc
	v_add_co_u32_e32 v13, vcc, s14, v13
	v_addc_co_u32_e32 v14, vcc, v19, v14, vcc
	v_cmp_ge_i32_e32 vcc, v6, v18
	s_or_b64 s[0:1], vcc, s[0:1]
	v_add_u32_e32 v12, 0x3c0, v12
	s_waitcnt vmcnt(0)
	v_fma_f64 v[7:8], v[30:31], v[20:21], v[7:8]
	global_load_dwordx2 v[28:29], v[22:23], off
	global_load_dwordx2 v[30:31], v[26:27], off
	;; [unrolled: 1-line block ×4, first 2 shown]
	s_waitcnt vmcnt(3)
	v_fma_f64 v[10:11], v[28:29], v[20:21], v[9:10]
	s_waitcnt vmcnt(0)
	v_fma_f64 v[8:9], v[32:33], v[34:35], v[7:8]
	v_fma_f64 v[10:11], v[30:31], v[34:35], v[10:11]
	s_andn2_b64 exec, exec, s[0:1]
	s_cbranch_execnz .LBB144_15
; %bb.16:
	s_or_b64 exec, exec, s[0:1]
.LBB144_17:
	s_or_b64 exec, exec, s[6:7]
.LBB144_18:
	v_mov_b32_dpp v6, v8 row_shr:1 row_mask:0xf bank_mask:0xf
	v_mov_b32_dpp v7, v9 row_shr:1 row_mask:0xf bank_mask:0xf
	v_add_f64 v[6:7], v[8:9], v[6:7]
	v_mov_b32_dpp v8, v10 row_shr:1 row_mask:0xf bank_mask:0xf
	v_mov_b32_dpp v9, v11 row_shr:1 row_mask:0xf bank_mask:0xf
	v_add_f64 v[8:9], v[10:11], v[8:9]
	v_cmp_eq_u32_e32 vcc, 31, v0
	v_mov_b32_dpp v10, v6 row_shr:2 row_mask:0xf bank_mask:0xf
	v_mov_b32_dpp v11, v7 row_shr:2 row_mask:0xf bank_mask:0xf
	v_add_f64 v[6:7], v[6:7], v[10:11]
	v_mov_b32_dpp v12, v8 row_shr:2 row_mask:0xf bank_mask:0xf
	v_mov_b32_dpp v13, v9 row_shr:2 row_mask:0xf bank_mask:0xf
	v_add_f64 v[8:9], v[8:9], v[12:13]
	;; [unrolled: 3-line block ×6, first 2 shown]
	v_mov_b32_dpp v8, v6 row_bcast:15 row_mask:0xa bank_mask:0xf
	v_mov_b32_dpp v9, v7 row_bcast:15 row_mask:0xa bank_mask:0xf
	;; [unrolled: 1-line block ×4, first 2 shown]
	s_and_b64 exec, exec, vcc
	s_cbranch_execz .LBB144_23
; %bb.19:
	v_add_f64 v[8:9], v[6:7], v[8:9]
	v_add_f64 v[6:7], v[10:11], v[12:13]
	v_cmp_eq_f64_e32 vcc, 0, v[3:4]
	s_load_dwordx2 s[0:1], s[4:5], 0x38
	s_and_saveexec_b64 s[2:3], vcc
	s_xor_b64 s[2:3], exec, s[2:3]
	s_cbranch_execz .LBB144_21
; %bb.20:
	v_mul_f64 v[3:4], v[1:2], v[8:9]
	v_lshlrev_b32_e32 v0, 1, v5
	v_mul_f64 v[5:6], v[1:2], v[6:7]
	v_ashrrev_i32_e32 v1, 31, v0
	v_lshlrev_b64 v[0:1], 3, v[0:1]
	s_waitcnt lgkmcnt(0)
	v_mov_b32_e32 v2, s1
	v_add_co_u32_e32 v0, vcc, s0, v0
	v_addc_co_u32_e32 v1, vcc, v2, v1, vcc
	global_store_dwordx4 v[0:1], v[3:6], off
                                        ; implicit-def: $vgpr5
                                        ; implicit-def: $vgpr1_vgpr2
                                        ; implicit-def: $vgpr8_vgpr9
                                        ; implicit-def: $vgpr3_vgpr4
                                        ; implicit-def: $vgpr6_vgpr7
.LBB144_21:
	s_andn2_saveexec_b64 s[2:3], s[2:3]
	s_cbranch_execz .LBB144_23
; %bb.22:
	v_lshlrev_b32_e32 v10, 1, v5
	v_ashrrev_i32_e32 v11, 31, v10
	v_lshlrev_b64 v[10:11], 3, v[10:11]
	s_waitcnt lgkmcnt(0)
	v_mov_b32_e32 v0, s1
	v_add_co_u32_e32 v14, vcc, s0, v10
	v_addc_co_u32_e32 v15, vcc, v0, v11, vcc
	global_load_dwordx4 v[10:13], v[14:15], off
	v_mul_f64 v[8:9], v[1:2], v[8:9]
	v_mul_f64 v[5:6], v[1:2], v[6:7]
	s_waitcnt vmcnt(0)
	v_fma_f64 v[0:1], v[3:4], v[10:11], v[8:9]
	v_fma_f64 v[2:3], v[3:4], v[12:13], v[5:6]
	global_store_dwordx4 v[14:15], v[0:3], off
.LBB144_23:
	s_endpgm
	.section	.rodata,"a",@progbits
	.p2align	6, 0x0
	.amdhsa_kernel _ZN9rocsparseL19gebsrmvn_2xn_kernelILj128ELj15ELj32EdEEvi20rocsparse_direction_NS_24const_host_device_scalarIT2_EEPKiS6_PKS3_S8_S4_PS3_21rocsparse_index_base_b
		.amdhsa_group_segment_fixed_size 0
		.amdhsa_private_segment_fixed_size 0
		.amdhsa_kernarg_size 72
		.amdhsa_user_sgpr_count 6
		.amdhsa_user_sgpr_private_segment_buffer 1
		.amdhsa_user_sgpr_dispatch_ptr 0
		.amdhsa_user_sgpr_queue_ptr 0
		.amdhsa_user_sgpr_kernarg_segment_ptr 1
		.amdhsa_user_sgpr_dispatch_id 0
		.amdhsa_user_sgpr_flat_scratch_init 0
		.amdhsa_user_sgpr_private_segment_size 0
		.amdhsa_uses_dynamic_stack 0
		.amdhsa_system_sgpr_private_segment_wavefront_offset 0
		.amdhsa_system_sgpr_workgroup_id_x 1
		.amdhsa_system_sgpr_workgroup_id_y 0
		.amdhsa_system_sgpr_workgroup_id_z 0
		.amdhsa_system_sgpr_workgroup_info 0
		.amdhsa_system_vgpr_workitem_id 0
		.amdhsa_next_free_vgpr 38
		.amdhsa_next_free_sgpr 16
		.amdhsa_reserve_vcc 1
		.amdhsa_reserve_flat_scratch 0
		.amdhsa_float_round_mode_32 0
		.amdhsa_float_round_mode_16_64 0
		.amdhsa_float_denorm_mode_32 3
		.amdhsa_float_denorm_mode_16_64 3
		.amdhsa_dx10_clamp 1
		.amdhsa_ieee_mode 1
		.amdhsa_fp16_overflow 0
		.amdhsa_exception_fp_ieee_invalid_op 0
		.amdhsa_exception_fp_denorm_src 0
		.amdhsa_exception_fp_ieee_div_zero 0
		.amdhsa_exception_fp_ieee_overflow 0
		.amdhsa_exception_fp_ieee_underflow 0
		.amdhsa_exception_fp_ieee_inexact 0
		.amdhsa_exception_int_div_zero 0
	.end_amdhsa_kernel
	.section	.text._ZN9rocsparseL19gebsrmvn_2xn_kernelILj128ELj15ELj32EdEEvi20rocsparse_direction_NS_24const_host_device_scalarIT2_EEPKiS6_PKS3_S8_S4_PS3_21rocsparse_index_base_b,"axG",@progbits,_ZN9rocsparseL19gebsrmvn_2xn_kernelILj128ELj15ELj32EdEEvi20rocsparse_direction_NS_24const_host_device_scalarIT2_EEPKiS6_PKS3_S8_S4_PS3_21rocsparse_index_base_b,comdat
.Lfunc_end144:
	.size	_ZN9rocsparseL19gebsrmvn_2xn_kernelILj128ELj15ELj32EdEEvi20rocsparse_direction_NS_24const_host_device_scalarIT2_EEPKiS6_PKS3_S8_S4_PS3_21rocsparse_index_base_b, .Lfunc_end144-_ZN9rocsparseL19gebsrmvn_2xn_kernelILj128ELj15ELj32EdEEvi20rocsparse_direction_NS_24const_host_device_scalarIT2_EEPKiS6_PKS3_S8_S4_PS3_21rocsparse_index_base_b
                                        ; -- End function
	.set _ZN9rocsparseL19gebsrmvn_2xn_kernelILj128ELj15ELj32EdEEvi20rocsparse_direction_NS_24const_host_device_scalarIT2_EEPKiS6_PKS3_S8_S4_PS3_21rocsparse_index_base_b.num_vgpr, 38
	.set _ZN9rocsparseL19gebsrmvn_2xn_kernelILj128ELj15ELj32EdEEvi20rocsparse_direction_NS_24const_host_device_scalarIT2_EEPKiS6_PKS3_S8_S4_PS3_21rocsparse_index_base_b.num_agpr, 0
	.set _ZN9rocsparseL19gebsrmvn_2xn_kernelILj128ELj15ELj32EdEEvi20rocsparse_direction_NS_24const_host_device_scalarIT2_EEPKiS6_PKS3_S8_S4_PS3_21rocsparse_index_base_b.numbered_sgpr, 16
	.set _ZN9rocsparseL19gebsrmvn_2xn_kernelILj128ELj15ELj32EdEEvi20rocsparse_direction_NS_24const_host_device_scalarIT2_EEPKiS6_PKS3_S8_S4_PS3_21rocsparse_index_base_b.num_named_barrier, 0
	.set _ZN9rocsparseL19gebsrmvn_2xn_kernelILj128ELj15ELj32EdEEvi20rocsparse_direction_NS_24const_host_device_scalarIT2_EEPKiS6_PKS3_S8_S4_PS3_21rocsparse_index_base_b.private_seg_size, 0
	.set _ZN9rocsparseL19gebsrmvn_2xn_kernelILj128ELj15ELj32EdEEvi20rocsparse_direction_NS_24const_host_device_scalarIT2_EEPKiS6_PKS3_S8_S4_PS3_21rocsparse_index_base_b.uses_vcc, 1
	.set _ZN9rocsparseL19gebsrmvn_2xn_kernelILj128ELj15ELj32EdEEvi20rocsparse_direction_NS_24const_host_device_scalarIT2_EEPKiS6_PKS3_S8_S4_PS3_21rocsparse_index_base_b.uses_flat_scratch, 0
	.set _ZN9rocsparseL19gebsrmvn_2xn_kernelILj128ELj15ELj32EdEEvi20rocsparse_direction_NS_24const_host_device_scalarIT2_EEPKiS6_PKS3_S8_S4_PS3_21rocsparse_index_base_b.has_dyn_sized_stack, 0
	.set _ZN9rocsparseL19gebsrmvn_2xn_kernelILj128ELj15ELj32EdEEvi20rocsparse_direction_NS_24const_host_device_scalarIT2_EEPKiS6_PKS3_S8_S4_PS3_21rocsparse_index_base_b.has_recursion, 0
	.set _ZN9rocsparseL19gebsrmvn_2xn_kernelILj128ELj15ELj32EdEEvi20rocsparse_direction_NS_24const_host_device_scalarIT2_EEPKiS6_PKS3_S8_S4_PS3_21rocsparse_index_base_b.has_indirect_call, 0
	.section	.AMDGPU.csdata,"",@progbits
; Kernel info:
; codeLenInByte = 3716
; TotalNumSgprs: 20
; NumVgprs: 38
; ScratchSize: 0
; MemoryBound: 0
; FloatMode: 240
; IeeeMode: 1
; LDSByteSize: 0 bytes/workgroup (compile time only)
; SGPRBlocks: 2
; VGPRBlocks: 9
; NumSGPRsForWavesPerEU: 20
; NumVGPRsForWavesPerEU: 38
; Occupancy: 6
; WaveLimiterHint : 1
; COMPUTE_PGM_RSRC2:SCRATCH_EN: 0
; COMPUTE_PGM_RSRC2:USER_SGPR: 6
; COMPUTE_PGM_RSRC2:TRAP_HANDLER: 0
; COMPUTE_PGM_RSRC2:TGID_X_EN: 1
; COMPUTE_PGM_RSRC2:TGID_Y_EN: 0
; COMPUTE_PGM_RSRC2:TGID_Z_EN: 0
; COMPUTE_PGM_RSRC2:TIDIG_COMP_CNT: 0
	.section	.text._ZN9rocsparseL19gebsrmvn_2xn_kernelILj128ELj15ELj64EdEEvi20rocsparse_direction_NS_24const_host_device_scalarIT2_EEPKiS6_PKS3_S8_S4_PS3_21rocsparse_index_base_b,"axG",@progbits,_ZN9rocsparseL19gebsrmvn_2xn_kernelILj128ELj15ELj64EdEEvi20rocsparse_direction_NS_24const_host_device_scalarIT2_EEPKiS6_PKS3_S8_S4_PS3_21rocsparse_index_base_b,comdat
	.globl	_ZN9rocsparseL19gebsrmvn_2xn_kernelILj128ELj15ELj64EdEEvi20rocsparse_direction_NS_24const_host_device_scalarIT2_EEPKiS6_PKS3_S8_S4_PS3_21rocsparse_index_base_b ; -- Begin function _ZN9rocsparseL19gebsrmvn_2xn_kernelILj128ELj15ELj64EdEEvi20rocsparse_direction_NS_24const_host_device_scalarIT2_EEPKiS6_PKS3_S8_S4_PS3_21rocsparse_index_base_b
	.p2align	8
	.type	_ZN9rocsparseL19gebsrmvn_2xn_kernelILj128ELj15ELj64EdEEvi20rocsparse_direction_NS_24const_host_device_scalarIT2_EEPKiS6_PKS3_S8_S4_PS3_21rocsparse_index_base_b,@function
_ZN9rocsparseL19gebsrmvn_2xn_kernelILj128ELj15ELj64EdEEvi20rocsparse_direction_NS_24const_host_device_scalarIT2_EEPKiS6_PKS3_S8_S4_PS3_21rocsparse_index_base_b: ; @_ZN9rocsparseL19gebsrmvn_2xn_kernelILj128ELj15ELj64EdEEvi20rocsparse_direction_NS_24const_host_device_scalarIT2_EEPKiS6_PKS3_S8_S4_PS3_21rocsparse_index_base_b
; %bb.0:
	s_load_dwordx2 s[2:3], s[4:5], 0x40
	s_load_dwordx2 s[10:11], s[4:5], 0x8
	;; [unrolled: 1-line block ×3, first 2 shown]
	s_waitcnt lgkmcnt(0)
	s_bitcmp1_b32 s3, 0
	s_cselect_b64 s[12:13], -1, 0
	v_mov_b32_e32 v1, s10
	s_xor_b64 s[8:9], s[12:13], -1
	s_and_b64 vcc, exec, s[12:13]
	v_mov_b32_e32 v2, s11
	s_cbranch_vccnz .LBB145_2
; %bb.1:
	v_mov_b32_e32 v1, s10
	v_mov_b32_e32 v2, s11
	flat_load_dwordx2 v[1:2], v[1:2]
.LBB145_2:
	v_mov_b32_e32 v4, s1
	s_andn2_b64 vcc, exec, s[8:9]
	v_mov_b32_e32 v3, s0
	s_cbranch_vccnz .LBB145_4
; %bb.3:
	v_mov_b32_e32 v4, s1
	v_mov_b32_e32 v3, s0
	flat_load_dwordx2 v[3:4], v[3:4]
.LBB145_4:
	s_waitcnt vmcnt(0) lgkmcnt(0)
	v_cmp_neq_f64_e32 vcc, 0, v[1:2]
	v_cmp_neq_f64_e64 s[0:1], 1.0, v[3:4]
	s_or_b64 s[0:1], vcc, s[0:1]
	s_and_saveexec_b64 s[8:9], s[0:1]
	s_cbranch_execz .LBB145_23
; %bb.5:
	s_load_dwordx2 s[0:1], s[4:5], 0x0
	v_lshrrev_b32_e32 v5, 6, v0
	v_lshl_or_b32 v5, s6, 1, v5
	s_waitcnt lgkmcnt(0)
	v_cmp_gt_i32_e32 vcc, s0, v5
	s_and_b64 exec, exec, vcc
	s_cbranch_execz .LBB145_23
; %bb.6:
	s_load_dwordx8 s[8:15], s[4:5], 0x10
	v_ashrrev_i32_e32 v6, 31, v5
	v_lshlrev_b64 v[6:7], 2, v[5:6]
	v_and_b32_e32 v0, 63, v0
	s_cmp_lg_u32 s1, 0
	s_waitcnt lgkmcnt(0)
	v_mov_b32_e32 v8, s9
	v_add_co_u32_e32 v6, vcc, s8, v6
	v_addc_co_u32_e32 v7, vcc, v8, v7, vcc
	global_load_dwordx2 v[6:7], v[6:7], off
	s_waitcnt vmcnt(0)
	v_subrev_u32_e32 v6, s2, v6
	v_subrev_u32_e32 v18, s2, v7
	v_add_u32_e32 v6, v6, v0
	v_cmp_lt_i32_e64 s[0:1], v6, v18
	s_cbranch_scc0 .LBB145_12
; %bb.7:
	v_mov_b32_e32 v8, 0
	v_mov_b32_e32 v10, 0
	;; [unrolled: 1-line block ×4, first 2 shown]
	s_and_saveexec_b64 s[6:7], s[0:1]
	s_cbranch_execz .LBB145_11
; %bb.8:
	v_mad_u64_u32 v[12:13], s[8:9], v6, 30, 28
	v_mov_b32_e32 v8, 0
	v_mov_b32_e32 v10, 0
	;; [unrolled: 1-line block ×3, first 2 shown]
	s_mov_b64 s[8:9], 0
	v_mov_b32_e32 v7, s11
	v_mov_b32_e32 v15, 0
	;; [unrolled: 1-line block ×6, first 2 shown]
.LBB145_9:                              ; =>This Inner Loop Header: Depth=1
	v_ashrrev_i32_e32 v17, 31, v16
	v_lshlrev_b64 v[21:22], 2, v[16:17]
	v_subrev_u32_e32 v14, 28, v12
	v_lshlrev_b64 v[23:24], 3, v[14:15]
	v_add_co_u32_e32 v27, vcc, s10, v21
	v_addc_co_u32_e32 v28, vcc, v7, v22, vcc
	v_add_co_u32_e32 v31, vcc, s12, v23
	v_addc_co_u32_e32 v32, vcc, v19, v24, vcc
	global_load_dword v17, v[27:28], off
	global_load_dwordx4 v[21:24], v[31:32], off
	v_mov_b32_e32 v13, v15
	v_lshlrev_b64 v[25:26], 3, v[12:13]
	v_subrev_u32_e32 v14, 26, v12
	v_lshlrev_b64 v[13:14], 3, v[14:15]
	v_add_co_u32_e32 v33, vcc, s12, v25
	v_mov_b32_e32 v30, v15
	v_addc_co_u32_e32 v34, vcc, v19, v26, vcc
	v_add_co_u32_e32 v13, vcc, s12, v13
	v_addc_co_u32_e32 v14, vcc, v19, v14, vcc
	v_add_u32_e32 v16, 64, v16
	s_waitcnt vmcnt(1)
	v_subrev_u32_e32 v17, s2, v17
	v_mul_lo_u32 v29, v17, 15
	v_lshlrev_b64 v[25:26], 3, v[29:30]
	v_add_co_u32_e32 v30, vcc, s14, v25
	v_addc_co_u32_e32 v31, vcc, v20, v26, vcc
	global_load_dwordx4 v[25:28], v[33:34], off
	global_load_dwordx2 v[35:36], v[30:31], off
	s_waitcnt vmcnt(0)
	v_fma_f64 v[21:22], v[21:22], v[35:36], v[8:9]
	v_fma_f64 v[23:24], v[23:24], v[35:36], v[10:11]
	global_load_dwordx4 v[8:11], v[13:14], off
	v_add_u32_e32 v14, 1, v29
	v_lshlrev_b64 v[30:31], 3, v[14:15]
	v_subrev_u32_e32 v14, 24, v12
	v_add_co_u32_e32 v30, vcc, s14, v30
	v_addc_co_u32_e32 v31, vcc, v20, v31, vcc
	global_load_dwordx2 v[30:31], v[30:31], off
	v_lshlrev_b64 v[32:33], 3, v[14:15]
	v_add_u32_e32 v14, 2, v29
	s_waitcnt vmcnt(0)
	v_fma_f64 v[21:22], v[8:9], v[30:31], v[21:22]
	v_fma_f64 v[23:24], v[10:11], v[30:31], v[23:24]
	v_lshlrev_b64 v[8:9], 3, v[14:15]
	v_add_co_u32_e32 v30, vcc, s12, v32
	v_addc_co_u32_e32 v31, vcc, v19, v33, vcc
	v_add_co_u32_e32 v34, vcc, s14, v8
	v_addc_co_u32_e32 v35, vcc, v20, v9, vcc
	global_load_dwordx4 v[8:11], v[30:31], off
	global_load_dwordx2 v[36:37], v[34:35], off
	v_subrev_u32_e32 v14, 22, v12
	v_lshlrev_b64 v[32:33], 3, v[14:15]
	v_add_u32_e32 v14, 3, v29
	v_add_co_u32_e32 v30, vcc, s12, v32
	v_addc_co_u32_e32 v31, vcc, v19, v33, vcc
	s_waitcnt vmcnt(0)
	v_fma_f64 v[21:22], v[8:9], v[36:37], v[21:22]
	v_lshlrev_b64 v[8:9], 3, v[14:15]
	v_fma_f64 v[23:24], v[10:11], v[36:37], v[23:24]
	v_add_co_u32_e32 v34, vcc, s14, v8
	v_addc_co_u32_e32 v35, vcc, v20, v9, vcc
	global_load_dwordx4 v[8:11], v[30:31], off
	global_load_dwordx2 v[36:37], v[34:35], off
	v_subrev_u32_e32 v14, 20, v12
	v_lshlrev_b64 v[32:33], 3, v[14:15]
	v_add_u32_e32 v14, 4, v29
	v_add_co_u32_e32 v30, vcc, s12, v32
	v_addc_co_u32_e32 v31, vcc, v19, v33, vcc
	s_waitcnt vmcnt(0)
	v_fma_f64 v[21:22], v[8:9], v[36:37], v[21:22]
	v_lshlrev_b64 v[8:9], 3, v[14:15]
	v_fma_f64 v[23:24], v[10:11], v[36:37], v[23:24]
	;; [unrolled: 13-line block ×3, first 2 shown]
	v_add_co_u32_e32 v34, vcc, s14, v8
	v_addc_co_u32_e32 v35, vcc, v20, v9, vcc
	global_load_dwordx4 v[8:11], v[30:31], off
	global_load_dwordx2 v[36:37], v[34:35], off
	v_add_u32_e32 v14, -16, v12
	v_lshlrev_b64 v[32:33], 3, v[14:15]
	v_add_u32_e32 v14, 6, v29
	v_add_co_u32_e32 v30, vcc, s12, v32
	v_addc_co_u32_e32 v31, vcc, v19, v33, vcc
	s_waitcnt vmcnt(0)
	v_fma_f64 v[21:22], v[8:9], v[36:37], v[21:22]
	v_lshlrev_b64 v[8:9], 3, v[14:15]
	v_fma_f64 v[23:24], v[10:11], v[36:37], v[23:24]
	v_add_co_u32_e32 v34, vcc, s14, v8
	v_addc_co_u32_e32 v35, vcc, v20, v9, vcc
	global_load_dwordx4 v[8:11], v[30:31], off
	global_load_dwordx2 v[36:37], v[34:35], off
	v_add_u32_e32 v14, -14, v12
	v_lshlrev_b64 v[32:33], 3, v[14:15]
	v_add_u32_e32 v14, 7, v29
	v_add_co_u32_e32 v30, vcc, s12, v32
	v_addc_co_u32_e32 v31, vcc, v19, v33, vcc
	s_waitcnt vmcnt(0)
	v_fma_f64 v[21:22], v[8:9], v[36:37], v[21:22]
	v_lshlrev_b64 v[8:9], 3, v[14:15]
	v_fma_f64 v[23:24], v[10:11], v[36:37], v[23:24]
	v_add_co_u32_e32 v34, vcc, s14, v8
	v_addc_co_u32_e32 v35, vcc, v20, v9, vcc
	global_load_dwordx4 v[8:11], v[30:31], off
	global_load_dwordx2 v[36:37], v[34:35], off
	v_add_u32_e32 v14, -12, v12
	v_lshlrev_b64 v[32:33], 3, v[14:15]
	v_add_u32_e32 v14, 8, v29
	v_add_co_u32_e32 v30, vcc, s12, v32
	v_addc_co_u32_e32 v31, vcc, v19, v33, vcc
	s_waitcnt vmcnt(0)
	v_fma_f64 v[21:22], v[8:9], v[36:37], v[21:22]
	v_lshlrev_b64 v[8:9], 3, v[14:15]
	v_fma_f64 v[23:24], v[10:11], v[36:37], v[23:24]
	v_add_co_u32_e32 v34, vcc, s14, v8
	v_addc_co_u32_e32 v35, vcc, v20, v9, vcc
	global_load_dwordx4 v[8:11], v[30:31], off
	global_load_dwordx2 v[36:37], v[34:35], off
	v_add_u32_e32 v14, -10, v12
	v_lshlrev_b64 v[32:33], 3, v[14:15]
	v_add_u32_e32 v14, 9, v29
	v_add_co_u32_e32 v30, vcc, s12, v32
	v_addc_co_u32_e32 v31, vcc, v19, v33, vcc
	s_waitcnt vmcnt(0)
	v_fma_f64 v[21:22], v[8:9], v[36:37], v[21:22]
	v_lshlrev_b64 v[8:9], 3, v[14:15]
	v_fma_f64 v[23:24], v[10:11], v[36:37], v[23:24]
	v_add_co_u32_e32 v34, vcc, s14, v8
	v_addc_co_u32_e32 v35, vcc, v20, v9, vcc
	global_load_dwordx4 v[8:11], v[30:31], off
	global_load_dwordx2 v[36:37], v[34:35], off
	v_add_u32_e32 v14, -8, v12
	v_lshlrev_b64 v[32:33], 3, v[14:15]
	v_add_u32_e32 v14, 10, v29
	v_add_co_u32_e32 v30, vcc, s12, v32
	v_addc_co_u32_e32 v31, vcc, v19, v33, vcc
	s_waitcnt vmcnt(0)
	v_fma_f64 v[21:22], v[8:9], v[36:37], v[21:22]
	v_lshlrev_b64 v[8:9], 3, v[14:15]
	v_fma_f64 v[23:24], v[10:11], v[36:37], v[23:24]
	v_add_co_u32_e32 v34, vcc, s14, v8
	v_addc_co_u32_e32 v35, vcc, v20, v9, vcc
	global_load_dwordx4 v[8:11], v[30:31], off
	global_load_dwordx2 v[36:37], v[34:35], off
	v_add_u32_e32 v14, -6, v12
	v_lshlrev_b64 v[32:33], 3, v[14:15]
	v_add_u32_e32 v14, 11, v29
	v_add_co_u32_e32 v30, vcc, s12, v32
	v_addc_co_u32_e32 v31, vcc, v19, v33, vcc
	s_waitcnt vmcnt(0)
	v_fma_f64 v[21:22], v[8:9], v[36:37], v[21:22]
	v_lshlrev_b64 v[8:9], 3, v[14:15]
	v_fma_f64 v[23:24], v[10:11], v[36:37], v[23:24]
	v_add_co_u32_e32 v34, vcc, s14, v8
	v_addc_co_u32_e32 v35, vcc, v20, v9, vcc
	global_load_dwordx4 v[8:11], v[30:31], off
	global_load_dwordx2 v[36:37], v[34:35], off
	v_add_u32_e32 v14, -4, v12
	v_lshlrev_b64 v[32:33], 3, v[14:15]
	v_add_u32_e32 v14, 12, v29
	v_add_co_u32_e32 v30, vcc, s12, v32
	v_addc_co_u32_e32 v31, vcc, v19, v33, vcc
	s_waitcnt vmcnt(0)
	v_fma_f64 v[21:22], v[8:9], v[36:37], v[21:22]
	v_lshlrev_b64 v[8:9], 3, v[14:15]
	v_fma_f64 v[23:24], v[10:11], v[36:37], v[23:24]
	v_add_co_u32_e32 v34, vcc, s14, v8
	v_addc_co_u32_e32 v35, vcc, v20, v9, vcc
	global_load_dwordx4 v[8:11], v[30:31], off
	global_load_dwordx2 v[36:37], v[34:35], off
	v_add_u32_e32 v14, -2, v12
	v_lshlrev_b64 v[32:33], 3, v[14:15]
	v_add_u32_e32 v14, 13, v29
	v_add_co_u32_e32 v13, vcc, s12, v32
	v_add_u32_e32 v12, 0x780, v12
	s_waitcnt vmcnt(0)
	v_fma_f64 v[21:22], v[8:9], v[36:37], v[21:22]
	v_lshlrev_b64 v[8:9], 3, v[14:15]
	v_addc_co_u32_e32 v14, vcc, v19, v33, vcc
	v_add_co_u32_e32 v30, vcc, s14, v8
	v_fma_f64 v[23:24], v[10:11], v[36:37], v[23:24]
	v_addc_co_u32_e32 v31, vcc, v20, v9, vcc
	global_load_dwordx4 v[8:11], v[13:14], off
	global_load_dwordx2 v[32:33], v[30:31], off
	v_add_u32_e32 v14, 14, v29
	v_lshlrev_b64 v[13:14], 3, v[14:15]
	v_add_co_u32_e32 v13, vcc, s14, v13
	v_addc_co_u32_e32 v14, vcc, v20, v14, vcc
	global_load_dwordx2 v[13:14], v[13:14], off
	v_cmp_ge_i32_e32 vcc, v16, v18
	s_or_b64 s[8:9], vcc, s[8:9]
	s_waitcnt vmcnt(1)
	v_fma_f64 v[8:9], v[8:9], v[32:33], v[21:22]
	v_fma_f64 v[10:11], v[10:11], v[32:33], v[23:24]
	s_waitcnt vmcnt(0)
	v_fma_f64 v[8:9], v[25:26], v[13:14], v[8:9]
	v_fma_f64 v[10:11], v[27:28], v[13:14], v[10:11]
	s_andn2_b64 exec, exec, s[8:9]
	s_cbranch_execnz .LBB145_9
; %bb.10:
	s_or_b64 exec, exec, s[8:9]
.LBB145_11:
	s_or_b64 exec, exec, s[6:7]
	s_cbranch_execz .LBB145_13
	s_branch .LBB145_18
.LBB145_12:
                                        ; implicit-def: $vgpr8_vgpr9
                                        ; implicit-def: $vgpr10_vgpr11
.LBB145_13:
	v_mov_b32_e32 v8, 0
	v_mov_b32_e32 v10, 0
	;; [unrolled: 1-line block ×4, first 2 shown]
	s_and_saveexec_b64 s[6:7], s[0:1]
	s_cbranch_execz .LBB145_17
; %bb.14:
	v_mad_u64_u32 v[12:13], s[0:1], v6, 30, 29
	v_mov_b32_e32 v8, 0
	v_mov_b32_e32 v10, 0
	;; [unrolled: 1-line block ×3, first 2 shown]
	s_mov_b64 s[0:1], 0
	v_mov_b32_e32 v16, s11
	v_mov_b32_e32 v15, 0
	;; [unrolled: 1-line block ×5, first 2 shown]
.LBB145_15:                             ; =>This Inner Loop Header: Depth=1
	v_ashrrev_i32_e32 v7, 31, v6
	v_lshlrev_b64 v[22:23], 2, v[6:7]
	v_subrev_u32_e32 v14, 29, v12
	v_add_co_u32_e32 v22, vcc, s10, v22
	v_addc_co_u32_e32 v23, vcc, v16, v23, vcc
	global_load_dword v7, v[22:23], off
	v_lshlrev_b64 v[24:25], 3, v[14:15]
	v_add_u32_e32 v20, -14, v12
	v_mov_b32_e32 v21, v15
	v_lshlrev_b64 v[20:21], 3, v[20:21]
	v_add_co_u32_e32 v24, vcc, s12, v24
	v_mov_b32_e32 v13, v15
	v_addc_co_u32_e32 v25, vcc, v17, v25, vcc
	v_lshlrev_b64 v[13:14], 3, v[12:13]
	v_add_co_u32_e32 v20, vcc, s12, v20
	v_addc_co_u32_e32 v21, vcc, v17, v21, vcc
	v_add_co_u32_e32 v26, vcc, s12, v13
	v_addc_co_u32_e32 v27, vcc, v17, v14, vcc
	v_mov_b32_e32 v14, v15
	v_add_u32_e32 v6, 64, v6
	s_waitcnt vmcnt(0)
	v_subrev_u32_e32 v7, s2, v7
	v_mul_lo_u32 v13, v7, 15
	v_lshlrev_b64 v[22:23], 3, v[13:14]
	v_add_u32_e32 v14, 1, v13
	v_add_co_u32_e32 v22, vcc, s14, v22
	v_addc_co_u32_e32 v23, vcc, v19, v23, vcc
	global_load_dwordx2 v[30:31], v[20:21], off
	global_load_dwordx2 v[32:33], v[22:23], off
	v_lshlrev_b64 v[28:29], 3, v[14:15]
	global_load_dwordx4 v[20:23], v[24:25], off
	v_add_co_u32_e32 v28, vcc, s14, v28
	v_addc_co_u32_e32 v29, vcc, v19, v29, vcc
	v_add_u32_e32 v14, -13, v12
	s_waitcnt vmcnt(1)
	v_fma_f64 v[10:11], v[30:31], v[32:33], v[10:11]
	s_waitcnt vmcnt(0)
	v_fma_f64 v[7:8], v[20:21], v[32:33], v[8:9]
	global_load_dwordx2 v[20:21], v[28:29], off
	s_waitcnt vmcnt(0)
	v_fma_f64 v[7:8], v[22:23], v[20:21], v[7:8]
	v_lshlrev_b64 v[22:23], 3, v[14:15]
	v_subrev_u32_e32 v14, 27, v12
	v_add_co_u32_e32 v22, vcc, s12, v22
	v_lshlrev_b64 v[24:25], 3, v[14:15]
	v_addc_co_u32_e32 v23, vcc, v17, v23, vcc
	v_add_co_u32_e32 v24, vcc, s12, v24
	v_addc_co_u32_e32 v25, vcc, v17, v25, vcc
	global_load_dwordx2 v[28:29], v[22:23], off
	global_load_dwordx2 v[30:31], v[24:25], off
	v_add_u32_e32 v14, 2, v13
	s_waitcnt vmcnt(1)
	v_fma_f64 v[9:10], v[28:29], v[20:21], v[10:11]
	v_lshlrev_b64 v[20:21], 3, v[14:15]
	v_add_u32_e32 v14, -12, v12
	v_add_co_u32_e32 v20, vcc, s14, v20
	v_addc_co_u32_e32 v21, vcc, v19, v21, vcc
	global_load_dwordx2 v[20:21], v[20:21], off
	v_lshlrev_b64 v[22:23], 3, v[14:15]
	v_subrev_u32_e32 v14, 26, v12
	v_add_co_u32_e32 v22, vcc, s12, v22
	v_lshlrev_b64 v[24:25], 3, v[14:15]
	v_addc_co_u32_e32 v23, vcc, v17, v23, vcc
	v_add_co_u32_e32 v24, vcc, s12, v24
	v_addc_co_u32_e32 v25, vcc, v17, v25, vcc
	v_add_u32_e32 v14, 3, v13
	s_waitcnt vmcnt(0)
	v_fma_f64 v[7:8], v[30:31], v[20:21], v[7:8]
	global_load_dwordx2 v[28:29], v[22:23], off
	global_load_dwordx2 v[30:31], v[24:25], off
	s_waitcnt vmcnt(1)
	v_fma_f64 v[9:10], v[28:29], v[20:21], v[9:10]
	v_lshlrev_b64 v[20:21], 3, v[14:15]
	v_add_u32_e32 v14, -11, v12
	v_add_co_u32_e32 v20, vcc, s14, v20
	v_addc_co_u32_e32 v21, vcc, v19, v21, vcc
	global_load_dwordx2 v[20:21], v[20:21], off
	v_lshlrev_b64 v[22:23], 3, v[14:15]
	v_subrev_u32_e32 v14, 25, v12
	v_add_co_u32_e32 v22, vcc, s12, v22
	v_lshlrev_b64 v[24:25], 3, v[14:15]
	v_addc_co_u32_e32 v23, vcc, v17, v23, vcc
	v_add_co_u32_e32 v24, vcc, s12, v24
	v_addc_co_u32_e32 v25, vcc, v17, v25, vcc
	v_add_u32_e32 v14, 4, v13
	s_waitcnt vmcnt(0)
	v_fma_f64 v[7:8], v[30:31], v[20:21], v[7:8]
	global_load_dwordx2 v[28:29], v[22:23], off
	global_load_dwordx2 v[30:31], v[24:25], off
	;; [unrolled: 19-line block ×10, first 2 shown]
	s_waitcnt vmcnt(1)
	v_fma_f64 v[9:10], v[28:29], v[20:21], v[9:10]
	v_lshlrev_b64 v[20:21], 3, v[14:15]
	v_add_u32_e32 v14, -2, v12
	v_add_co_u32_e32 v20, vcc, s14, v20
	v_addc_co_u32_e32 v21, vcc, v19, v21, vcc
	global_load_dwordx2 v[20:21], v[20:21], off
	v_lshlrev_b64 v[22:23], 3, v[14:15]
	v_add_u32_e32 v14, -16, v12
	v_add_co_u32_e32 v22, vcc, s12, v22
	v_lshlrev_b64 v[24:25], 3, v[14:15]
	v_addc_co_u32_e32 v23, vcc, v17, v23, vcc
	v_add_co_u32_e32 v24, vcc, s12, v24
	v_addc_co_u32_e32 v25, vcc, v17, v25, vcc
	v_add_u32_e32 v14, 13, v13
	s_waitcnt vmcnt(0)
	v_fma_f64 v[7:8], v[30:31], v[20:21], v[7:8]
	global_load_dwordx2 v[28:29], v[22:23], off
	global_load_dwordx2 v[30:31], v[24:25], off
	s_waitcnt vmcnt(1)
	v_fma_f64 v[9:10], v[28:29], v[20:21], v[9:10]
	v_lshlrev_b64 v[20:21], 3, v[14:15]
	v_add_u32_e32 v14, -1, v12
	v_add_co_u32_e32 v20, vcc, s14, v20
	v_addc_co_u32_e32 v21, vcc, v19, v21, vcc
	global_load_dwordx2 v[20:21], v[20:21], off
	v_lshlrev_b64 v[22:23], 3, v[14:15]
	v_add_u32_e32 v14, -15, v12
	v_lshlrev_b64 v[24:25], 3, v[14:15]
	v_add_co_u32_e32 v22, vcc, s12, v22
	v_add_u32_e32 v14, 14, v13
	v_addc_co_u32_e32 v23, vcc, v17, v23, vcc
	v_add_co_u32_e32 v24, vcc, s12, v24
	v_lshlrev_b64 v[13:14], 3, v[14:15]
	v_addc_co_u32_e32 v25, vcc, v17, v25, vcc
	v_add_co_u32_e32 v13, vcc, s14, v13
	v_addc_co_u32_e32 v14, vcc, v19, v14, vcc
	v_cmp_ge_i32_e32 vcc, v6, v18
	s_or_b64 s[0:1], vcc, s[0:1]
	v_add_u32_e32 v12, 0x780, v12
	s_waitcnt vmcnt(0)
	v_fma_f64 v[7:8], v[30:31], v[20:21], v[7:8]
	global_load_dwordx2 v[28:29], v[22:23], off
	global_load_dwordx2 v[30:31], v[26:27], off
	;; [unrolled: 1-line block ×4, first 2 shown]
	s_waitcnt vmcnt(3)
	v_fma_f64 v[10:11], v[28:29], v[20:21], v[9:10]
	s_waitcnt vmcnt(0)
	v_fma_f64 v[8:9], v[32:33], v[34:35], v[7:8]
	v_fma_f64 v[10:11], v[30:31], v[34:35], v[10:11]
	s_andn2_b64 exec, exec, s[0:1]
	s_cbranch_execnz .LBB145_15
; %bb.16:
	s_or_b64 exec, exec, s[0:1]
.LBB145_17:
	s_or_b64 exec, exec, s[6:7]
.LBB145_18:
	v_mov_b32_dpp v6, v8 row_shr:1 row_mask:0xf bank_mask:0xf
	v_mov_b32_dpp v7, v9 row_shr:1 row_mask:0xf bank_mask:0xf
	v_add_f64 v[6:7], v[8:9], v[6:7]
	v_mov_b32_dpp v8, v10 row_shr:1 row_mask:0xf bank_mask:0xf
	v_mov_b32_dpp v9, v11 row_shr:1 row_mask:0xf bank_mask:0xf
	v_add_f64 v[8:9], v[10:11], v[8:9]
	v_cmp_eq_u32_e32 vcc, 63, v0
	v_mov_b32_dpp v10, v6 row_shr:2 row_mask:0xf bank_mask:0xf
	v_mov_b32_dpp v11, v7 row_shr:2 row_mask:0xf bank_mask:0xf
	v_add_f64 v[6:7], v[6:7], v[10:11]
	v_mov_b32_dpp v12, v8 row_shr:2 row_mask:0xf bank_mask:0xf
	v_mov_b32_dpp v13, v9 row_shr:2 row_mask:0xf bank_mask:0xf
	v_add_f64 v[8:9], v[8:9], v[12:13]
	;; [unrolled: 3-line block ×6, first 2 shown]
	v_mov_b32_dpp v10, v6 row_bcast:15 row_mask:0xa bank_mask:0xf
	v_mov_b32_dpp v11, v7 row_bcast:15 row_mask:0xa bank_mask:0xf
	v_add_f64 v[6:7], v[6:7], v[10:11]
	v_mov_b32_dpp v12, v8 row_bcast:15 row_mask:0xa bank_mask:0xf
	v_mov_b32_dpp v13, v9 row_bcast:15 row_mask:0xa bank_mask:0xf
	v_add_f64 v[10:11], v[8:9], v[12:13]
	v_mov_b32_dpp v8, v6 row_bcast:31 row_mask:0xc bank_mask:0xf
	v_mov_b32_dpp v9, v7 row_bcast:31 row_mask:0xc bank_mask:0xf
	;; [unrolled: 1-line block ×4, first 2 shown]
	s_and_b64 exec, exec, vcc
	s_cbranch_execz .LBB145_23
; %bb.19:
	v_add_f64 v[8:9], v[6:7], v[8:9]
	v_add_f64 v[6:7], v[10:11], v[12:13]
	v_cmp_eq_f64_e32 vcc, 0, v[3:4]
	s_load_dwordx2 s[0:1], s[4:5], 0x38
	s_and_saveexec_b64 s[2:3], vcc
	s_xor_b64 s[2:3], exec, s[2:3]
	s_cbranch_execz .LBB145_21
; %bb.20:
	v_mul_f64 v[3:4], v[1:2], v[8:9]
	v_lshlrev_b32_e32 v0, 1, v5
	v_mul_f64 v[5:6], v[1:2], v[6:7]
	v_ashrrev_i32_e32 v1, 31, v0
	v_lshlrev_b64 v[0:1], 3, v[0:1]
	s_waitcnt lgkmcnt(0)
	v_mov_b32_e32 v2, s1
	v_add_co_u32_e32 v0, vcc, s0, v0
	v_addc_co_u32_e32 v1, vcc, v2, v1, vcc
	global_store_dwordx4 v[0:1], v[3:6], off
                                        ; implicit-def: $vgpr5
                                        ; implicit-def: $vgpr1_vgpr2
                                        ; implicit-def: $vgpr8_vgpr9
                                        ; implicit-def: $vgpr3_vgpr4
                                        ; implicit-def: $vgpr6_vgpr7
.LBB145_21:
	s_andn2_saveexec_b64 s[2:3], s[2:3]
	s_cbranch_execz .LBB145_23
; %bb.22:
	v_lshlrev_b32_e32 v10, 1, v5
	v_ashrrev_i32_e32 v11, 31, v10
	v_lshlrev_b64 v[10:11], 3, v[10:11]
	s_waitcnt lgkmcnt(0)
	v_mov_b32_e32 v0, s1
	v_add_co_u32_e32 v14, vcc, s0, v10
	v_addc_co_u32_e32 v15, vcc, v0, v11, vcc
	global_load_dwordx4 v[10:13], v[14:15], off
	v_mul_f64 v[8:9], v[1:2], v[8:9]
	v_mul_f64 v[5:6], v[1:2], v[6:7]
	s_waitcnt vmcnt(0)
	v_fma_f64 v[0:1], v[3:4], v[10:11], v[8:9]
	v_fma_f64 v[2:3], v[3:4], v[12:13], v[5:6]
	global_store_dwordx4 v[14:15], v[0:3], off
.LBB145_23:
	s_endpgm
	.section	.rodata,"a",@progbits
	.p2align	6, 0x0
	.amdhsa_kernel _ZN9rocsparseL19gebsrmvn_2xn_kernelILj128ELj15ELj64EdEEvi20rocsparse_direction_NS_24const_host_device_scalarIT2_EEPKiS6_PKS3_S8_S4_PS3_21rocsparse_index_base_b
		.amdhsa_group_segment_fixed_size 0
		.amdhsa_private_segment_fixed_size 0
		.amdhsa_kernarg_size 72
		.amdhsa_user_sgpr_count 6
		.amdhsa_user_sgpr_private_segment_buffer 1
		.amdhsa_user_sgpr_dispatch_ptr 0
		.amdhsa_user_sgpr_queue_ptr 0
		.amdhsa_user_sgpr_kernarg_segment_ptr 1
		.amdhsa_user_sgpr_dispatch_id 0
		.amdhsa_user_sgpr_flat_scratch_init 0
		.amdhsa_user_sgpr_private_segment_size 0
		.amdhsa_uses_dynamic_stack 0
		.amdhsa_system_sgpr_private_segment_wavefront_offset 0
		.amdhsa_system_sgpr_workgroup_id_x 1
		.amdhsa_system_sgpr_workgroup_id_y 0
		.amdhsa_system_sgpr_workgroup_id_z 0
		.amdhsa_system_sgpr_workgroup_info 0
		.amdhsa_system_vgpr_workitem_id 0
		.amdhsa_next_free_vgpr 38
		.amdhsa_next_free_sgpr 16
		.amdhsa_reserve_vcc 1
		.amdhsa_reserve_flat_scratch 0
		.amdhsa_float_round_mode_32 0
		.amdhsa_float_round_mode_16_64 0
		.amdhsa_float_denorm_mode_32 3
		.amdhsa_float_denorm_mode_16_64 3
		.amdhsa_dx10_clamp 1
		.amdhsa_ieee_mode 1
		.amdhsa_fp16_overflow 0
		.amdhsa_exception_fp_ieee_invalid_op 0
		.amdhsa_exception_fp_denorm_src 0
		.amdhsa_exception_fp_ieee_div_zero 0
		.amdhsa_exception_fp_ieee_overflow 0
		.amdhsa_exception_fp_ieee_underflow 0
		.amdhsa_exception_fp_ieee_inexact 0
		.amdhsa_exception_int_div_zero 0
	.end_amdhsa_kernel
	.section	.text._ZN9rocsparseL19gebsrmvn_2xn_kernelILj128ELj15ELj64EdEEvi20rocsparse_direction_NS_24const_host_device_scalarIT2_EEPKiS6_PKS3_S8_S4_PS3_21rocsparse_index_base_b,"axG",@progbits,_ZN9rocsparseL19gebsrmvn_2xn_kernelILj128ELj15ELj64EdEEvi20rocsparse_direction_NS_24const_host_device_scalarIT2_EEPKiS6_PKS3_S8_S4_PS3_21rocsparse_index_base_b,comdat
.Lfunc_end145:
	.size	_ZN9rocsparseL19gebsrmvn_2xn_kernelILj128ELj15ELj64EdEEvi20rocsparse_direction_NS_24const_host_device_scalarIT2_EEPKiS6_PKS3_S8_S4_PS3_21rocsparse_index_base_b, .Lfunc_end145-_ZN9rocsparseL19gebsrmvn_2xn_kernelILj128ELj15ELj64EdEEvi20rocsparse_direction_NS_24const_host_device_scalarIT2_EEPKiS6_PKS3_S8_S4_PS3_21rocsparse_index_base_b
                                        ; -- End function
	.set _ZN9rocsparseL19gebsrmvn_2xn_kernelILj128ELj15ELj64EdEEvi20rocsparse_direction_NS_24const_host_device_scalarIT2_EEPKiS6_PKS3_S8_S4_PS3_21rocsparse_index_base_b.num_vgpr, 38
	.set _ZN9rocsparseL19gebsrmvn_2xn_kernelILj128ELj15ELj64EdEEvi20rocsparse_direction_NS_24const_host_device_scalarIT2_EEPKiS6_PKS3_S8_S4_PS3_21rocsparse_index_base_b.num_agpr, 0
	.set _ZN9rocsparseL19gebsrmvn_2xn_kernelILj128ELj15ELj64EdEEvi20rocsparse_direction_NS_24const_host_device_scalarIT2_EEPKiS6_PKS3_S8_S4_PS3_21rocsparse_index_base_b.numbered_sgpr, 16
	.set _ZN9rocsparseL19gebsrmvn_2xn_kernelILj128ELj15ELj64EdEEvi20rocsparse_direction_NS_24const_host_device_scalarIT2_EEPKiS6_PKS3_S8_S4_PS3_21rocsparse_index_base_b.num_named_barrier, 0
	.set _ZN9rocsparseL19gebsrmvn_2xn_kernelILj128ELj15ELj64EdEEvi20rocsparse_direction_NS_24const_host_device_scalarIT2_EEPKiS6_PKS3_S8_S4_PS3_21rocsparse_index_base_b.private_seg_size, 0
	.set _ZN9rocsparseL19gebsrmvn_2xn_kernelILj128ELj15ELj64EdEEvi20rocsparse_direction_NS_24const_host_device_scalarIT2_EEPKiS6_PKS3_S8_S4_PS3_21rocsparse_index_base_b.uses_vcc, 1
	.set _ZN9rocsparseL19gebsrmvn_2xn_kernelILj128ELj15ELj64EdEEvi20rocsparse_direction_NS_24const_host_device_scalarIT2_EEPKiS6_PKS3_S8_S4_PS3_21rocsparse_index_base_b.uses_flat_scratch, 0
	.set _ZN9rocsparseL19gebsrmvn_2xn_kernelILj128ELj15ELj64EdEEvi20rocsparse_direction_NS_24const_host_device_scalarIT2_EEPKiS6_PKS3_S8_S4_PS3_21rocsparse_index_base_b.has_dyn_sized_stack, 0
	.set _ZN9rocsparseL19gebsrmvn_2xn_kernelILj128ELj15ELj64EdEEvi20rocsparse_direction_NS_24const_host_device_scalarIT2_EEPKiS6_PKS3_S8_S4_PS3_21rocsparse_index_base_b.has_recursion, 0
	.set _ZN9rocsparseL19gebsrmvn_2xn_kernelILj128ELj15ELj64EdEEvi20rocsparse_direction_NS_24const_host_device_scalarIT2_EEPKiS6_PKS3_S8_S4_PS3_21rocsparse_index_base_b.has_indirect_call, 0
	.section	.AMDGPU.csdata,"",@progbits
; Kernel info:
; codeLenInByte = 3764
; TotalNumSgprs: 20
; NumVgprs: 38
; ScratchSize: 0
; MemoryBound: 0
; FloatMode: 240
; IeeeMode: 1
; LDSByteSize: 0 bytes/workgroup (compile time only)
; SGPRBlocks: 2
; VGPRBlocks: 9
; NumSGPRsForWavesPerEU: 20
; NumVGPRsForWavesPerEU: 38
; Occupancy: 6
; WaveLimiterHint : 1
; COMPUTE_PGM_RSRC2:SCRATCH_EN: 0
; COMPUTE_PGM_RSRC2:USER_SGPR: 6
; COMPUTE_PGM_RSRC2:TRAP_HANDLER: 0
; COMPUTE_PGM_RSRC2:TGID_X_EN: 1
; COMPUTE_PGM_RSRC2:TGID_Y_EN: 0
; COMPUTE_PGM_RSRC2:TGID_Z_EN: 0
; COMPUTE_PGM_RSRC2:TIDIG_COMP_CNT: 0
	.section	.text._ZN9rocsparseL19gebsrmvn_2xn_kernelILj128ELj16ELj4EdEEvi20rocsparse_direction_NS_24const_host_device_scalarIT2_EEPKiS6_PKS3_S8_S4_PS3_21rocsparse_index_base_b,"axG",@progbits,_ZN9rocsparseL19gebsrmvn_2xn_kernelILj128ELj16ELj4EdEEvi20rocsparse_direction_NS_24const_host_device_scalarIT2_EEPKiS6_PKS3_S8_S4_PS3_21rocsparse_index_base_b,comdat
	.globl	_ZN9rocsparseL19gebsrmvn_2xn_kernelILj128ELj16ELj4EdEEvi20rocsparse_direction_NS_24const_host_device_scalarIT2_EEPKiS6_PKS3_S8_S4_PS3_21rocsparse_index_base_b ; -- Begin function _ZN9rocsparseL19gebsrmvn_2xn_kernelILj128ELj16ELj4EdEEvi20rocsparse_direction_NS_24const_host_device_scalarIT2_EEPKiS6_PKS3_S8_S4_PS3_21rocsparse_index_base_b
	.p2align	8
	.type	_ZN9rocsparseL19gebsrmvn_2xn_kernelILj128ELj16ELj4EdEEvi20rocsparse_direction_NS_24const_host_device_scalarIT2_EEPKiS6_PKS3_S8_S4_PS3_21rocsparse_index_base_b,@function
_ZN9rocsparseL19gebsrmvn_2xn_kernelILj128ELj16ELj4EdEEvi20rocsparse_direction_NS_24const_host_device_scalarIT2_EEPKiS6_PKS3_S8_S4_PS3_21rocsparse_index_base_b: ; @_ZN9rocsparseL19gebsrmvn_2xn_kernelILj128ELj16ELj4EdEEvi20rocsparse_direction_NS_24const_host_device_scalarIT2_EEPKiS6_PKS3_S8_S4_PS3_21rocsparse_index_base_b
; %bb.0:
	s_load_dwordx2 s[2:3], s[4:5], 0x40
	s_load_dwordx2 s[10:11], s[4:5], 0x8
	s_load_dwordx2 s[0:1], s[4:5], 0x30
	s_waitcnt lgkmcnt(0)
	s_bitcmp1_b32 s3, 0
	s_cselect_b64 s[12:13], -1, 0
	v_mov_b32_e32 v1, s10
	s_xor_b64 s[8:9], s[12:13], -1
	s_and_b64 vcc, exec, s[12:13]
	v_mov_b32_e32 v2, s11
	s_cbranch_vccnz .LBB146_2
; %bb.1:
	v_mov_b32_e32 v1, s10
	v_mov_b32_e32 v2, s11
	flat_load_dwordx2 v[1:2], v[1:2]
.LBB146_2:
	v_mov_b32_e32 v4, s1
	s_andn2_b64 vcc, exec, s[8:9]
	v_mov_b32_e32 v3, s0
	s_cbranch_vccnz .LBB146_4
; %bb.3:
	v_mov_b32_e32 v4, s1
	v_mov_b32_e32 v3, s0
	flat_load_dwordx2 v[3:4], v[3:4]
.LBB146_4:
	s_waitcnt vmcnt(0) lgkmcnt(0)
	v_cmp_neq_f64_e32 vcc, 0, v[1:2]
	v_cmp_neq_f64_e64 s[0:1], 1.0, v[3:4]
	s_or_b64 s[0:1], vcc, s[0:1]
	s_and_saveexec_b64 s[8:9], s[0:1]
	s_cbranch_execz .LBB146_23
; %bb.5:
	s_load_dwordx2 s[0:1], s[4:5], 0x0
	v_lshrrev_b32_e32 v5, 2, v0
	v_lshl_or_b32 v5, s6, 5, v5
	s_waitcnt lgkmcnt(0)
	v_cmp_gt_i32_e32 vcc, s0, v5
	s_and_b64 exec, exec, vcc
	s_cbranch_execz .LBB146_23
; %bb.6:
	s_load_dwordx8 s[8:15], s[4:5], 0x10
	v_ashrrev_i32_e32 v6, 31, v5
	v_lshlrev_b64 v[6:7], 2, v[5:6]
	v_and_b32_e32 v0, 3, v0
	s_cmp_lg_u32 s1, 0
	s_waitcnt lgkmcnt(0)
	v_mov_b32_e32 v8, s9
	v_add_co_u32_e32 v6, vcc, s8, v6
	v_addc_co_u32_e32 v7, vcc, v8, v7, vcc
	global_load_dwordx2 v[6:7], v[6:7], off
	s_waitcnt vmcnt(0)
	v_subrev_u32_e32 v6, s2, v6
	v_subrev_u32_e32 v16, s2, v7
	v_add_u32_e32 v6, v6, v0
	v_cmp_lt_i32_e64 s[0:1], v6, v16
	s_cbranch_scc0 .LBB146_12
; %bb.7:
	v_mov_b32_e32 v8, 0
	v_mov_b32_e32 v10, 0
	;; [unrolled: 1-line block ×4, first 2 shown]
	s_and_saveexec_b64 s[6:7], s[0:1]
	s_cbranch_execz .LBB146_11
; %bb.8:
	v_mov_b32_e32 v8, 0
	v_mov_b32_e32 v10, 0
	v_lshlrev_b32_e32 v12, 5, v6
	v_mov_b32_e32 v9, 0
	s_mov_b64 s[8:9], 0
	v_mov_b32_e32 v7, s11
	v_mov_b32_e32 v13, 0
	;; [unrolled: 1-line block ×6, first 2 shown]
.LBB146_9:                              ; =>This Inner Loop Header: Depth=1
	v_lshlrev_b64 v[19:20], 3, v[12:13]
	v_ashrrev_i32_e32 v15, 31, v14
	v_lshlrev_b64 v[21:22], 2, v[14:15]
	v_add_co_u32_e32 v47, vcc, s12, v19
	v_addc_co_u32_e32 v48, vcc, v17, v20, vcc
	v_add_co_u32_e32 v41, vcc, s10, v21
	v_addc_co_u32_e32 v42, vcc, v7, v22, vcc
	global_load_dwordx4 v[19:22], v[47:48], off
	global_load_dwordx4 v[23:26], v[47:48], off offset:16
	global_load_dwordx4 v[27:30], v[47:48], off offset:32
	;; [unrolled: 1-line block ×4, first 2 shown]
	global_load_dword v15, v[41:42], off
	v_mov_b32_e32 v40, v13
	v_add_u32_e32 v14, 4, v14
	v_add_u32_e32 v12, 0x80, v12
	s_waitcnt vmcnt(0)
	v_subrev_u32_e32 v15, s2, v15
	v_lshlrev_b32_e32 v39, 4, v15
	v_lshlrev_b64 v[39:40], 3, v[39:40]
	v_add_co_u32_e32 v49, vcc, s14, v39
	v_addc_co_u32_e32 v50, vcc, v18, v40, vcc
	global_load_dwordx4 v[39:42], v[49:50], off
	global_load_dwordx4 v[43:46], v[49:50], off offset:16
	v_cmp_ge_i32_e32 vcc, v14, v16
	s_or_b64 s[8:9], vcc, s[8:9]
	s_waitcnt vmcnt(1)
	v_fma_f64 v[19:20], v[19:20], v[39:40], v[8:9]
	v_fma_f64 v[21:22], v[21:22], v[39:40], v[10:11]
	global_load_dwordx4 v[8:11], v[47:48], off offset:80
	v_fma_f64 v[39:40], v[23:24], v[41:42], v[19:20]
	v_fma_f64 v[41:42], v[25:26], v[41:42], v[21:22]
	global_load_dwordx4 v[19:22], v[47:48], off offset:96
	global_load_dwordx4 v[23:26], v[47:48], off offset:112
	s_waitcnt vmcnt(3)
	v_fma_f64 v[39:40], v[27:28], v[43:44], v[39:40]
	v_fma_f64 v[41:42], v[29:30], v[43:44], v[41:42]
	global_load_dwordx4 v[27:30], v[47:48], off offset:128
	v_fma_f64 v[43:44], v[31:32], v[45:46], v[39:40]
	v_fma_f64 v[45:46], v[33:34], v[45:46], v[41:42]
	global_load_dwordx4 v[31:34], v[49:50], off offset:32
	global_load_dwordx4 v[39:42], v[49:50], off offset:48
	;; [unrolled: 8-line block ×5, first 2 shown]
	s_waitcnt vmcnt(5)
	v_fma_f64 v[51:52], v[8:9], v[19:20], v[43:44]
	v_fma_f64 v[19:20], v[10:11], v[19:20], v[45:46]
	global_load_dwordx4 v[8:11], v[49:50], off offset:112
	global_load_dwordx4 v[43:46], v[47:48], off offset:240
	s_waitcnt vmcnt(6)
	v_fma_f64 v[23:24], v[23:24], v[21:22], v[51:52]
	v_fma_f64 v[19:20], v[25:26], v[21:22], v[19:20]
	s_waitcnt vmcnt(4)
	v_fma_f64 v[21:22], v[39:40], v[27:28], v[23:24]
	v_fma_f64 v[19:20], v[41:42], v[27:28], v[19:20]
	;; [unrolled: 3-line block ×5, first 2 shown]
	s_andn2_b64 exec, exec, s[8:9]
	s_cbranch_execnz .LBB146_9
; %bb.10:
	s_or_b64 exec, exec, s[8:9]
.LBB146_11:
	s_or_b64 exec, exec, s[6:7]
	s_cbranch_execz .LBB146_13
	s_branch .LBB146_18
.LBB146_12:
                                        ; implicit-def: $vgpr8_vgpr9
                                        ; implicit-def: $vgpr10_vgpr11
.LBB146_13:
	v_mov_b32_e32 v8, 0
	v_mov_b32_e32 v10, 0
	v_mov_b32_e32 v9, 0
	v_mov_b32_e32 v11, 0
	s_and_saveexec_b64 s[6:7], s[0:1]
	s_cbranch_execz .LBB146_17
; %bb.14:
	v_mov_b32_e32 v8, 0
	v_mov_b32_e32 v10, 0
	v_lshlrev_b32_e32 v12, 5, v6
	v_mov_b32_e32 v9, 0
	s_mov_b64 s[0:1], 0
	v_mov_b32_e32 v14, s11
	v_mov_b32_e32 v13, 0
	v_mov_b32_e32 v15, s13
	v_mov_b32_e32 v11, 0
	v_mov_b32_e32 v17, s15
.LBB146_15:                             ; =>This Inner Loop Header: Depth=1
	v_lshlrev_b64 v[18:19], 3, v[12:13]
	v_ashrrev_i32_e32 v7, 31, v6
	v_lshlrev_b64 v[20:21], 2, v[6:7]
	v_add_co_u32_e32 v38, vcc, s12, v18
	v_addc_co_u32_e32 v39, vcc, v15, v19, vcc
	v_add_co_u32_e32 v28, vcc, s10, v20
	v_addc_co_u32_e32 v29, vcc, v14, v21, vcc
	global_load_dwordx4 v[18:21], v[38:39], off
	global_load_dwordx4 v[22:25], v[38:39], off offset:16
	global_load_dword v7, v[28:29], off
	v_mov_b32_e32 v27, v13
	v_add_u32_e32 v6, 4, v6
	v_add_u32_e32 v12, 0x80, v12
	s_waitcnt vmcnt(0)
	v_subrev_u32_e32 v7, s2, v7
	v_lshlrev_b32_e32 v26, 4, v7
	v_lshlrev_b64 v[26:27], 3, v[26:27]
	v_add_co_u32_e32 v40, vcc, s14, v26
	v_addc_co_u32_e32 v41, vcc, v17, v27, vcc
	global_load_dwordx4 v[26:29], v[40:41], off
	global_load_dwordx4 v[30:33], v[40:41], off offset:16
	v_cmp_ge_i32_e32 vcc, v6, v16
	s_or_b64 s[0:1], vcc, s[0:1]
	s_waitcnt vmcnt(1)
	v_fma_f64 v[7:8], v[18:19], v[26:27], v[8:9]
	v_fma_f64 v[7:8], v[20:21], v[28:29], v[7:8]
	global_load_dwordx4 v[18:21], v[38:39], off offset:128
	global_load_dwordx4 v[34:37], v[38:39], off offset:144
	s_waitcnt vmcnt(2)
	v_fma_f64 v[7:8], v[22:23], v[30:31], v[7:8]
	v_fma_f64 v[42:43], v[24:25], v[32:33], v[7:8]
	s_waitcnt vmcnt(1)
	v_fma_f64 v[9:10], v[18:19], v[26:27], v[10:11]
	v_fma_f64 v[18:19], v[20:21], v[28:29], v[9:10]
	global_load_dwordx4 v[7:10], v[38:39], off offset:32
	s_waitcnt vmcnt(1)
	v_fma_f64 v[18:19], v[34:35], v[30:31], v[18:19]
	v_fma_f64 v[34:35], v[36:37], v[32:33], v[18:19]
	global_load_dwordx4 v[18:21], v[38:39], off offset:48
	global_load_dwordx4 v[22:25], v[40:41], off offset:32
	;; [unrolled: 1-line block ×3, first 2 shown]
	s_waitcnt vmcnt(1)
	v_fma_f64 v[7:8], v[7:8], v[22:23], v[42:43]
	v_fma_f64 v[36:37], v[9:10], v[24:25], v[7:8]
	global_load_dwordx4 v[7:10], v[38:39], off offset:160
	global_load_dwordx4 v[30:33], v[38:39], off offset:176
	s_waitcnt vmcnt(1)
	v_fma_f64 v[7:8], v[7:8], v[22:23], v[34:35]
	v_fma_f64 v[22:23], v[9:10], v[24:25], v[7:8]
	;; [unrolled: 1-line block ×3, first 2 shown]
	s_waitcnt vmcnt(0)
	v_fma_f64 v[18:19], v[30:31], v[26:27], v[22:23]
	v_fma_f64 v[34:35], v[20:21], v[28:29], v[7:8]
	global_load_dwordx4 v[7:10], v[38:39], off offset:64
	v_fma_f64 v[36:37], v[32:33], v[28:29], v[18:19]
	global_load_dwordx4 v[18:21], v[38:39], off offset:80
	global_load_dwordx4 v[22:25], v[40:41], off offset:64
	;; [unrolled: 1-line block ×3, first 2 shown]
	s_waitcnt vmcnt(1)
	v_fma_f64 v[7:8], v[7:8], v[22:23], v[34:35]
	v_fma_f64 v[34:35], v[9:10], v[24:25], v[7:8]
	global_load_dwordx4 v[7:10], v[38:39], off offset:192
	global_load_dwordx4 v[30:33], v[38:39], off offset:208
	s_waitcnt vmcnt(1)
	v_fma_f64 v[7:8], v[7:8], v[22:23], v[36:37]
	v_fma_f64 v[22:23], v[9:10], v[24:25], v[7:8]
	;; [unrolled: 1-line block ×3, first 2 shown]
	s_waitcnt vmcnt(0)
	v_fma_f64 v[18:19], v[30:31], v[26:27], v[22:23]
	v_fma_f64 v[34:35], v[20:21], v[28:29], v[7:8]
	global_load_dwordx4 v[7:10], v[38:39], off offset:96
	v_fma_f64 v[36:37], v[32:33], v[28:29], v[18:19]
	global_load_dwordx4 v[18:21], v[38:39], off offset:112
	global_load_dwordx4 v[22:25], v[40:41], off offset:96
	;; [unrolled: 1-line block ×3, first 2 shown]
	s_waitcnt vmcnt(1)
	v_fma_f64 v[7:8], v[7:8], v[22:23], v[34:35]
	v_fma_f64 v[34:35], v[9:10], v[24:25], v[7:8]
	global_load_dwordx4 v[7:10], v[38:39], off offset:224
	global_load_dwordx4 v[30:33], v[38:39], off offset:240
	s_waitcnt vmcnt(1)
	v_fma_f64 v[7:8], v[7:8], v[22:23], v[36:37]
	v_fma_f64 v[7:8], v[9:10], v[24:25], v[7:8]
	;; [unrolled: 1-line block ×3, first 2 shown]
	s_waitcnt vmcnt(0)
	v_fma_f64 v[18:19], v[30:31], v[26:27], v[7:8]
	v_fma_f64 v[8:9], v[20:21], v[28:29], v[9:10]
	;; [unrolled: 1-line block ×3, first 2 shown]
	s_andn2_b64 exec, exec, s[0:1]
	s_cbranch_execnz .LBB146_15
; %bb.16:
	s_or_b64 exec, exec, s[0:1]
.LBB146_17:
	s_or_b64 exec, exec, s[6:7]
.LBB146_18:
	v_mov_b32_dpp v6, v8 row_shr:1 row_mask:0xf bank_mask:0xf
	v_mov_b32_dpp v7, v9 row_shr:1 row_mask:0xf bank_mask:0xf
	v_add_f64 v[6:7], v[8:9], v[6:7]
	v_mov_b32_dpp v8, v10 row_shr:1 row_mask:0xf bank_mask:0xf
	v_mov_b32_dpp v9, v11 row_shr:1 row_mask:0xf bank_mask:0xf
	v_add_f64 v[10:11], v[10:11], v[8:9]
	v_cmp_eq_u32_e32 vcc, 3, v0
	v_mov_b32_dpp v8, v6 row_shr:2 row_mask:0xf bank_mask:0xf
	v_mov_b32_dpp v9, v7 row_shr:2 row_mask:0xf bank_mask:0xf
	;; [unrolled: 1-line block ×4, first 2 shown]
	s_and_b64 exec, exec, vcc
	s_cbranch_execz .LBB146_23
; %bb.19:
	v_add_f64 v[8:9], v[6:7], v[8:9]
	v_add_f64 v[6:7], v[10:11], v[12:13]
	v_cmp_eq_f64_e32 vcc, 0, v[3:4]
	s_load_dwordx2 s[0:1], s[4:5], 0x38
	s_and_saveexec_b64 s[2:3], vcc
	s_xor_b64 s[2:3], exec, s[2:3]
	s_cbranch_execz .LBB146_21
; %bb.20:
	v_mul_f64 v[3:4], v[1:2], v[8:9]
	v_lshlrev_b32_e32 v0, 1, v5
	v_mul_f64 v[5:6], v[1:2], v[6:7]
	v_ashrrev_i32_e32 v1, 31, v0
	v_lshlrev_b64 v[0:1], 3, v[0:1]
	s_waitcnt lgkmcnt(0)
	v_mov_b32_e32 v2, s1
	v_add_co_u32_e32 v0, vcc, s0, v0
	v_addc_co_u32_e32 v1, vcc, v2, v1, vcc
	global_store_dwordx4 v[0:1], v[3:6], off
                                        ; implicit-def: $vgpr5
                                        ; implicit-def: $vgpr1_vgpr2
                                        ; implicit-def: $vgpr8_vgpr9
                                        ; implicit-def: $vgpr3_vgpr4
                                        ; implicit-def: $vgpr6_vgpr7
.LBB146_21:
	s_andn2_saveexec_b64 s[2:3], s[2:3]
	s_cbranch_execz .LBB146_23
; %bb.22:
	v_lshlrev_b32_e32 v10, 1, v5
	v_ashrrev_i32_e32 v11, 31, v10
	v_lshlrev_b64 v[10:11], 3, v[10:11]
	s_waitcnt lgkmcnt(0)
	v_mov_b32_e32 v0, s1
	v_add_co_u32_e32 v14, vcc, s0, v10
	v_addc_co_u32_e32 v15, vcc, v0, v11, vcc
	global_load_dwordx4 v[10:13], v[14:15], off
	v_mul_f64 v[8:9], v[1:2], v[8:9]
	v_mul_f64 v[5:6], v[1:2], v[6:7]
	s_waitcnt vmcnt(0)
	v_fma_f64 v[0:1], v[3:4], v[10:11], v[8:9]
	v_fma_f64 v[2:3], v[3:4], v[12:13], v[5:6]
	global_store_dwordx4 v[14:15], v[0:3], off
.LBB146_23:
	s_endpgm
	.section	.rodata,"a",@progbits
	.p2align	6, 0x0
	.amdhsa_kernel _ZN9rocsparseL19gebsrmvn_2xn_kernelILj128ELj16ELj4EdEEvi20rocsparse_direction_NS_24const_host_device_scalarIT2_EEPKiS6_PKS3_S8_S4_PS3_21rocsparse_index_base_b
		.amdhsa_group_segment_fixed_size 0
		.amdhsa_private_segment_fixed_size 0
		.amdhsa_kernarg_size 72
		.amdhsa_user_sgpr_count 6
		.amdhsa_user_sgpr_private_segment_buffer 1
		.amdhsa_user_sgpr_dispatch_ptr 0
		.amdhsa_user_sgpr_queue_ptr 0
		.amdhsa_user_sgpr_kernarg_segment_ptr 1
		.amdhsa_user_sgpr_dispatch_id 0
		.amdhsa_user_sgpr_flat_scratch_init 0
		.amdhsa_user_sgpr_private_segment_size 0
		.amdhsa_uses_dynamic_stack 0
		.amdhsa_system_sgpr_private_segment_wavefront_offset 0
		.amdhsa_system_sgpr_workgroup_id_x 1
		.amdhsa_system_sgpr_workgroup_id_y 0
		.amdhsa_system_sgpr_workgroup_id_z 0
		.amdhsa_system_sgpr_workgroup_info 0
		.amdhsa_system_vgpr_workitem_id 0
		.amdhsa_next_free_vgpr 53
		.amdhsa_next_free_sgpr 16
		.amdhsa_reserve_vcc 1
		.amdhsa_reserve_flat_scratch 0
		.amdhsa_float_round_mode_32 0
		.amdhsa_float_round_mode_16_64 0
		.amdhsa_float_denorm_mode_32 3
		.amdhsa_float_denorm_mode_16_64 3
		.amdhsa_dx10_clamp 1
		.amdhsa_ieee_mode 1
		.amdhsa_fp16_overflow 0
		.amdhsa_exception_fp_ieee_invalid_op 0
		.amdhsa_exception_fp_denorm_src 0
		.amdhsa_exception_fp_ieee_div_zero 0
		.amdhsa_exception_fp_ieee_overflow 0
		.amdhsa_exception_fp_ieee_underflow 0
		.amdhsa_exception_fp_ieee_inexact 0
		.amdhsa_exception_int_div_zero 0
	.end_amdhsa_kernel
	.section	.text._ZN9rocsparseL19gebsrmvn_2xn_kernelILj128ELj16ELj4EdEEvi20rocsparse_direction_NS_24const_host_device_scalarIT2_EEPKiS6_PKS3_S8_S4_PS3_21rocsparse_index_base_b,"axG",@progbits,_ZN9rocsparseL19gebsrmvn_2xn_kernelILj128ELj16ELj4EdEEvi20rocsparse_direction_NS_24const_host_device_scalarIT2_EEPKiS6_PKS3_S8_S4_PS3_21rocsparse_index_base_b,comdat
.Lfunc_end146:
	.size	_ZN9rocsparseL19gebsrmvn_2xn_kernelILj128ELj16ELj4EdEEvi20rocsparse_direction_NS_24const_host_device_scalarIT2_EEPKiS6_PKS3_S8_S4_PS3_21rocsparse_index_base_b, .Lfunc_end146-_ZN9rocsparseL19gebsrmvn_2xn_kernelILj128ELj16ELj4EdEEvi20rocsparse_direction_NS_24const_host_device_scalarIT2_EEPKiS6_PKS3_S8_S4_PS3_21rocsparse_index_base_b
                                        ; -- End function
	.set _ZN9rocsparseL19gebsrmvn_2xn_kernelILj128ELj16ELj4EdEEvi20rocsparse_direction_NS_24const_host_device_scalarIT2_EEPKiS6_PKS3_S8_S4_PS3_21rocsparse_index_base_b.num_vgpr, 53
	.set _ZN9rocsparseL19gebsrmvn_2xn_kernelILj128ELj16ELj4EdEEvi20rocsparse_direction_NS_24const_host_device_scalarIT2_EEPKiS6_PKS3_S8_S4_PS3_21rocsparse_index_base_b.num_agpr, 0
	.set _ZN9rocsparseL19gebsrmvn_2xn_kernelILj128ELj16ELj4EdEEvi20rocsparse_direction_NS_24const_host_device_scalarIT2_EEPKiS6_PKS3_S8_S4_PS3_21rocsparse_index_base_b.numbered_sgpr, 16
	.set _ZN9rocsparseL19gebsrmvn_2xn_kernelILj128ELj16ELj4EdEEvi20rocsparse_direction_NS_24const_host_device_scalarIT2_EEPKiS6_PKS3_S8_S4_PS3_21rocsparse_index_base_b.num_named_barrier, 0
	.set _ZN9rocsparseL19gebsrmvn_2xn_kernelILj128ELj16ELj4EdEEvi20rocsparse_direction_NS_24const_host_device_scalarIT2_EEPKiS6_PKS3_S8_S4_PS3_21rocsparse_index_base_b.private_seg_size, 0
	.set _ZN9rocsparseL19gebsrmvn_2xn_kernelILj128ELj16ELj4EdEEvi20rocsparse_direction_NS_24const_host_device_scalarIT2_EEPKiS6_PKS3_S8_S4_PS3_21rocsparse_index_base_b.uses_vcc, 1
	.set _ZN9rocsparseL19gebsrmvn_2xn_kernelILj128ELj16ELj4EdEEvi20rocsparse_direction_NS_24const_host_device_scalarIT2_EEPKiS6_PKS3_S8_S4_PS3_21rocsparse_index_base_b.uses_flat_scratch, 0
	.set _ZN9rocsparseL19gebsrmvn_2xn_kernelILj128ELj16ELj4EdEEvi20rocsparse_direction_NS_24const_host_device_scalarIT2_EEPKiS6_PKS3_S8_S4_PS3_21rocsparse_index_base_b.has_dyn_sized_stack, 0
	.set _ZN9rocsparseL19gebsrmvn_2xn_kernelILj128ELj16ELj4EdEEvi20rocsparse_direction_NS_24const_host_device_scalarIT2_EEPKiS6_PKS3_S8_S4_PS3_21rocsparse_index_base_b.has_recursion, 0
	.set _ZN9rocsparseL19gebsrmvn_2xn_kernelILj128ELj16ELj4EdEEvi20rocsparse_direction_NS_24const_host_device_scalarIT2_EEPKiS6_PKS3_S8_S4_PS3_21rocsparse_index_base_b.has_indirect_call, 0
	.section	.AMDGPU.csdata,"",@progbits
; Kernel info:
; codeLenInByte = 1888
; TotalNumSgprs: 20
; NumVgprs: 53
; ScratchSize: 0
; MemoryBound: 1
; FloatMode: 240
; IeeeMode: 1
; LDSByteSize: 0 bytes/workgroup (compile time only)
; SGPRBlocks: 2
; VGPRBlocks: 13
; NumSGPRsForWavesPerEU: 20
; NumVGPRsForWavesPerEU: 53
; Occupancy: 4
; WaveLimiterHint : 1
; COMPUTE_PGM_RSRC2:SCRATCH_EN: 0
; COMPUTE_PGM_RSRC2:USER_SGPR: 6
; COMPUTE_PGM_RSRC2:TRAP_HANDLER: 0
; COMPUTE_PGM_RSRC2:TGID_X_EN: 1
; COMPUTE_PGM_RSRC2:TGID_Y_EN: 0
; COMPUTE_PGM_RSRC2:TGID_Z_EN: 0
; COMPUTE_PGM_RSRC2:TIDIG_COMP_CNT: 0
	.section	.text._ZN9rocsparseL19gebsrmvn_2xn_kernelILj128ELj16ELj8EdEEvi20rocsparse_direction_NS_24const_host_device_scalarIT2_EEPKiS6_PKS3_S8_S4_PS3_21rocsparse_index_base_b,"axG",@progbits,_ZN9rocsparseL19gebsrmvn_2xn_kernelILj128ELj16ELj8EdEEvi20rocsparse_direction_NS_24const_host_device_scalarIT2_EEPKiS6_PKS3_S8_S4_PS3_21rocsparse_index_base_b,comdat
	.globl	_ZN9rocsparseL19gebsrmvn_2xn_kernelILj128ELj16ELj8EdEEvi20rocsparse_direction_NS_24const_host_device_scalarIT2_EEPKiS6_PKS3_S8_S4_PS3_21rocsparse_index_base_b ; -- Begin function _ZN9rocsparseL19gebsrmvn_2xn_kernelILj128ELj16ELj8EdEEvi20rocsparse_direction_NS_24const_host_device_scalarIT2_EEPKiS6_PKS3_S8_S4_PS3_21rocsparse_index_base_b
	.p2align	8
	.type	_ZN9rocsparseL19gebsrmvn_2xn_kernelILj128ELj16ELj8EdEEvi20rocsparse_direction_NS_24const_host_device_scalarIT2_EEPKiS6_PKS3_S8_S4_PS3_21rocsparse_index_base_b,@function
_ZN9rocsparseL19gebsrmvn_2xn_kernelILj128ELj16ELj8EdEEvi20rocsparse_direction_NS_24const_host_device_scalarIT2_EEPKiS6_PKS3_S8_S4_PS3_21rocsparse_index_base_b: ; @_ZN9rocsparseL19gebsrmvn_2xn_kernelILj128ELj16ELj8EdEEvi20rocsparse_direction_NS_24const_host_device_scalarIT2_EEPKiS6_PKS3_S8_S4_PS3_21rocsparse_index_base_b
; %bb.0:
	s_load_dwordx2 s[2:3], s[4:5], 0x40
	s_load_dwordx2 s[10:11], s[4:5], 0x8
	;; [unrolled: 1-line block ×3, first 2 shown]
	s_waitcnt lgkmcnt(0)
	s_bitcmp1_b32 s3, 0
	s_cselect_b64 s[12:13], -1, 0
	v_mov_b32_e32 v1, s10
	s_xor_b64 s[8:9], s[12:13], -1
	s_and_b64 vcc, exec, s[12:13]
	v_mov_b32_e32 v2, s11
	s_cbranch_vccnz .LBB147_2
; %bb.1:
	v_mov_b32_e32 v1, s10
	v_mov_b32_e32 v2, s11
	flat_load_dwordx2 v[1:2], v[1:2]
.LBB147_2:
	v_mov_b32_e32 v4, s1
	s_andn2_b64 vcc, exec, s[8:9]
	v_mov_b32_e32 v3, s0
	s_cbranch_vccnz .LBB147_4
; %bb.3:
	v_mov_b32_e32 v4, s1
	v_mov_b32_e32 v3, s0
	flat_load_dwordx2 v[3:4], v[3:4]
.LBB147_4:
	s_waitcnt vmcnt(0) lgkmcnt(0)
	v_cmp_neq_f64_e32 vcc, 0, v[1:2]
	v_cmp_neq_f64_e64 s[0:1], 1.0, v[3:4]
	s_or_b64 s[0:1], vcc, s[0:1]
	s_and_saveexec_b64 s[8:9], s[0:1]
	s_cbranch_execz .LBB147_23
; %bb.5:
	s_load_dwordx2 s[0:1], s[4:5], 0x0
	v_lshrrev_b32_e32 v5, 3, v0
	v_lshl_or_b32 v5, s6, 4, v5
	s_waitcnt lgkmcnt(0)
	v_cmp_gt_i32_e32 vcc, s0, v5
	s_and_b64 exec, exec, vcc
	s_cbranch_execz .LBB147_23
; %bb.6:
	s_load_dwordx8 s[8:15], s[4:5], 0x10
	v_ashrrev_i32_e32 v6, 31, v5
	v_lshlrev_b64 v[6:7], 2, v[5:6]
	v_and_b32_e32 v0, 7, v0
	s_cmp_lg_u32 s1, 0
	s_waitcnt lgkmcnt(0)
	v_mov_b32_e32 v8, s9
	v_add_co_u32_e32 v6, vcc, s8, v6
	v_addc_co_u32_e32 v7, vcc, v8, v7, vcc
	global_load_dwordx2 v[6:7], v[6:7], off
	s_waitcnt vmcnt(0)
	v_subrev_u32_e32 v6, s2, v6
	v_subrev_u32_e32 v16, s2, v7
	v_add_u32_e32 v6, v6, v0
	v_cmp_lt_i32_e64 s[0:1], v6, v16
	s_cbranch_scc0 .LBB147_12
; %bb.7:
	v_mov_b32_e32 v8, 0
	v_mov_b32_e32 v10, 0
	;; [unrolled: 1-line block ×4, first 2 shown]
	s_and_saveexec_b64 s[6:7], s[0:1]
	s_cbranch_execz .LBB147_11
; %bb.8:
	v_mov_b32_e32 v8, 0
	v_mov_b32_e32 v10, 0
	v_lshlrev_b32_e32 v12, 5, v6
	v_mov_b32_e32 v9, 0
	s_mov_b64 s[8:9], 0
	v_mov_b32_e32 v7, s11
	v_mov_b32_e32 v13, 0
	;; [unrolled: 1-line block ×6, first 2 shown]
.LBB147_9:                              ; =>This Inner Loop Header: Depth=1
	v_lshlrev_b64 v[19:20], 3, v[12:13]
	v_ashrrev_i32_e32 v15, 31, v14
	v_lshlrev_b64 v[21:22], 2, v[14:15]
	v_add_co_u32_e32 v47, vcc, s12, v19
	v_addc_co_u32_e32 v48, vcc, v17, v20, vcc
	v_add_co_u32_e32 v41, vcc, s10, v21
	v_addc_co_u32_e32 v42, vcc, v7, v22, vcc
	global_load_dwordx4 v[19:22], v[47:48], off
	global_load_dwordx4 v[23:26], v[47:48], off offset:16
	global_load_dwordx4 v[27:30], v[47:48], off offset:32
	;; [unrolled: 1-line block ×4, first 2 shown]
	global_load_dword v15, v[41:42], off
	v_mov_b32_e32 v40, v13
	v_add_u32_e32 v14, 8, v14
	v_add_u32_e32 v12, 0x100, v12
	s_waitcnt vmcnt(0)
	v_subrev_u32_e32 v15, s2, v15
	v_lshlrev_b32_e32 v39, 4, v15
	v_lshlrev_b64 v[39:40], 3, v[39:40]
	v_add_co_u32_e32 v49, vcc, s14, v39
	v_addc_co_u32_e32 v50, vcc, v18, v40, vcc
	global_load_dwordx4 v[39:42], v[49:50], off
	global_load_dwordx4 v[43:46], v[49:50], off offset:16
	v_cmp_ge_i32_e32 vcc, v14, v16
	s_or_b64 s[8:9], vcc, s[8:9]
	s_waitcnt vmcnt(1)
	v_fma_f64 v[19:20], v[19:20], v[39:40], v[8:9]
	v_fma_f64 v[21:22], v[21:22], v[39:40], v[10:11]
	global_load_dwordx4 v[8:11], v[47:48], off offset:80
	v_fma_f64 v[39:40], v[23:24], v[41:42], v[19:20]
	v_fma_f64 v[41:42], v[25:26], v[41:42], v[21:22]
	global_load_dwordx4 v[19:22], v[47:48], off offset:96
	global_load_dwordx4 v[23:26], v[47:48], off offset:112
	s_waitcnt vmcnt(3)
	v_fma_f64 v[39:40], v[27:28], v[43:44], v[39:40]
	v_fma_f64 v[41:42], v[29:30], v[43:44], v[41:42]
	global_load_dwordx4 v[27:30], v[47:48], off offset:128
	v_fma_f64 v[43:44], v[31:32], v[45:46], v[39:40]
	v_fma_f64 v[45:46], v[33:34], v[45:46], v[41:42]
	global_load_dwordx4 v[31:34], v[49:50], off offset:32
	global_load_dwordx4 v[39:42], v[49:50], off offset:48
	;; [unrolled: 8-line block ×5, first 2 shown]
	s_waitcnt vmcnt(5)
	v_fma_f64 v[51:52], v[8:9], v[19:20], v[43:44]
	v_fma_f64 v[19:20], v[10:11], v[19:20], v[45:46]
	global_load_dwordx4 v[8:11], v[49:50], off offset:112
	global_load_dwordx4 v[43:46], v[47:48], off offset:240
	s_waitcnt vmcnt(6)
	v_fma_f64 v[23:24], v[23:24], v[21:22], v[51:52]
	v_fma_f64 v[19:20], v[25:26], v[21:22], v[19:20]
	s_waitcnt vmcnt(4)
	v_fma_f64 v[21:22], v[39:40], v[27:28], v[23:24]
	v_fma_f64 v[19:20], v[41:42], v[27:28], v[19:20]
	;; [unrolled: 3-line block ×5, first 2 shown]
	s_andn2_b64 exec, exec, s[8:9]
	s_cbranch_execnz .LBB147_9
; %bb.10:
	s_or_b64 exec, exec, s[8:9]
.LBB147_11:
	s_or_b64 exec, exec, s[6:7]
	s_cbranch_execz .LBB147_13
	s_branch .LBB147_18
.LBB147_12:
                                        ; implicit-def: $vgpr8_vgpr9
                                        ; implicit-def: $vgpr10_vgpr11
.LBB147_13:
	v_mov_b32_e32 v8, 0
	v_mov_b32_e32 v10, 0
	;; [unrolled: 1-line block ×4, first 2 shown]
	s_and_saveexec_b64 s[6:7], s[0:1]
	s_cbranch_execz .LBB147_17
; %bb.14:
	v_mov_b32_e32 v8, 0
	v_mov_b32_e32 v10, 0
	v_lshlrev_b32_e32 v12, 5, v6
	v_mov_b32_e32 v9, 0
	s_mov_b64 s[0:1], 0
	v_mov_b32_e32 v14, s11
	v_mov_b32_e32 v13, 0
	;; [unrolled: 1-line block ×5, first 2 shown]
.LBB147_15:                             ; =>This Inner Loop Header: Depth=1
	v_lshlrev_b64 v[18:19], 3, v[12:13]
	v_ashrrev_i32_e32 v7, 31, v6
	v_lshlrev_b64 v[20:21], 2, v[6:7]
	v_add_co_u32_e32 v38, vcc, s12, v18
	v_addc_co_u32_e32 v39, vcc, v15, v19, vcc
	v_add_co_u32_e32 v28, vcc, s10, v20
	v_addc_co_u32_e32 v29, vcc, v14, v21, vcc
	global_load_dwordx4 v[18:21], v[38:39], off
	global_load_dwordx4 v[22:25], v[38:39], off offset:16
	global_load_dword v7, v[28:29], off
	v_mov_b32_e32 v27, v13
	v_add_u32_e32 v6, 8, v6
	v_add_u32_e32 v12, 0x100, v12
	s_waitcnt vmcnt(0)
	v_subrev_u32_e32 v7, s2, v7
	v_lshlrev_b32_e32 v26, 4, v7
	v_lshlrev_b64 v[26:27], 3, v[26:27]
	v_add_co_u32_e32 v40, vcc, s14, v26
	v_addc_co_u32_e32 v41, vcc, v17, v27, vcc
	global_load_dwordx4 v[26:29], v[40:41], off
	global_load_dwordx4 v[30:33], v[40:41], off offset:16
	v_cmp_ge_i32_e32 vcc, v6, v16
	s_or_b64 s[0:1], vcc, s[0:1]
	s_waitcnt vmcnt(1)
	v_fma_f64 v[7:8], v[18:19], v[26:27], v[8:9]
	v_fma_f64 v[7:8], v[20:21], v[28:29], v[7:8]
	global_load_dwordx4 v[18:21], v[38:39], off offset:128
	global_load_dwordx4 v[34:37], v[38:39], off offset:144
	s_waitcnt vmcnt(2)
	v_fma_f64 v[7:8], v[22:23], v[30:31], v[7:8]
	v_fma_f64 v[42:43], v[24:25], v[32:33], v[7:8]
	s_waitcnt vmcnt(1)
	v_fma_f64 v[9:10], v[18:19], v[26:27], v[10:11]
	v_fma_f64 v[18:19], v[20:21], v[28:29], v[9:10]
	global_load_dwordx4 v[7:10], v[38:39], off offset:32
	s_waitcnt vmcnt(1)
	v_fma_f64 v[18:19], v[34:35], v[30:31], v[18:19]
	v_fma_f64 v[34:35], v[36:37], v[32:33], v[18:19]
	global_load_dwordx4 v[18:21], v[38:39], off offset:48
	global_load_dwordx4 v[22:25], v[40:41], off offset:32
	;; [unrolled: 1-line block ×3, first 2 shown]
	s_waitcnt vmcnt(1)
	v_fma_f64 v[7:8], v[7:8], v[22:23], v[42:43]
	v_fma_f64 v[36:37], v[9:10], v[24:25], v[7:8]
	global_load_dwordx4 v[7:10], v[38:39], off offset:160
	global_load_dwordx4 v[30:33], v[38:39], off offset:176
	s_waitcnt vmcnt(1)
	v_fma_f64 v[7:8], v[7:8], v[22:23], v[34:35]
	v_fma_f64 v[22:23], v[9:10], v[24:25], v[7:8]
	;; [unrolled: 1-line block ×3, first 2 shown]
	s_waitcnt vmcnt(0)
	v_fma_f64 v[18:19], v[30:31], v[26:27], v[22:23]
	v_fma_f64 v[34:35], v[20:21], v[28:29], v[7:8]
	global_load_dwordx4 v[7:10], v[38:39], off offset:64
	v_fma_f64 v[36:37], v[32:33], v[28:29], v[18:19]
	global_load_dwordx4 v[18:21], v[38:39], off offset:80
	global_load_dwordx4 v[22:25], v[40:41], off offset:64
	;; [unrolled: 1-line block ×3, first 2 shown]
	s_waitcnt vmcnt(1)
	v_fma_f64 v[7:8], v[7:8], v[22:23], v[34:35]
	v_fma_f64 v[34:35], v[9:10], v[24:25], v[7:8]
	global_load_dwordx4 v[7:10], v[38:39], off offset:192
	global_load_dwordx4 v[30:33], v[38:39], off offset:208
	s_waitcnt vmcnt(1)
	v_fma_f64 v[7:8], v[7:8], v[22:23], v[36:37]
	v_fma_f64 v[22:23], v[9:10], v[24:25], v[7:8]
	;; [unrolled: 1-line block ×3, first 2 shown]
	s_waitcnt vmcnt(0)
	v_fma_f64 v[18:19], v[30:31], v[26:27], v[22:23]
	v_fma_f64 v[34:35], v[20:21], v[28:29], v[7:8]
	global_load_dwordx4 v[7:10], v[38:39], off offset:96
	v_fma_f64 v[36:37], v[32:33], v[28:29], v[18:19]
	global_load_dwordx4 v[18:21], v[38:39], off offset:112
	global_load_dwordx4 v[22:25], v[40:41], off offset:96
	;; [unrolled: 1-line block ×3, first 2 shown]
	s_waitcnt vmcnt(1)
	v_fma_f64 v[7:8], v[7:8], v[22:23], v[34:35]
	v_fma_f64 v[34:35], v[9:10], v[24:25], v[7:8]
	global_load_dwordx4 v[7:10], v[38:39], off offset:224
	global_load_dwordx4 v[30:33], v[38:39], off offset:240
	s_waitcnt vmcnt(1)
	v_fma_f64 v[7:8], v[7:8], v[22:23], v[36:37]
	v_fma_f64 v[7:8], v[9:10], v[24:25], v[7:8]
	;; [unrolled: 1-line block ×3, first 2 shown]
	s_waitcnt vmcnt(0)
	v_fma_f64 v[18:19], v[30:31], v[26:27], v[7:8]
	v_fma_f64 v[8:9], v[20:21], v[28:29], v[9:10]
	;; [unrolled: 1-line block ×3, first 2 shown]
	s_andn2_b64 exec, exec, s[0:1]
	s_cbranch_execnz .LBB147_15
; %bb.16:
	s_or_b64 exec, exec, s[0:1]
.LBB147_17:
	s_or_b64 exec, exec, s[6:7]
.LBB147_18:
	v_mov_b32_dpp v6, v8 row_shr:1 row_mask:0xf bank_mask:0xf
	v_mov_b32_dpp v7, v9 row_shr:1 row_mask:0xf bank_mask:0xf
	v_add_f64 v[6:7], v[8:9], v[6:7]
	v_mov_b32_dpp v8, v10 row_shr:1 row_mask:0xf bank_mask:0xf
	v_mov_b32_dpp v9, v11 row_shr:1 row_mask:0xf bank_mask:0xf
	v_add_f64 v[8:9], v[10:11], v[8:9]
	v_cmp_eq_u32_e32 vcc, 7, v0
	v_mov_b32_dpp v10, v6 row_shr:2 row_mask:0xf bank_mask:0xf
	v_mov_b32_dpp v11, v7 row_shr:2 row_mask:0xf bank_mask:0xf
	v_add_f64 v[6:7], v[6:7], v[10:11]
	v_mov_b32_dpp v12, v8 row_shr:2 row_mask:0xf bank_mask:0xf
	v_mov_b32_dpp v13, v9 row_shr:2 row_mask:0xf bank_mask:0xf
	v_add_f64 v[10:11], v[8:9], v[12:13]
	v_mov_b32_dpp v8, v6 row_shr:4 row_mask:0xf bank_mask:0xe
	v_mov_b32_dpp v9, v7 row_shr:4 row_mask:0xf bank_mask:0xe
	;; [unrolled: 1-line block ×4, first 2 shown]
	s_and_b64 exec, exec, vcc
	s_cbranch_execz .LBB147_23
; %bb.19:
	v_add_f64 v[8:9], v[6:7], v[8:9]
	v_add_f64 v[6:7], v[10:11], v[12:13]
	v_cmp_eq_f64_e32 vcc, 0, v[3:4]
	s_load_dwordx2 s[0:1], s[4:5], 0x38
	s_and_saveexec_b64 s[2:3], vcc
	s_xor_b64 s[2:3], exec, s[2:3]
	s_cbranch_execz .LBB147_21
; %bb.20:
	v_mul_f64 v[3:4], v[1:2], v[8:9]
	v_lshlrev_b32_e32 v0, 1, v5
	v_mul_f64 v[5:6], v[1:2], v[6:7]
	v_ashrrev_i32_e32 v1, 31, v0
	v_lshlrev_b64 v[0:1], 3, v[0:1]
	s_waitcnt lgkmcnt(0)
	v_mov_b32_e32 v2, s1
	v_add_co_u32_e32 v0, vcc, s0, v0
	v_addc_co_u32_e32 v1, vcc, v2, v1, vcc
	global_store_dwordx4 v[0:1], v[3:6], off
                                        ; implicit-def: $vgpr5
                                        ; implicit-def: $vgpr1_vgpr2
                                        ; implicit-def: $vgpr8_vgpr9
                                        ; implicit-def: $vgpr3_vgpr4
                                        ; implicit-def: $vgpr6_vgpr7
.LBB147_21:
	s_andn2_saveexec_b64 s[2:3], s[2:3]
	s_cbranch_execz .LBB147_23
; %bb.22:
	v_lshlrev_b32_e32 v10, 1, v5
	v_ashrrev_i32_e32 v11, 31, v10
	v_lshlrev_b64 v[10:11], 3, v[10:11]
	s_waitcnt lgkmcnt(0)
	v_mov_b32_e32 v0, s1
	v_add_co_u32_e32 v14, vcc, s0, v10
	v_addc_co_u32_e32 v15, vcc, v0, v11, vcc
	global_load_dwordx4 v[10:13], v[14:15], off
	v_mul_f64 v[8:9], v[1:2], v[8:9]
	v_mul_f64 v[5:6], v[1:2], v[6:7]
	s_waitcnt vmcnt(0)
	v_fma_f64 v[0:1], v[3:4], v[10:11], v[8:9]
	v_fma_f64 v[2:3], v[3:4], v[12:13], v[5:6]
	global_store_dwordx4 v[14:15], v[0:3], off
.LBB147_23:
	s_endpgm
	.section	.rodata,"a",@progbits
	.p2align	6, 0x0
	.amdhsa_kernel _ZN9rocsparseL19gebsrmvn_2xn_kernelILj128ELj16ELj8EdEEvi20rocsparse_direction_NS_24const_host_device_scalarIT2_EEPKiS6_PKS3_S8_S4_PS3_21rocsparse_index_base_b
		.amdhsa_group_segment_fixed_size 0
		.amdhsa_private_segment_fixed_size 0
		.amdhsa_kernarg_size 72
		.amdhsa_user_sgpr_count 6
		.amdhsa_user_sgpr_private_segment_buffer 1
		.amdhsa_user_sgpr_dispatch_ptr 0
		.amdhsa_user_sgpr_queue_ptr 0
		.amdhsa_user_sgpr_kernarg_segment_ptr 1
		.amdhsa_user_sgpr_dispatch_id 0
		.amdhsa_user_sgpr_flat_scratch_init 0
		.amdhsa_user_sgpr_private_segment_size 0
		.amdhsa_uses_dynamic_stack 0
		.amdhsa_system_sgpr_private_segment_wavefront_offset 0
		.amdhsa_system_sgpr_workgroup_id_x 1
		.amdhsa_system_sgpr_workgroup_id_y 0
		.amdhsa_system_sgpr_workgroup_id_z 0
		.amdhsa_system_sgpr_workgroup_info 0
		.amdhsa_system_vgpr_workitem_id 0
		.amdhsa_next_free_vgpr 53
		.amdhsa_next_free_sgpr 16
		.amdhsa_reserve_vcc 1
		.amdhsa_reserve_flat_scratch 0
		.amdhsa_float_round_mode_32 0
		.amdhsa_float_round_mode_16_64 0
		.amdhsa_float_denorm_mode_32 3
		.amdhsa_float_denorm_mode_16_64 3
		.amdhsa_dx10_clamp 1
		.amdhsa_ieee_mode 1
		.amdhsa_fp16_overflow 0
		.amdhsa_exception_fp_ieee_invalid_op 0
		.amdhsa_exception_fp_denorm_src 0
		.amdhsa_exception_fp_ieee_div_zero 0
		.amdhsa_exception_fp_ieee_overflow 0
		.amdhsa_exception_fp_ieee_underflow 0
		.amdhsa_exception_fp_ieee_inexact 0
		.amdhsa_exception_int_div_zero 0
	.end_amdhsa_kernel
	.section	.text._ZN9rocsparseL19gebsrmvn_2xn_kernelILj128ELj16ELj8EdEEvi20rocsparse_direction_NS_24const_host_device_scalarIT2_EEPKiS6_PKS3_S8_S4_PS3_21rocsparse_index_base_b,"axG",@progbits,_ZN9rocsparseL19gebsrmvn_2xn_kernelILj128ELj16ELj8EdEEvi20rocsparse_direction_NS_24const_host_device_scalarIT2_EEPKiS6_PKS3_S8_S4_PS3_21rocsparse_index_base_b,comdat
.Lfunc_end147:
	.size	_ZN9rocsparseL19gebsrmvn_2xn_kernelILj128ELj16ELj8EdEEvi20rocsparse_direction_NS_24const_host_device_scalarIT2_EEPKiS6_PKS3_S8_S4_PS3_21rocsparse_index_base_b, .Lfunc_end147-_ZN9rocsparseL19gebsrmvn_2xn_kernelILj128ELj16ELj8EdEEvi20rocsparse_direction_NS_24const_host_device_scalarIT2_EEPKiS6_PKS3_S8_S4_PS3_21rocsparse_index_base_b
                                        ; -- End function
	.set _ZN9rocsparseL19gebsrmvn_2xn_kernelILj128ELj16ELj8EdEEvi20rocsparse_direction_NS_24const_host_device_scalarIT2_EEPKiS6_PKS3_S8_S4_PS3_21rocsparse_index_base_b.num_vgpr, 53
	.set _ZN9rocsparseL19gebsrmvn_2xn_kernelILj128ELj16ELj8EdEEvi20rocsparse_direction_NS_24const_host_device_scalarIT2_EEPKiS6_PKS3_S8_S4_PS3_21rocsparse_index_base_b.num_agpr, 0
	.set _ZN9rocsparseL19gebsrmvn_2xn_kernelILj128ELj16ELj8EdEEvi20rocsparse_direction_NS_24const_host_device_scalarIT2_EEPKiS6_PKS3_S8_S4_PS3_21rocsparse_index_base_b.numbered_sgpr, 16
	.set _ZN9rocsparseL19gebsrmvn_2xn_kernelILj128ELj16ELj8EdEEvi20rocsparse_direction_NS_24const_host_device_scalarIT2_EEPKiS6_PKS3_S8_S4_PS3_21rocsparse_index_base_b.num_named_barrier, 0
	.set _ZN9rocsparseL19gebsrmvn_2xn_kernelILj128ELj16ELj8EdEEvi20rocsparse_direction_NS_24const_host_device_scalarIT2_EEPKiS6_PKS3_S8_S4_PS3_21rocsparse_index_base_b.private_seg_size, 0
	.set _ZN9rocsparseL19gebsrmvn_2xn_kernelILj128ELj16ELj8EdEEvi20rocsparse_direction_NS_24const_host_device_scalarIT2_EEPKiS6_PKS3_S8_S4_PS3_21rocsparse_index_base_b.uses_vcc, 1
	.set _ZN9rocsparseL19gebsrmvn_2xn_kernelILj128ELj16ELj8EdEEvi20rocsparse_direction_NS_24const_host_device_scalarIT2_EEPKiS6_PKS3_S8_S4_PS3_21rocsparse_index_base_b.uses_flat_scratch, 0
	.set _ZN9rocsparseL19gebsrmvn_2xn_kernelILj128ELj16ELj8EdEEvi20rocsparse_direction_NS_24const_host_device_scalarIT2_EEPKiS6_PKS3_S8_S4_PS3_21rocsparse_index_base_b.has_dyn_sized_stack, 0
	.set _ZN9rocsparseL19gebsrmvn_2xn_kernelILj128ELj16ELj8EdEEvi20rocsparse_direction_NS_24const_host_device_scalarIT2_EEPKiS6_PKS3_S8_S4_PS3_21rocsparse_index_base_b.has_recursion, 0
	.set _ZN9rocsparseL19gebsrmvn_2xn_kernelILj128ELj16ELj8EdEEvi20rocsparse_direction_NS_24const_host_device_scalarIT2_EEPKiS6_PKS3_S8_S4_PS3_21rocsparse_index_base_b.has_indirect_call, 0
	.section	.AMDGPU.csdata,"",@progbits
; Kernel info:
; codeLenInByte = 1936
; TotalNumSgprs: 20
; NumVgprs: 53
; ScratchSize: 0
; MemoryBound: 1
; FloatMode: 240
; IeeeMode: 1
; LDSByteSize: 0 bytes/workgroup (compile time only)
; SGPRBlocks: 2
; VGPRBlocks: 13
; NumSGPRsForWavesPerEU: 20
; NumVGPRsForWavesPerEU: 53
; Occupancy: 4
; WaveLimiterHint : 1
; COMPUTE_PGM_RSRC2:SCRATCH_EN: 0
; COMPUTE_PGM_RSRC2:USER_SGPR: 6
; COMPUTE_PGM_RSRC2:TRAP_HANDLER: 0
; COMPUTE_PGM_RSRC2:TGID_X_EN: 1
; COMPUTE_PGM_RSRC2:TGID_Y_EN: 0
; COMPUTE_PGM_RSRC2:TGID_Z_EN: 0
; COMPUTE_PGM_RSRC2:TIDIG_COMP_CNT: 0
	.section	.text._ZN9rocsparseL19gebsrmvn_2xn_kernelILj128ELj16ELj16EdEEvi20rocsparse_direction_NS_24const_host_device_scalarIT2_EEPKiS6_PKS3_S8_S4_PS3_21rocsparse_index_base_b,"axG",@progbits,_ZN9rocsparseL19gebsrmvn_2xn_kernelILj128ELj16ELj16EdEEvi20rocsparse_direction_NS_24const_host_device_scalarIT2_EEPKiS6_PKS3_S8_S4_PS3_21rocsparse_index_base_b,comdat
	.globl	_ZN9rocsparseL19gebsrmvn_2xn_kernelILj128ELj16ELj16EdEEvi20rocsparse_direction_NS_24const_host_device_scalarIT2_EEPKiS6_PKS3_S8_S4_PS3_21rocsparse_index_base_b ; -- Begin function _ZN9rocsparseL19gebsrmvn_2xn_kernelILj128ELj16ELj16EdEEvi20rocsparse_direction_NS_24const_host_device_scalarIT2_EEPKiS6_PKS3_S8_S4_PS3_21rocsparse_index_base_b
	.p2align	8
	.type	_ZN9rocsparseL19gebsrmvn_2xn_kernelILj128ELj16ELj16EdEEvi20rocsparse_direction_NS_24const_host_device_scalarIT2_EEPKiS6_PKS3_S8_S4_PS3_21rocsparse_index_base_b,@function
_ZN9rocsparseL19gebsrmvn_2xn_kernelILj128ELj16ELj16EdEEvi20rocsparse_direction_NS_24const_host_device_scalarIT2_EEPKiS6_PKS3_S8_S4_PS3_21rocsparse_index_base_b: ; @_ZN9rocsparseL19gebsrmvn_2xn_kernelILj128ELj16ELj16EdEEvi20rocsparse_direction_NS_24const_host_device_scalarIT2_EEPKiS6_PKS3_S8_S4_PS3_21rocsparse_index_base_b
; %bb.0:
	s_load_dwordx2 s[2:3], s[4:5], 0x40
	s_load_dwordx2 s[10:11], s[4:5], 0x8
	;; [unrolled: 1-line block ×3, first 2 shown]
	s_waitcnt lgkmcnt(0)
	s_bitcmp1_b32 s3, 0
	s_cselect_b64 s[12:13], -1, 0
	v_mov_b32_e32 v1, s10
	s_xor_b64 s[8:9], s[12:13], -1
	s_and_b64 vcc, exec, s[12:13]
	v_mov_b32_e32 v2, s11
	s_cbranch_vccnz .LBB148_2
; %bb.1:
	v_mov_b32_e32 v1, s10
	v_mov_b32_e32 v2, s11
	flat_load_dwordx2 v[1:2], v[1:2]
.LBB148_2:
	v_mov_b32_e32 v4, s1
	s_andn2_b64 vcc, exec, s[8:9]
	v_mov_b32_e32 v3, s0
	s_cbranch_vccnz .LBB148_4
; %bb.3:
	v_mov_b32_e32 v4, s1
	v_mov_b32_e32 v3, s0
	flat_load_dwordx2 v[3:4], v[3:4]
.LBB148_4:
	s_waitcnt vmcnt(0) lgkmcnt(0)
	v_cmp_neq_f64_e32 vcc, 0, v[1:2]
	v_cmp_neq_f64_e64 s[0:1], 1.0, v[3:4]
	s_or_b64 s[0:1], vcc, s[0:1]
	s_and_saveexec_b64 s[8:9], s[0:1]
	s_cbranch_execz .LBB148_23
; %bb.5:
	s_load_dwordx2 s[0:1], s[4:5], 0x0
	v_lshrrev_b32_e32 v5, 4, v0
	v_lshl_or_b32 v5, s6, 3, v5
	s_waitcnt lgkmcnt(0)
	v_cmp_gt_i32_e32 vcc, s0, v5
	s_and_b64 exec, exec, vcc
	s_cbranch_execz .LBB148_23
; %bb.6:
	s_load_dwordx8 s[8:15], s[4:5], 0x10
	v_ashrrev_i32_e32 v6, 31, v5
	v_lshlrev_b64 v[6:7], 2, v[5:6]
	v_and_b32_e32 v0, 15, v0
	s_cmp_lg_u32 s1, 0
	s_waitcnt lgkmcnt(0)
	v_mov_b32_e32 v8, s9
	v_add_co_u32_e32 v6, vcc, s8, v6
	v_addc_co_u32_e32 v7, vcc, v8, v7, vcc
	global_load_dwordx2 v[6:7], v[6:7], off
	s_waitcnt vmcnt(0)
	v_subrev_u32_e32 v6, s2, v6
	v_subrev_u32_e32 v16, s2, v7
	v_add_u32_e32 v6, v6, v0
	v_cmp_lt_i32_e64 s[0:1], v6, v16
	s_cbranch_scc0 .LBB148_12
; %bb.7:
	v_mov_b32_e32 v8, 0
	v_mov_b32_e32 v10, 0
	v_mov_b32_e32 v9, 0
	v_mov_b32_e32 v11, 0
	s_and_saveexec_b64 s[6:7], s[0:1]
	s_cbranch_execz .LBB148_11
; %bb.8:
	v_mov_b32_e32 v8, 0
	v_mov_b32_e32 v10, 0
	v_lshlrev_b32_e32 v12, 5, v6
	v_mov_b32_e32 v9, 0
	s_mov_b64 s[8:9], 0
	v_mov_b32_e32 v7, s11
	v_mov_b32_e32 v13, 0
	;; [unrolled: 1-line block ×6, first 2 shown]
.LBB148_9:                              ; =>This Inner Loop Header: Depth=1
	v_lshlrev_b64 v[19:20], 3, v[12:13]
	v_ashrrev_i32_e32 v15, 31, v14
	v_lshlrev_b64 v[21:22], 2, v[14:15]
	v_add_co_u32_e32 v47, vcc, s12, v19
	v_addc_co_u32_e32 v48, vcc, v17, v20, vcc
	v_add_co_u32_e32 v41, vcc, s10, v21
	v_addc_co_u32_e32 v42, vcc, v7, v22, vcc
	global_load_dwordx4 v[19:22], v[47:48], off
	global_load_dwordx4 v[23:26], v[47:48], off offset:16
	global_load_dwordx4 v[27:30], v[47:48], off offset:32
	;; [unrolled: 1-line block ×4, first 2 shown]
	global_load_dword v15, v[41:42], off
	v_mov_b32_e32 v40, v13
	v_add_u32_e32 v14, 16, v14
	v_add_u32_e32 v12, 0x200, v12
	s_waitcnt vmcnt(0)
	v_subrev_u32_e32 v15, s2, v15
	v_lshlrev_b32_e32 v39, 4, v15
	v_lshlrev_b64 v[39:40], 3, v[39:40]
	v_add_co_u32_e32 v49, vcc, s14, v39
	v_addc_co_u32_e32 v50, vcc, v18, v40, vcc
	global_load_dwordx4 v[39:42], v[49:50], off
	global_load_dwordx4 v[43:46], v[49:50], off offset:16
	v_cmp_ge_i32_e32 vcc, v14, v16
	s_or_b64 s[8:9], vcc, s[8:9]
	s_waitcnt vmcnt(1)
	v_fma_f64 v[19:20], v[19:20], v[39:40], v[8:9]
	v_fma_f64 v[21:22], v[21:22], v[39:40], v[10:11]
	global_load_dwordx4 v[8:11], v[47:48], off offset:80
	v_fma_f64 v[39:40], v[23:24], v[41:42], v[19:20]
	v_fma_f64 v[41:42], v[25:26], v[41:42], v[21:22]
	global_load_dwordx4 v[19:22], v[47:48], off offset:96
	global_load_dwordx4 v[23:26], v[47:48], off offset:112
	s_waitcnt vmcnt(3)
	v_fma_f64 v[39:40], v[27:28], v[43:44], v[39:40]
	v_fma_f64 v[41:42], v[29:30], v[43:44], v[41:42]
	global_load_dwordx4 v[27:30], v[47:48], off offset:128
	v_fma_f64 v[43:44], v[31:32], v[45:46], v[39:40]
	v_fma_f64 v[45:46], v[33:34], v[45:46], v[41:42]
	global_load_dwordx4 v[31:34], v[49:50], off offset:32
	global_load_dwordx4 v[39:42], v[49:50], off offset:48
	;; [unrolled: 8-line block ×5, first 2 shown]
	s_waitcnt vmcnt(5)
	v_fma_f64 v[51:52], v[8:9], v[19:20], v[43:44]
	v_fma_f64 v[19:20], v[10:11], v[19:20], v[45:46]
	global_load_dwordx4 v[8:11], v[49:50], off offset:112
	global_load_dwordx4 v[43:46], v[47:48], off offset:240
	s_waitcnt vmcnt(6)
	v_fma_f64 v[23:24], v[23:24], v[21:22], v[51:52]
	v_fma_f64 v[19:20], v[25:26], v[21:22], v[19:20]
	s_waitcnt vmcnt(4)
	v_fma_f64 v[21:22], v[39:40], v[27:28], v[23:24]
	v_fma_f64 v[19:20], v[41:42], v[27:28], v[19:20]
	;; [unrolled: 3-line block ×5, first 2 shown]
	s_andn2_b64 exec, exec, s[8:9]
	s_cbranch_execnz .LBB148_9
; %bb.10:
	s_or_b64 exec, exec, s[8:9]
.LBB148_11:
	s_or_b64 exec, exec, s[6:7]
	s_cbranch_execz .LBB148_13
	s_branch .LBB148_18
.LBB148_12:
                                        ; implicit-def: $vgpr8_vgpr9
                                        ; implicit-def: $vgpr10_vgpr11
.LBB148_13:
	v_mov_b32_e32 v8, 0
	v_mov_b32_e32 v10, 0
	;; [unrolled: 1-line block ×4, first 2 shown]
	s_and_saveexec_b64 s[6:7], s[0:1]
	s_cbranch_execz .LBB148_17
; %bb.14:
	v_mov_b32_e32 v8, 0
	v_mov_b32_e32 v10, 0
	v_lshlrev_b32_e32 v12, 5, v6
	v_mov_b32_e32 v9, 0
	s_mov_b64 s[0:1], 0
	v_mov_b32_e32 v14, s11
	v_mov_b32_e32 v13, 0
	v_mov_b32_e32 v15, s13
	v_mov_b32_e32 v11, 0
	v_mov_b32_e32 v17, s15
.LBB148_15:                             ; =>This Inner Loop Header: Depth=1
	v_lshlrev_b64 v[18:19], 3, v[12:13]
	v_ashrrev_i32_e32 v7, 31, v6
	v_lshlrev_b64 v[20:21], 2, v[6:7]
	v_add_co_u32_e32 v38, vcc, s12, v18
	v_addc_co_u32_e32 v39, vcc, v15, v19, vcc
	v_add_co_u32_e32 v28, vcc, s10, v20
	v_addc_co_u32_e32 v29, vcc, v14, v21, vcc
	global_load_dwordx4 v[18:21], v[38:39], off
	global_load_dwordx4 v[22:25], v[38:39], off offset:16
	global_load_dword v7, v[28:29], off
	v_mov_b32_e32 v27, v13
	v_add_u32_e32 v6, 16, v6
	v_add_u32_e32 v12, 0x200, v12
	s_waitcnt vmcnt(0)
	v_subrev_u32_e32 v7, s2, v7
	v_lshlrev_b32_e32 v26, 4, v7
	v_lshlrev_b64 v[26:27], 3, v[26:27]
	v_add_co_u32_e32 v40, vcc, s14, v26
	v_addc_co_u32_e32 v41, vcc, v17, v27, vcc
	global_load_dwordx4 v[26:29], v[40:41], off
	global_load_dwordx4 v[30:33], v[40:41], off offset:16
	v_cmp_ge_i32_e32 vcc, v6, v16
	s_or_b64 s[0:1], vcc, s[0:1]
	s_waitcnt vmcnt(1)
	v_fma_f64 v[7:8], v[18:19], v[26:27], v[8:9]
	v_fma_f64 v[7:8], v[20:21], v[28:29], v[7:8]
	global_load_dwordx4 v[18:21], v[38:39], off offset:128
	global_load_dwordx4 v[34:37], v[38:39], off offset:144
	s_waitcnt vmcnt(2)
	v_fma_f64 v[7:8], v[22:23], v[30:31], v[7:8]
	v_fma_f64 v[42:43], v[24:25], v[32:33], v[7:8]
	s_waitcnt vmcnt(1)
	v_fma_f64 v[9:10], v[18:19], v[26:27], v[10:11]
	v_fma_f64 v[18:19], v[20:21], v[28:29], v[9:10]
	global_load_dwordx4 v[7:10], v[38:39], off offset:32
	s_waitcnt vmcnt(1)
	v_fma_f64 v[18:19], v[34:35], v[30:31], v[18:19]
	v_fma_f64 v[34:35], v[36:37], v[32:33], v[18:19]
	global_load_dwordx4 v[18:21], v[38:39], off offset:48
	global_load_dwordx4 v[22:25], v[40:41], off offset:32
	;; [unrolled: 1-line block ×3, first 2 shown]
	s_waitcnt vmcnt(1)
	v_fma_f64 v[7:8], v[7:8], v[22:23], v[42:43]
	v_fma_f64 v[36:37], v[9:10], v[24:25], v[7:8]
	global_load_dwordx4 v[7:10], v[38:39], off offset:160
	global_load_dwordx4 v[30:33], v[38:39], off offset:176
	s_waitcnt vmcnt(1)
	v_fma_f64 v[7:8], v[7:8], v[22:23], v[34:35]
	v_fma_f64 v[22:23], v[9:10], v[24:25], v[7:8]
	;; [unrolled: 1-line block ×3, first 2 shown]
	s_waitcnt vmcnt(0)
	v_fma_f64 v[18:19], v[30:31], v[26:27], v[22:23]
	v_fma_f64 v[34:35], v[20:21], v[28:29], v[7:8]
	global_load_dwordx4 v[7:10], v[38:39], off offset:64
	v_fma_f64 v[36:37], v[32:33], v[28:29], v[18:19]
	global_load_dwordx4 v[18:21], v[38:39], off offset:80
	global_load_dwordx4 v[22:25], v[40:41], off offset:64
	;; [unrolled: 1-line block ×3, first 2 shown]
	s_waitcnt vmcnt(1)
	v_fma_f64 v[7:8], v[7:8], v[22:23], v[34:35]
	v_fma_f64 v[34:35], v[9:10], v[24:25], v[7:8]
	global_load_dwordx4 v[7:10], v[38:39], off offset:192
	global_load_dwordx4 v[30:33], v[38:39], off offset:208
	s_waitcnt vmcnt(1)
	v_fma_f64 v[7:8], v[7:8], v[22:23], v[36:37]
	v_fma_f64 v[22:23], v[9:10], v[24:25], v[7:8]
	;; [unrolled: 1-line block ×3, first 2 shown]
	s_waitcnt vmcnt(0)
	v_fma_f64 v[18:19], v[30:31], v[26:27], v[22:23]
	v_fma_f64 v[34:35], v[20:21], v[28:29], v[7:8]
	global_load_dwordx4 v[7:10], v[38:39], off offset:96
	v_fma_f64 v[36:37], v[32:33], v[28:29], v[18:19]
	global_load_dwordx4 v[18:21], v[38:39], off offset:112
	global_load_dwordx4 v[22:25], v[40:41], off offset:96
	;; [unrolled: 1-line block ×3, first 2 shown]
	s_waitcnt vmcnt(1)
	v_fma_f64 v[7:8], v[7:8], v[22:23], v[34:35]
	v_fma_f64 v[34:35], v[9:10], v[24:25], v[7:8]
	global_load_dwordx4 v[7:10], v[38:39], off offset:224
	global_load_dwordx4 v[30:33], v[38:39], off offset:240
	s_waitcnt vmcnt(1)
	v_fma_f64 v[7:8], v[7:8], v[22:23], v[36:37]
	v_fma_f64 v[7:8], v[9:10], v[24:25], v[7:8]
	v_fma_f64 v[9:10], v[18:19], v[26:27], v[34:35]
	s_waitcnt vmcnt(0)
	v_fma_f64 v[18:19], v[30:31], v[26:27], v[7:8]
	v_fma_f64 v[8:9], v[20:21], v[28:29], v[9:10]
	;; [unrolled: 1-line block ×3, first 2 shown]
	s_andn2_b64 exec, exec, s[0:1]
	s_cbranch_execnz .LBB148_15
; %bb.16:
	s_or_b64 exec, exec, s[0:1]
.LBB148_17:
	s_or_b64 exec, exec, s[6:7]
.LBB148_18:
	v_mov_b32_dpp v6, v8 row_shr:1 row_mask:0xf bank_mask:0xf
	v_mov_b32_dpp v7, v9 row_shr:1 row_mask:0xf bank_mask:0xf
	v_add_f64 v[6:7], v[8:9], v[6:7]
	v_mov_b32_dpp v8, v10 row_shr:1 row_mask:0xf bank_mask:0xf
	v_mov_b32_dpp v9, v11 row_shr:1 row_mask:0xf bank_mask:0xf
	v_add_f64 v[8:9], v[10:11], v[8:9]
	v_cmp_eq_u32_e32 vcc, 15, v0
	v_mov_b32_dpp v10, v6 row_shr:2 row_mask:0xf bank_mask:0xf
	v_mov_b32_dpp v11, v7 row_shr:2 row_mask:0xf bank_mask:0xf
	v_add_f64 v[6:7], v[6:7], v[10:11]
	v_mov_b32_dpp v12, v8 row_shr:2 row_mask:0xf bank_mask:0xf
	v_mov_b32_dpp v13, v9 row_shr:2 row_mask:0xf bank_mask:0xf
	v_add_f64 v[8:9], v[8:9], v[12:13]
	;; [unrolled: 3-line block ×4, first 2 shown]
	v_mov_b32_dpp v8, v6 row_shr:8 row_mask:0xf bank_mask:0xc
	v_mov_b32_dpp v9, v7 row_shr:8 row_mask:0xf bank_mask:0xc
	;; [unrolled: 1-line block ×4, first 2 shown]
	s_and_b64 exec, exec, vcc
	s_cbranch_execz .LBB148_23
; %bb.19:
	v_add_f64 v[8:9], v[6:7], v[8:9]
	v_add_f64 v[6:7], v[10:11], v[12:13]
	v_cmp_eq_f64_e32 vcc, 0, v[3:4]
	s_load_dwordx2 s[0:1], s[4:5], 0x38
	s_and_saveexec_b64 s[2:3], vcc
	s_xor_b64 s[2:3], exec, s[2:3]
	s_cbranch_execz .LBB148_21
; %bb.20:
	v_mul_f64 v[3:4], v[1:2], v[8:9]
	v_lshlrev_b32_e32 v0, 1, v5
	v_mul_f64 v[5:6], v[1:2], v[6:7]
	v_ashrrev_i32_e32 v1, 31, v0
	v_lshlrev_b64 v[0:1], 3, v[0:1]
	s_waitcnt lgkmcnt(0)
	v_mov_b32_e32 v2, s1
	v_add_co_u32_e32 v0, vcc, s0, v0
	v_addc_co_u32_e32 v1, vcc, v2, v1, vcc
	global_store_dwordx4 v[0:1], v[3:6], off
                                        ; implicit-def: $vgpr5
                                        ; implicit-def: $vgpr1_vgpr2
                                        ; implicit-def: $vgpr8_vgpr9
                                        ; implicit-def: $vgpr3_vgpr4
                                        ; implicit-def: $vgpr6_vgpr7
.LBB148_21:
	s_andn2_saveexec_b64 s[2:3], s[2:3]
	s_cbranch_execz .LBB148_23
; %bb.22:
	v_lshlrev_b32_e32 v10, 1, v5
	v_ashrrev_i32_e32 v11, 31, v10
	v_lshlrev_b64 v[10:11], 3, v[10:11]
	s_waitcnt lgkmcnt(0)
	v_mov_b32_e32 v0, s1
	v_add_co_u32_e32 v14, vcc, s0, v10
	v_addc_co_u32_e32 v15, vcc, v0, v11, vcc
	global_load_dwordx4 v[10:13], v[14:15], off
	v_mul_f64 v[8:9], v[1:2], v[8:9]
	v_mul_f64 v[5:6], v[1:2], v[6:7]
	s_waitcnt vmcnt(0)
	v_fma_f64 v[0:1], v[3:4], v[10:11], v[8:9]
	v_fma_f64 v[2:3], v[3:4], v[12:13], v[5:6]
	global_store_dwordx4 v[14:15], v[0:3], off
.LBB148_23:
	s_endpgm
	.section	.rodata,"a",@progbits
	.p2align	6, 0x0
	.amdhsa_kernel _ZN9rocsparseL19gebsrmvn_2xn_kernelILj128ELj16ELj16EdEEvi20rocsparse_direction_NS_24const_host_device_scalarIT2_EEPKiS6_PKS3_S8_S4_PS3_21rocsparse_index_base_b
		.amdhsa_group_segment_fixed_size 0
		.amdhsa_private_segment_fixed_size 0
		.amdhsa_kernarg_size 72
		.amdhsa_user_sgpr_count 6
		.amdhsa_user_sgpr_private_segment_buffer 1
		.amdhsa_user_sgpr_dispatch_ptr 0
		.amdhsa_user_sgpr_queue_ptr 0
		.amdhsa_user_sgpr_kernarg_segment_ptr 1
		.amdhsa_user_sgpr_dispatch_id 0
		.amdhsa_user_sgpr_flat_scratch_init 0
		.amdhsa_user_sgpr_private_segment_size 0
		.amdhsa_uses_dynamic_stack 0
		.amdhsa_system_sgpr_private_segment_wavefront_offset 0
		.amdhsa_system_sgpr_workgroup_id_x 1
		.amdhsa_system_sgpr_workgroup_id_y 0
		.amdhsa_system_sgpr_workgroup_id_z 0
		.amdhsa_system_sgpr_workgroup_info 0
		.amdhsa_system_vgpr_workitem_id 0
		.amdhsa_next_free_vgpr 53
		.amdhsa_next_free_sgpr 16
		.amdhsa_reserve_vcc 1
		.amdhsa_reserve_flat_scratch 0
		.amdhsa_float_round_mode_32 0
		.amdhsa_float_round_mode_16_64 0
		.amdhsa_float_denorm_mode_32 3
		.amdhsa_float_denorm_mode_16_64 3
		.amdhsa_dx10_clamp 1
		.amdhsa_ieee_mode 1
		.amdhsa_fp16_overflow 0
		.amdhsa_exception_fp_ieee_invalid_op 0
		.amdhsa_exception_fp_denorm_src 0
		.amdhsa_exception_fp_ieee_div_zero 0
		.amdhsa_exception_fp_ieee_overflow 0
		.amdhsa_exception_fp_ieee_underflow 0
		.amdhsa_exception_fp_ieee_inexact 0
		.amdhsa_exception_int_div_zero 0
	.end_amdhsa_kernel
	.section	.text._ZN9rocsparseL19gebsrmvn_2xn_kernelILj128ELj16ELj16EdEEvi20rocsparse_direction_NS_24const_host_device_scalarIT2_EEPKiS6_PKS3_S8_S4_PS3_21rocsparse_index_base_b,"axG",@progbits,_ZN9rocsparseL19gebsrmvn_2xn_kernelILj128ELj16ELj16EdEEvi20rocsparse_direction_NS_24const_host_device_scalarIT2_EEPKiS6_PKS3_S8_S4_PS3_21rocsparse_index_base_b,comdat
.Lfunc_end148:
	.size	_ZN9rocsparseL19gebsrmvn_2xn_kernelILj128ELj16ELj16EdEEvi20rocsparse_direction_NS_24const_host_device_scalarIT2_EEPKiS6_PKS3_S8_S4_PS3_21rocsparse_index_base_b, .Lfunc_end148-_ZN9rocsparseL19gebsrmvn_2xn_kernelILj128ELj16ELj16EdEEvi20rocsparse_direction_NS_24const_host_device_scalarIT2_EEPKiS6_PKS3_S8_S4_PS3_21rocsparse_index_base_b
                                        ; -- End function
	.set _ZN9rocsparseL19gebsrmvn_2xn_kernelILj128ELj16ELj16EdEEvi20rocsparse_direction_NS_24const_host_device_scalarIT2_EEPKiS6_PKS3_S8_S4_PS3_21rocsparse_index_base_b.num_vgpr, 53
	.set _ZN9rocsparseL19gebsrmvn_2xn_kernelILj128ELj16ELj16EdEEvi20rocsparse_direction_NS_24const_host_device_scalarIT2_EEPKiS6_PKS3_S8_S4_PS3_21rocsparse_index_base_b.num_agpr, 0
	.set _ZN9rocsparseL19gebsrmvn_2xn_kernelILj128ELj16ELj16EdEEvi20rocsparse_direction_NS_24const_host_device_scalarIT2_EEPKiS6_PKS3_S8_S4_PS3_21rocsparse_index_base_b.numbered_sgpr, 16
	.set _ZN9rocsparseL19gebsrmvn_2xn_kernelILj128ELj16ELj16EdEEvi20rocsparse_direction_NS_24const_host_device_scalarIT2_EEPKiS6_PKS3_S8_S4_PS3_21rocsparse_index_base_b.num_named_barrier, 0
	.set _ZN9rocsparseL19gebsrmvn_2xn_kernelILj128ELj16ELj16EdEEvi20rocsparse_direction_NS_24const_host_device_scalarIT2_EEPKiS6_PKS3_S8_S4_PS3_21rocsparse_index_base_b.private_seg_size, 0
	.set _ZN9rocsparseL19gebsrmvn_2xn_kernelILj128ELj16ELj16EdEEvi20rocsparse_direction_NS_24const_host_device_scalarIT2_EEPKiS6_PKS3_S8_S4_PS3_21rocsparse_index_base_b.uses_vcc, 1
	.set _ZN9rocsparseL19gebsrmvn_2xn_kernelILj128ELj16ELj16EdEEvi20rocsparse_direction_NS_24const_host_device_scalarIT2_EEPKiS6_PKS3_S8_S4_PS3_21rocsparse_index_base_b.uses_flat_scratch, 0
	.set _ZN9rocsparseL19gebsrmvn_2xn_kernelILj128ELj16ELj16EdEEvi20rocsparse_direction_NS_24const_host_device_scalarIT2_EEPKiS6_PKS3_S8_S4_PS3_21rocsparse_index_base_b.has_dyn_sized_stack, 0
	.set _ZN9rocsparseL19gebsrmvn_2xn_kernelILj128ELj16ELj16EdEEvi20rocsparse_direction_NS_24const_host_device_scalarIT2_EEPKiS6_PKS3_S8_S4_PS3_21rocsparse_index_base_b.has_recursion, 0
	.set _ZN9rocsparseL19gebsrmvn_2xn_kernelILj128ELj16ELj16EdEEvi20rocsparse_direction_NS_24const_host_device_scalarIT2_EEPKiS6_PKS3_S8_S4_PS3_21rocsparse_index_base_b.has_indirect_call, 0
	.section	.AMDGPU.csdata,"",@progbits
; Kernel info:
; codeLenInByte = 1984
; TotalNumSgprs: 20
; NumVgprs: 53
; ScratchSize: 0
; MemoryBound: 1
; FloatMode: 240
; IeeeMode: 1
; LDSByteSize: 0 bytes/workgroup (compile time only)
; SGPRBlocks: 2
; VGPRBlocks: 13
; NumSGPRsForWavesPerEU: 20
; NumVGPRsForWavesPerEU: 53
; Occupancy: 4
; WaveLimiterHint : 1
; COMPUTE_PGM_RSRC2:SCRATCH_EN: 0
; COMPUTE_PGM_RSRC2:USER_SGPR: 6
; COMPUTE_PGM_RSRC2:TRAP_HANDLER: 0
; COMPUTE_PGM_RSRC2:TGID_X_EN: 1
; COMPUTE_PGM_RSRC2:TGID_Y_EN: 0
; COMPUTE_PGM_RSRC2:TGID_Z_EN: 0
; COMPUTE_PGM_RSRC2:TIDIG_COMP_CNT: 0
	.section	.text._ZN9rocsparseL19gebsrmvn_2xn_kernelILj128ELj16ELj32EdEEvi20rocsparse_direction_NS_24const_host_device_scalarIT2_EEPKiS6_PKS3_S8_S4_PS3_21rocsparse_index_base_b,"axG",@progbits,_ZN9rocsparseL19gebsrmvn_2xn_kernelILj128ELj16ELj32EdEEvi20rocsparse_direction_NS_24const_host_device_scalarIT2_EEPKiS6_PKS3_S8_S4_PS3_21rocsparse_index_base_b,comdat
	.globl	_ZN9rocsparseL19gebsrmvn_2xn_kernelILj128ELj16ELj32EdEEvi20rocsparse_direction_NS_24const_host_device_scalarIT2_EEPKiS6_PKS3_S8_S4_PS3_21rocsparse_index_base_b ; -- Begin function _ZN9rocsparseL19gebsrmvn_2xn_kernelILj128ELj16ELj32EdEEvi20rocsparse_direction_NS_24const_host_device_scalarIT2_EEPKiS6_PKS3_S8_S4_PS3_21rocsparse_index_base_b
	.p2align	8
	.type	_ZN9rocsparseL19gebsrmvn_2xn_kernelILj128ELj16ELj32EdEEvi20rocsparse_direction_NS_24const_host_device_scalarIT2_EEPKiS6_PKS3_S8_S4_PS3_21rocsparse_index_base_b,@function
_ZN9rocsparseL19gebsrmvn_2xn_kernelILj128ELj16ELj32EdEEvi20rocsparse_direction_NS_24const_host_device_scalarIT2_EEPKiS6_PKS3_S8_S4_PS3_21rocsparse_index_base_b: ; @_ZN9rocsparseL19gebsrmvn_2xn_kernelILj128ELj16ELj32EdEEvi20rocsparse_direction_NS_24const_host_device_scalarIT2_EEPKiS6_PKS3_S8_S4_PS3_21rocsparse_index_base_b
; %bb.0:
	s_load_dwordx2 s[2:3], s[4:5], 0x40
	s_load_dwordx2 s[10:11], s[4:5], 0x8
	;; [unrolled: 1-line block ×3, first 2 shown]
	s_waitcnt lgkmcnt(0)
	s_bitcmp1_b32 s3, 0
	s_cselect_b64 s[12:13], -1, 0
	v_mov_b32_e32 v1, s10
	s_xor_b64 s[8:9], s[12:13], -1
	s_and_b64 vcc, exec, s[12:13]
	v_mov_b32_e32 v2, s11
	s_cbranch_vccnz .LBB149_2
; %bb.1:
	v_mov_b32_e32 v1, s10
	v_mov_b32_e32 v2, s11
	flat_load_dwordx2 v[1:2], v[1:2]
.LBB149_2:
	v_mov_b32_e32 v4, s1
	s_andn2_b64 vcc, exec, s[8:9]
	v_mov_b32_e32 v3, s0
	s_cbranch_vccnz .LBB149_4
; %bb.3:
	v_mov_b32_e32 v4, s1
	v_mov_b32_e32 v3, s0
	flat_load_dwordx2 v[3:4], v[3:4]
.LBB149_4:
	s_waitcnt vmcnt(0) lgkmcnt(0)
	v_cmp_neq_f64_e32 vcc, 0, v[1:2]
	v_cmp_neq_f64_e64 s[0:1], 1.0, v[3:4]
	s_or_b64 s[0:1], vcc, s[0:1]
	s_and_saveexec_b64 s[8:9], s[0:1]
	s_cbranch_execz .LBB149_23
; %bb.5:
	s_load_dwordx2 s[0:1], s[4:5], 0x0
	v_lshrrev_b32_e32 v5, 5, v0
	v_lshl_or_b32 v5, s6, 2, v5
	s_waitcnt lgkmcnt(0)
	v_cmp_gt_i32_e32 vcc, s0, v5
	s_and_b64 exec, exec, vcc
	s_cbranch_execz .LBB149_23
; %bb.6:
	s_load_dwordx8 s[8:15], s[4:5], 0x10
	v_ashrrev_i32_e32 v6, 31, v5
	v_lshlrev_b64 v[6:7], 2, v[5:6]
	v_and_b32_e32 v0, 31, v0
	s_cmp_lg_u32 s1, 0
	s_waitcnt lgkmcnt(0)
	v_mov_b32_e32 v8, s9
	v_add_co_u32_e32 v6, vcc, s8, v6
	v_addc_co_u32_e32 v7, vcc, v8, v7, vcc
	global_load_dwordx2 v[6:7], v[6:7], off
	s_waitcnt vmcnt(0)
	v_subrev_u32_e32 v6, s2, v6
	v_subrev_u32_e32 v16, s2, v7
	v_add_u32_e32 v6, v6, v0
	v_cmp_lt_i32_e64 s[0:1], v6, v16
	s_cbranch_scc0 .LBB149_12
; %bb.7:
	v_mov_b32_e32 v10, 0
	v_mov_b32_e32 v8, 0
	;; [unrolled: 1-line block ×4, first 2 shown]
	s_and_saveexec_b64 s[6:7], s[0:1]
	s_cbranch_execz .LBB149_11
; %bb.8:
	v_mov_b32_e32 v10, 0
	v_mov_b32_e32 v8, 0
	v_lshlrev_b32_e32 v12, 5, v6
	v_mov_b32_e32 v11, 0
	s_mov_b64 s[8:9], 0
	v_mov_b32_e32 v7, s11
	v_mov_b32_e32 v13, 0
	;; [unrolled: 1-line block ×6, first 2 shown]
.LBB149_9:                              ; =>This Inner Loop Header: Depth=1
	v_lshlrev_b64 v[19:20], 3, v[12:13]
	v_ashrrev_i32_e32 v15, 31, v14
	v_lshlrev_b64 v[21:22], 2, v[14:15]
	v_add_co_u32_e32 v51, vcc, s12, v19
	v_addc_co_u32_e32 v52, vcc, v17, v20, vcc
	v_add_co_u32_e32 v41, vcc, s10, v21
	v_addc_co_u32_e32 v42, vcc, v7, v22, vcc
	global_load_dwordx4 v[19:22], v[51:52], off
	global_load_dwordx4 v[23:26], v[51:52], off offset:16
	global_load_dwordx4 v[27:30], v[51:52], off offset:32
	;; [unrolled: 1-line block ×4, first 2 shown]
	global_load_dword v15, v[41:42], off
	v_mov_b32_e32 v40, v13
	v_add_u32_e32 v14, 32, v14
	v_add_u32_e32 v12, 0x400, v12
	s_waitcnt vmcnt(0)
	v_subrev_u32_e32 v15, s2, v15
	v_lshlrev_b32_e32 v39, 4, v15
	v_lshlrev_b64 v[39:40], 3, v[39:40]
	v_add_co_u32_e32 v53, vcc, s14, v39
	v_addc_co_u32_e32 v54, vcc, v18, v40, vcc
	global_load_dwordx4 v[39:42], v[53:54], off
	global_load_dwordx4 v[43:46], v[53:54], off offset:16
	v_cmp_ge_i32_e32 vcc, v14, v16
	s_or_b64 s[8:9], vcc, s[8:9]
	s_waitcnt vmcnt(1)
	v_fma_f64 v[19:20], v[19:20], v[39:40], v[10:11]
	v_fma_f64 v[21:22], v[21:22], v[39:40], v[8:9]
	global_load_dwordx4 v[8:11], v[51:52], off offset:80
	v_fma_f64 v[39:40], v[23:24], v[41:42], v[19:20]
	v_fma_f64 v[41:42], v[25:26], v[41:42], v[21:22]
	global_load_dwordx4 v[19:22], v[51:52], off offset:96
	global_load_dwordx4 v[23:26], v[51:52], off offset:112
	s_waitcnt vmcnt(3)
	v_fma_f64 v[39:40], v[27:28], v[43:44], v[39:40]
	v_fma_f64 v[41:42], v[29:30], v[43:44], v[41:42]
	global_load_dwordx4 v[27:30], v[51:52], off offset:128
	v_fma_f64 v[43:44], v[31:32], v[45:46], v[39:40]
	v_fma_f64 v[45:46], v[33:34], v[45:46], v[41:42]
	global_load_dwordx4 v[31:34], v[53:54], off offset:32
	global_load_dwordx4 v[39:42], v[53:54], off offset:48
	;; [unrolled: 8-line block ×5, first 2 shown]
	s_waitcnt vmcnt(5)
	v_fma_f64 v[8:9], v[8:9], v[19:20], v[43:44]
	v_fma_f64 v[10:11], v[10:11], v[19:20], v[45:46]
	global_load_dwordx4 v[43:46], v[53:54], off offset:112
	global_load_dwordx4 v[47:50], v[51:52], off offset:240
	s_waitcnt vmcnt(6)
	v_fma_f64 v[8:9], v[23:24], v[21:22], v[8:9]
	v_fma_f64 v[10:11], v[25:26], v[21:22], v[10:11]
	s_waitcnt vmcnt(4)
	v_fma_f64 v[8:9], v[39:40], v[27:28], v[8:9]
	v_fma_f64 v[10:11], v[41:42], v[27:28], v[10:11]
	;; [unrolled: 3-line block ×5, first 2 shown]
	s_andn2_b64 exec, exec, s[8:9]
	s_cbranch_execnz .LBB149_9
; %bb.10:
	s_or_b64 exec, exec, s[8:9]
.LBB149_11:
	s_or_b64 exec, exec, s[6:7]
	s_cbranch_execz .LBB149_13
	s_branch .LBB149_18
.LBB149_12:
                                        ; implicit-def: $vgpr10_vgpr11
                                        ; implicit-def: $vgpr8_vgpr9
.LBB149_13:
	v_mov_b32_e32 v10, 0
	v_mov_b32_e32 v8, 0
	;; [unrolled: 1-line block ×4, first 2 shown]
	s_and_saveexec_b64 s[6:7], s[0:1]
	s_cbranch_execz .LBB149_17
; %bb.14:
	v_mov_b32_e32 v10, 0
	v_mov_b32_e32 v8, 0
	v_lshlrev_b32_e32 v12, 5, v6
	v_mov_b32_e32 v11, 0
	s_mov_b64 s[0:1], 0
	v_mov_b32_e32 v14, s11
	v_mov_b32_e32 v13, 0
	;; [unrolled: 1-line block ×5, first 2 shown]
.LBB149_15:                             ; =>This Inner Loop Header: Depth=1
	v_lshlrev_b64 v[18:19], 3, v[12:13]
	v_ashrrev_i32_e32 v7, 31, v6
	v_lshlrev_b64 v[20:21], 2, v[6:7]
	v_add_co_u32_e32 v38, vcc, s12, v18
	v_addc_co_u32_e32 v39, vcc, v15, v19, vcc
	v_add_co_u32_e32 v28, vcc, s10, v20
	v_addc_co_u32_e32 v29, vcc, v14, v21, vcc
	global_load_dwordx4 v[18:21], v[38:39], off
	global_load_dwordx4 v[22:25], v[38:39], off offset:16
	global_load_dword v7, v[28:29], off
	v_mov_b32_e32 v27, v13
	v_add_u32_e32 v6, 32, v6
	v_add_u32_e32 v12, 0x400, v12
	s_waitcnt vmcnt(0)
	v_subrev_u32_e32 v7, s2, v7
	v_lshlrev_b32_e32 v26, 4, v7
	v_lshlrev_b64 v[26:27], 3, v[26:27]
	v_add_co_u32_e32 v40, vcc, s14, v26
	v_addc_co_u32_e32 v41, vcc, v17, v27, vcc
	global_load_dwordx4 v[26:29], v[40:41], off
	global_load_dwordx4 v[30:33], v[40:41], off offset:16
	v_cmp_ge_i32_e32 vcc, v6, v16
	s_or_b64 s[0:1], vcc, s[0:1]
	s_waitcnt vmcnt(1)
	v_fma_f64 v[10:11], v[18:19], v[26:27], v[10:11]
	v_fma_f64 v[10:11], v[20:21], v[28:29], v[10:11]
	global_load_dwordx4 v[18:21], v[38:39], off offset:128
	global_load_dwordx4 v[34:37], v[38:39], off offset:144
	s_waitcnt vmcnt(1)
	v_fma_f64 v[7:8], v[18:19], v[26:27], v[8:9]
	v_fma_f64 v[18:19], v[20:21], v[28:29], v[7:8]
	v_fma_f64 v[7:8], v[22:23], v[30:31], v[10:11]
	s_waitcnt vmcnt(0)
	v_fma_f64 v[18:19], v[34:35], v[30:31], v[18:19]
	v_fma_f64 v[42:43], v[24:25], v[32:33], v[7:8]
	global_load_dwordx4 v[7:10], v[38:39], off offset:32
	v_fma_f64 v[34:35], v[36:37], v[32:33], v[18:19]
	global_load_dwordx4 v[18:21], v[38:39], off offset:48
	global_load_dwordx4 v[22:25], v[40:41], off offset:32
	global_load_dwordx4 v[26:29], v[40:41], off offset:48
	s_waitcnt vmcnt(1)
	v_fma_f64 v[7:8], v[7:8], v[22:23], v[42:43]
	v_fma_f64 v[36:37], v[9:10], v[24:25], v[7:8]
	global_load_dwordx4 v[7:10], v[38:39], off offset:160
	global_load_dwordx4 v[30:33], v[38:39], off offset:176
	s_waitcnt vmcnt(1)
	v_fma_f64 v[7:8], v[7:8], v[22:23], v[34:35]
	v_fma_f64 v[22:23], v[9:10], v[24:25], v[7:8]
	v_fma_f64 v[7:8], v[18:19], v[26:27], v[36:37]
	s_waitcnt vmcnt(0)
	v_fma_f64 v[18:19], v[30:31], v[26:27], v[22:23]
	v_fma_f64 v[34:35], v[20:21], v[28:29], v[7:8]
	global_load_dwordx4 v[7:10], v[38:39], off offset:64
	v_fma_f64 v[36:37], v[32:33], v[28:29], v[18:19]
	global_load_dwordx4 v[18:21], v[38:39], off offset:80
	global_load_dwordx4 v[22:25], v[40:41], off offset:64
	global_load_dwordx4 v[26:29], v[40:41], off offset:80
	;; [unrolled: 17-line block ×3, first 2 shown]
	s_waitcnt vmcnt(1)
	v_fma_f64 v[7:8], v[7:8], v[22:23], v[34:35]
	v_fma_f64 v[34:35], v[9:10], v[24:25], v[7:8]
	global_load_dwordx4 v[7:10], v[38:39], off offset:224
	global_load_dwordx4 v[30:33], v[38:39], off offset:240
	s_waitcnt vmcnt(1)
	v_fma_f64 v[7:8], v[7:8], v[22:23], v[36:37]
	v_fma_f64 v[7:8], v[9:10], v[24:25], v[7:8]
	;; [unrolled: 1-line block ×3, first 2 shown]
	s_waitcnt vmcnt(0)
	v_fma_f64 v[7:8], v[30:31], v[26:27], v[7:8]
	v_fma_f64 v[10:11], v[20:21], v[28:29], v[9:10]
	;; [unrolled: 1-line block ×3, first 2 shown]
	s_andn2_b64 exec, exec, s[0:1]
	s_cbranch_execnz .LBB149_15
; %bb.16:
	s_or_b64 exec, exec, s[0:1]
.LBB149_17:
	s_or_b64 exec, exec, s[6:7]
.LBB149_18:
	v_mov_b32_dpp v6, v10 row_shr:1 row_mask:0xf bank_mask:0xf
	v_mov_b32_dpp v7, v11 row_shr:1 row_mask:0xf bank_mask:0xf
	v_add_f64 v[6:7], v[10:11], v[6:7]
	v_mov_b32_dpp v10, v8 row_shr:1 row_mask:0xf bank_mask:0xf
	v_mov_b32_dpp v11, v9 row_shr:1 row_mask:0xf bank_mask:0xf
	v_add_f64 v[8:9], v[8:9], v[10:11]
	v_cmp_eq_u32_e32 vcc, 31, v0
	v_mov_b32_dpp v10, v6 row_shr:2 row_mask:0xf bank_mask:0xf
	v_mov_b32_dpp v11, v7 row_shr:2 row_mask:0xf bank_mask:0xf
	v_add_f64 v[6:7], v[6:7], v[10:11]
	v_mov_b32_dpp v12, v8 row_shr:2 row_mask:0xf bank_mask:0xf
	v_mov_b32_dpp v13, v9 row_shr:2 row_mask:0xf bank_mask:0xf
	v_add_f64 v[8:9], v[8:9], v[12:13]
	;; [unrolled: 3-line block ×6, first 2 shown]
	v_mov_b32_dpp v8, v6 row_bcast:15 row_mask:0xa bank_mask:0xf
	v_mov_b32_dpp v9, v7 row_bcast:15 row_mask:0xa bank_mask:0xf
	;; [unrolled: 1-line block ×4, first 2 shown]
	s_and_b64 exec, exec, vcc
	s_cbranch_execz .LBB149_23
; %bb.19:
	v_add_f64 v[8:9], v[6:7], v[8:9]
	v_add_f64 v[6:7], v[10:11], v[12:13]
	v_cmp_eq_f64_e32 vcc, 0, v[3:4]
	s_load_dwordx2 s[0:1], s[4:5], 0x38
	s_and_saveexec_b64 s[2:3], vcc
	s_xor_b64 s[2:3], exec, s[2:3]
	s_cbranch_execz .LBB149_21
; %bb.20:
	v_mul_f64 v[3:4], v[1:2], v[8:9]
	v_lshlrev_b32_e32 v0, 1, v5
	v_mul_f64 v[5:6], v[1:2], v[6:7]
	v_ashrrev_i32_e32 v1, 31, v0
	v_lshlrev_b64 v[0:1], 3, v[0:1]
	s_waitcnt lgkmcnt(0)
	v_mov_b32_e32 v2, s1
	v_add_co_u32_e32 v0, vcc, s0, v0
	v_addc_co_u32_e32 v1, vcc, v2, v1, vcc
	global_store_dwordx4 v[0:1], v[3:6], off
                                        ; implicit-def: $vgpr5
                                        ; implicit-def: $vgpr1_vgpr2
                                        ; implicit-def: $vgpr8_vgpr9
                                        ; implicit-def: $vgpr3_vgpr4
                                        ; implicit-def: $vgpr6_vgpr7
.LBB149_21:
	s_andn2_saveexec_b64 s[2:3], s[2:3]
	s_cbranch_execz .LBB149_23
; %bb.22:
	v_lshlrev_b32_e32 v10, 1, v5
	v_ashrrev_i32_e32 v11, 31, v10
	v_lshlrev_b64 v[10:11], 3, v[10:11]
	s_waitcnt lgkmcnt(0)
	v_mov_b32_e32 v0, s1
	v_add_co_u32_e32 v14, vcc, s0, v10
	v_addc_co_u32_e32 v15, vcc, v0, v11, vcc
	global_load_dwordx4 v[10:13], v[14:15], off
	v_mul_f64 v[8:9], v[1:2], v[8:9]
	v_mul_f64 v[5:6], v[1:2], v[6:7]
	s_waitcnt vmcnt(0)
	v_fma_f64 v[0:1], v[3:4], v[10:11], v[8:9]
	v_fma_f64 v[2:3], v[3:4], v[12:13], v[5:6]
	global_store_dwordx4 v[14:15], v[0:3], off
.LBB149_23:
	s_endpgm
	.section	.rodata,"a",@progbits
	.p2align	6, 0x0
	.amdhsa_kernel _ZN9rocsparseL19gebsrmvn_2xn_kernelILj128ELj16ELj32EdEEvi20rocsparse_direction_NS_24const_host_device_scalarIT2_EEPKiS6_PKS3_S8_S4_PS3_21rocsparse_index_base_b
		.amdhsa_group_segment_fixed_size 0
		.amdhsa_private_segment_fixed_size 0
		.amdhsa_kernarg_size 72
		.amdhsa_user_sgpr_count 6
		.amdhsa_user_sgpr_private_segment_buffer 1
		.amdhsa_user_sgpr_dispatch_ptr 0
		.amdhsa_user_sgpr_queue_ptr 0
		.amdhsa_user_sgpr_kernarg_segment_ptr 1
		.amdhsa_user_sgpr_dispatch_id 0
		.amdhsa_user_sgpr_flat_scratch_init 0
		.amdhsa_user_sgpr_private_segment_size 0
		.amdhsa_uses_dynamic_stack 0
		.amdhsa_system_sgpr_private_segment_wavefront_offset 0
		.amdhsa_system_sgpr_workgroup_id_x 1
		.amdhsa_system_sgpr_workgroup_id_y 0
		.amdhsa_system_sgpr_workgroup_id_z 0
		.amdhsa_system_sgpr_workgroup_info 0
		.amdhsa_system_vgpr_workitem_id 0
		.amdhsa_next_free_vgpr 55
		.amdhsa_next_free_sgpr 16
		.amdhsa_reserve_vcc 1
		.amdhsa_reserve_flat_scratch 0
		.amdhsa_float_round_mode_32 0
		.amdhsa_float_round_mode_16_64 0
		.amdhsa_float_denorm_mode_32 3
		.amdhsa_float_denorm_mode_16_64 3
		.amdhsa_dx10_clamp 1
		.amdhsa_ieee_mode 1
		.amdhsa_fp16_overflow 0
		.amdhsa_exception_fp_ieee_invalid_op 0
		.amdhsa_exception_fp_denorm_src 0
		.amdhsa_exception_fp_ieee_div_zero 0
		.amdhsa_exception_fp_ieee_overflow 0
		.amdhsa_exception_fp_ieee_underflow 0
		.amdhsa_exception_fp_ieee_inexact 0
		.amdhsa_exception_int_div_zero 0
	.end_amdhsa_kernel
	.section	.text._ZN9rocsparseL19gebsrmvn_2xn_kernelILj128ELj16ELj32EdEEvi20rocsparse_direction_NS_24const_host_device_scalarIT2_EEPKiS6_PKS3_S8_S4_PS3_21rocsparse_index_base_b,"axG",@progbits,_ZN9rocsparseL19gebsrmvn_2xn_kernelILj128ELj16ELj32EdEEvi20rocsparse_direction_NS_24const_host_device_scalarIT2_EEPKiS6_PKS3_S8_S4_PS3_21rocsparse_index_base_b,comdat
.Lfunc_end149:
	.size	_ZN9rocsparseL19gebsrmvn_2xn_kernelILj128ELj16ELj32EdEEvi20rocsparse_direction_NS_24const_host_device_scalarIT2_EEPKiS6_PKS3_S8_S4_PS3_21rocsparse_index_base_b, .Lfunc_end149-_ZN9rocsparseL19gebsrmvn_2xn_kernelILj128ELj16ELj32EdEEvi20rocsparse_direction_NS_24const_host_device_scalarIT2_EEPKiS6_PKS3_S8_S4_PS3_21rocsparse_index_base_b
                                        ; -- End function
	.set _ZN9rocsparseL19gebsrmvn_2xn_kernelILj128ELj16ELj32EdEEvi20rocsparse_direction_NS_24const_host_device_scalarIT2_EEPKiS6_PKS3_S8_S4_PS3_21rocsparse_index_base_b.num_vgpr, 55
	.set _ZN9rocsparseL19gebsrmvn_2xn_kernelILj128ELj16ELj32EdEEvi20rocsparse_direction_NS_24const_host_device_scalarIT2_EEPKiS6_PKS3_S8_S4_PS3_21rocsparse_index_base_b.num_agpr, 0
	.set _ZN9rocsparseL19gebsrmvn_2xn_kernelILj128ELj16ELj32EdEEvi20rocsparse_direction_NS_24const_host_device_scalarIT2_EEPKiS6_PKS3_S8_S4_PS3_21rocsparse_index_base_b.numbered_sgpr, 16
	.set _ZN9rocsparseL19gebsrmvn_2xn_kernelILj128ELj16ELj32EdEEvi20rocsparse_direction_NS_24const_host_device_scalarIT2_EEPKiS6_PKS3_S8_S4_PS3_21rocsparse_index_base_b.num_named_barrier, 0
	.set _ZN9rocsparseL19gebsrmvn_2xn_kernelILj128ELj16ELj32EdEEvi20rocsparse_direction_NS_24const_host_device_scalarIT2_EEPKiS6_PKS3_S8_S4_PS3_21rocsparse_index_base_b.private_seg_size, 0
	.set _ZN9rocsparseL19gebsrmvn_2xn_kernelILj128ELj16ELj32EdEEvi20rocsparse_direction_NS_24const_host_device_scalarIT2_EEPKiS6_PKS3_S8_S4_PS3_21rocsparse_index_base_b.uses_vcc, 1
	.set _ZN9rocsparseL19gebsrmvn_2xn_kernelILj128ELj16ELj32EdEEvi20rocsparse_direction_NS_24const_host_device_scalarIT2_EEPKiS6_PKS3_S8_S4_PS3_21rocsparse_index_base_b.uses_flat_scratch, 0
	.set _ZN9rocsparseL19gebsrmvn_2xn_kernelILj128ELj16ELj32EdEEvi20rocsparse_direction_NS_24const_host_device_scalarIT2_EEPKiS6_PKS3_S8_S4_PS3_21rocsparse_index_base_b.has_dyn_sized_stack, 0
	.set _ZN9rocsparseL19gebsrmvn_2xn_kernelILj128ELj16ELj32EdEEvi20rocsparse_direction_NS_24const_host_device_scalarIT2_EEPKiS6_PKS3_S8_S4_PS3_21rocsparse_index_base_b.has_recursion, 0
	.set _ZN9rocsparseL19gebsrmvn_2xn_kernelILj128ELj16ELj32EdEEvi20rocsparse_direction_NS_24const_host_device_scalarIT2_EEPKiS6_PKS3_S8_S4_PS3_21rocsparse_index_base_b.has_indirect_call, 0
	.section	.AMDGPU.csdata,"",@progbits
; Kernel info:
; codeLenInByte = 2028
; TotalNumSgprs: 20
; NumVgprs: 55
; ScratchSize: 0
; MemoryBound: 1
; FloatMode: 240
; IeeeMode: 1
; LDSByteSize: 0 bytes/workgroup (compile time only)
; SGPRBlocks: 2
; VGPRBlocks: 13
; NumSGPRsForWavesPerEU: 20
; NumVGPRsForWavesPerEU: 55
; Occupancy: 4
; WaveLimiterHint : 1
; COMPUTE_PGM_RSRC2:SCRATCH_EN: 0
; COMPUTE_PGM_RSRC2:USER_SGPR: 6
; COMPUTE_PGM_RSRC2:TRAP_HANDLER: 0
; COMPUTE_PGM_RSRC2:TGID_X_EN: 1
; COMPUTE_PGM_RSRC2:TGID_Y_EN: 0
; COMPUTE_PGM_RSRC2:TGID_Z_EN: 0
; COMPUTE_PGM_RSRC2:TIDIG_COMP_CNT: 0
	.section	.text._ZN9rocsparseL19gebsrmvn_2xn_kernelILj128ELj16ELj64EdEEvi20rocsparse_direction_NS_24const_host_device_scalarIT2_EEPKiS6_PKS3_S8_S4_PS3_21rocsparse_index_base_b,"axG",@progbits,_ZN9rocsparseL19gebsrmvn_2xn_kernelILj128ELj16ELj64EdEEvi20rocsparse_direction_NS_24const_host_device_scalarIT2_EEPKiS6_PKS3_S8_S4_PS3_21rocsparse_index_base_b,comdat
	.globl	_ZN9rocsparseL19gebsrmvn_2xn_kernelILj128ELj16ELj64EdEEvi20rocsparse_direction_NS_24const_host_device_scalarIT2_EEPKiS6_PKS3_S8_S4_PS3_21rocsparse_index_base_b ; -- Begin function _ZN9rocsparseL19gebsrmvn_2xn_kernelILj128ELj16ELj64EdEEvi20rocsparse_direction_NS_24const_host_device_scalarIT2_EEPKiS6_PKS3_S8_S4_PS3_21rocsparse_index_base_b
	.p2align	8
	.type	_ZN9rocsparseL19gebsrmvn_2xn_kernelILj128ELj16ELj64EdEEvi20rocsparse_direction_NS_24const_host_device_scalarIT2_EEPKiS6_PKS3_S8_S4_PS3_21rocsparse_index_base_b,@function
_ZN9rocsparseL19gebsrmvn_2xn_kernelILj128ELj16ELj64EdEEvi20rocsparse_direction_NS_24const_host_device_scalarIT2_EEPKiS6_PKS3_S8_S4_PS3_21rocsparse_index_base_b: ; @_ZN9rocsparseL19gebsrmvn_2xn_kernelILj128ELj16ELj64EdEEvi20rocsparse_direction_NS_24const_host_device_scalarIT2_EEPKiS6_PKS3_S8_S4_PS3_21rocsparse_index_base_b
; %bb.0:
	s_load_dwordx2 s[2:3], s[4:5], 0x40
	s_load_dwordx2 s[10:11], s[4:5], 0x8
	s_load_dwordx2 s[0:1], s[4:5], 0x30
	s_waitcnt lgkmcnt(0)
	s_bitcmp1_b32 s3, 0
	s_cselect_b64 s[12:13], -1, 0
	v_mov_b32_e32 v1, s10
	s_xor_b64 s[8:9], s[12:13], -1
	s_and_b64 vcc, exec, s[12:13]
	v_mov_b32_e32 v2, s11
	s_cbranch_vccnz .LBB150_2
; %bb.1:
	v_mov_b32_e32 v1, s10
	v_mov_b32_e32 v2, s11
	flat_load_dwordx2 v[1:2], v[1:2]
.LBB150_2:
	v_mov_b32_e32 v4, s1
	s_andn2_b64 vcc, exec, s[8:9]
	v_mov_b32_e32 v3, s0
	s_cbranch_vccnz .LBB150_4
; %bb.3:
	v_mov_b32_e32 v4, s1
	v_mov_b32_e32 v3, s0
	flat_load_dwordx2 v[3:4], v[3:4]
.LBB150_4:
	s_waitcnt vmcnt(0) lgkmcnt(0)
	v_cmp_neq_f64_e32 vcc, 0, v[1:2]
	v_cmp_neq_f64_e64 s[0:1], 1.0, v[3:4]
	s_or_b64 s[0:1], vcc, s[0:1]
	s_and_saveexec_b64 s[8:9], s[0:1]
	s_cbranch_execz .LBB150_23
; %bb.5:
	s_load_dwordx2 s[0:1], s[4:5], 0x0
	v_lshrrev_b32_e32 v5, 6, v0
	v_lshl_or_b32 v5, s6, 1, v5
	s_waitcnt lgkmcnt(0)
	v_cmp_gt_i32_e32 vcc, s0, v5
	s_and_b64 exec, exec, vcc
	s_cbranch_execz .LBB150_23
; %bb.6:
	s_load_dwordx8 s[8:15], s[4:5], 0x10
	v_ashrrev_i32_e32 v6, 31, v5
	v_lshlrev_b64 v[6:7], 2, v[5:6]
	v_and_b32_e32 v0, 63, v0
	s_cmp_lg_u32 s1, 0
	s_waitcnt lgkmcnt(0)
	v_mov_b32_e32 v8, s9
	v_add_co_u32_e32 v6, vcc, s8, v6
	v_addc_co_u32_e32 v7, vcc, v8, v7, vcc
	global_load_dwordx2 v[6:7], v[6:7], off
	s_waitcnt vmcnt(0)
	v_subrev_u32_e32 v6, s2, v6
	v_subrev_u32_e32 v16, s2, v7
	v_add_u32_e32 v6, v6, v0
	v_cmp_lt_i32_e64 s[0:1], v6, v16
	s_cbranch_scc0 .LBB150_12
; %bb.7:
	v_mov_b32_e32 v10, 0
	v_mov_b32_e32 v8, 0
	v_mov_b32_e32 v11, 0
	v_mov_b32_e32 v9, 0
	s_and_saveexec_b64 s[6:7], s[0:1]
	s_cbranch_execz .LBB150_11
; %bb.8:
	v_mov_b32_e32 v10, 0
	v_mov_b32_e32 v8, 0
	v_lshlrev_b32_e32 v12, 5, v6
	v_mov_b32_e32 v11, 0
	s_mov_b64 s[8:9], 0
	v_mov_b32_e32 v7, s11
	v_mov_b32_e32 v13, 0
	;; [unrolled: 1-line block ×6, first 2 shown]
.LBB150_9:                              ; =>This Inner Loop Header: Depth=1
	v_lshlrev_b64 v[19:20], 3, v[12:13]
	v_ashrrev_i32_e32 v15, 31, v14
	v_lshlrev_b64 v[21:22], 2, v[14:15]
	v_add_co_u32_e32 v51, vcc, s12, v19
	v_addc_co_u32_e32 v52, vcc, v17, v20, vcc
	v_add_co_u32_e32 v41, vcc, s10, v21
	v_addc_co_u32_e32 v42, vcc, v7, v22, vcc
	global_load_dwordx4 v[19:22], v[51:52], off
	global_load_dwordx4 v[23:26], v[51:52], off offset:16
	global_load_dwordx4 v[27:30], v[51:52], off offset:32
	;; [unrolled: 1-line block ×4, first 2 shown]
	global_load_dword v15, v[41:42], off
	v_mov_b32_e32 v40, v13
	v_add_u32_e32 v14, 64, v14
	v_add_u32_e32 v12, 0x800, v12
	s_waitcnt vmcnt(0)
	v_subrev_u32_e32 v15, s2, v15
	v_lshlrev_b32_e32 v39, 4, v15
	v_lshlrev_b64 v[39:40], 3, v[39:40]
	v_add_co_u32_e32 v53, vcc, s14, v39
	v_addc_co_u32_e32 v54, vcc, v18, v40, vcc
	global_load_dwordx4 v[39:42], v[53:54], off
	global_load_dwordx4 v[43:46], v[53:54], off offset:16
	v_cmp_ge_i32_e32 vcc, v14, v16
	s_or_b64 s[8:9], vcc, s[8:9]
	s_waitcnt vmcnt(1)
	v_fma_f64 v[19:20], v[19:20], v[39:40], v[10:11]
	v_fma_f64 v[21:22], v[21:22], v[39:40], v[8:9]
	global_load_dwordx4 v[8:11], v[51:52], off offset:80
	v_fma_f64 v[39:40], v[23:24], v[41:42], v[19:20]
	v_fma_f64 v[41:42], v[25:26], v[41:42], v[21:22]
	global_load_dwordx4 v[19:22], v[51:52], off offset:96
	global_load_dwordx4 v[23:26], v[51:52], off offset:112
	s_waitcnt vmcnt(3)
	v_fma_f64 v[39:40], v[27:28], v[43:44], v[39:40]
	v_fma_f64 v[41:42], v[29:30], v[43:44], v[41:42]
	global_load_dwordx4 v[27:30], v[51:52], off offset:128
	v_fma_f64 v[43:44], v[31:32], v[45:46], v[39:40]
	v_fma_f64 v[45:46], v[33:34], v[45:46], v[41:42]
	global_load_dwordx4 v[31:34], v[53:54], off offset:32
	global_load_dwordx4 v[39:42], v[53:54], off offset:48
	s_waitcnt vmcnt(1)
	v_fma_f64 v[43:44], v[35:36], v[31:32], v[43:44]
	v_fma_f64 v[31:32], v[37:38], v[31:32], v[45:46]
	global_load_dwordx4 v[35:38], v[51:52], off offset:144
	v_fma_f64 v[43:44], v[8:9], v[33:34], v[43:44]
	v_fma_f64 v[45:46], v[10:11], v[33:34], v[31:32]
	global_load_dwordx4 v[8:11], v[51:52], off offset:160
	global_load_dwordx4 v[31:34], v[53:54], off offset:64
	s_waitcnt vmcnt(3)
	v_fma_f64 v[43:44], v[19:20], v[39:40], v[43:44]
	v_fma_f64 v[39:40], v[21:22], v[39:40], v[45:46]
	global_load_dwordx4 v[19:22], v[53:54], off offset:80
	v_fma_f64 v[43:44], v[23:24], v[41:42], v[43:44]
	v_fma_f64 v[45:46], v[25:26], v[41:42], v[39:40]
	global_load_dwordx4 v[23:26], v[51:52], off offset:176
	global_load_dwordx4 v[39:42], v[51:52], off offset:192
	s_waitcnt vmcnt(3)
	v_fma_f64 v[43:44], v[27:28], v[31:32], v[43:44]
	v_fma_f64 v[31:32], v[29:30], v[31:32], v[45:46]
	global_load_dwordx4 v[27:30], v[53:54], off offset:96
	v_fma_f64 v[43:44], v[35:36], v[33:34], v[43:44]
	v_fma_f64 v[45:46], v[37:38], v[33:34], v[31:32]
	global_load_dwordx4 v[31:34], v[51:52], off offset:208
	global_load_dwordx4 v[35:38], v[51:52], off offset:224
	s_waitcnt vmcnt(5)
	v_fma_f64 v[8:9], v[8:9], v[19:20], v[43:44]
	v_fma_f64 v[10:11], v[10:11], v[19:20], v[45:46]
	global_load_dwordx4 v[43:46], v[53:54], off offset:112
	global_load_dwordx4 v[47:50], v[51:52], off offset:240
	s_waitcnt vmcnt(6)
	v_fma_f64 v[8:9], v[23:24], v[21:22], v[8:9]
	v_fma_f64 v[10:11], v[25:26], v[21:22], v[10:11]
	s_waitcnt vmcnt(4)
	v_fma_f64 v[8:9], v[39:40], v[27:28], v[8:9]
	v_fma_f64 v[10:11], v[41:42], v[27:28], v[10:11]
	;; [unrolled: 3-line block ×5, first 2 shown]
	s_andn2_b64 exec, exec, s[8:9]
	s_cbranch_execnz .LBB150_9
; %bb.10:
	s_or_b64 exec, exec, s[8:9]
.LBB150_11:
	s_or_b64 exec, exec, s[6:7]
	s_cbranch_execz .LBB150_13
	s_branch .LBB150_18
.LBB150_12:
                                        ; implicit-def: $vgpr10_vgpr11
                                        ; implicit-def: $vgpr8_vgpr9
.LBB150_13:
	v_mov_b32_e32 v10, 0
	v_mov_b32_e32 v8, 0
	;; [unrolled: 1-line block ×4, first 2 shown]
	s_and_saveexec_b64 s[6:7], s[0:1]
	s_cbranch_execz .LBB150_17
; %bb.14:
	v_mov_b32_e32 v10, 0
	v_mov_b32_e32 v8, 0
	v_lshlrev_b32_e32 v12, 5, v6
	v_mov_b32_e32 v11, 0
	s_mov_b64 s[0:1], 0
	v_mov_b32_e32 v14, s11
	v_mov_b32_e32 v13, 0
	;; [unrolled: 1-line block ×5, first 2 shown]
.LBB150_15:                             ; =>This Inner Loop Header: Depth=1
	v_lshlrev_b64 v[18:19], 3, v[12:13]
	v_ashrrev_i32_e32 v7, 31, v6
	v_lshlrev_b64 v[20:21], 2, v[6:7]
	v_add_co_u32_e32 v38, vcc, s12, v18
	v_addc_co_u32_e32 v39, vcc, v15, v19, vcc
	v_add_co_u32_e32 v28, vcc, s10, v20
	v_addc_co_u32_e32 v29, vcc, v14, v21, vcc
	global_load_dwordx4 v[18:21], v[38:39], off
	global_load_dwordx4 v[22:25], v[38:39], off offset:16
	global_load_dword v7, v[28:29], off
	v_mov_b32_e32 v27, v13
	v_add_u32_e32 v6, 64, v6
	v_add_u32_e32 v12, 0x800, v12
	s_waitcnt vmcnt(0)
	v_subrev_u32_e32 v7, s2, v7
	v_lshlrev_b32_e32 v26, 4, v7
	v_lshlrev_b64 v[26:27], 3, v[26:27]
	v_add_co_u32_e32 v40, vcc, s14, v26
	v_addc_co_u32_e32 v41, vcc, v17, v27, vcc
	global_load_dwordx4 v[26:29], v[40:41], off
	global_load_dwordx4 v[30:33], v[40:41], off offset:16
	v_cmp_ge_i32_e32 vcc, v6, v16
	s_or_b64 s[0:1], vcc, s[0:1]
	s_waitcnt vmcnt(1)
	v_fma_f64 v[10:11], v[18:19], v[26:27], v[10:11]
	v_fma_f64 v[10:11], v[20:21], v[28:29], v[10:11]
	global_load_dwordx4 v[18:21], v[38:39], off offset:128
	global_load_dwordx4 v[34:37], v[38:39], off offset:144
	s_waitcnt vmcnt(1)
	v_fma_f64 v[7:8], v[18:19], v[26:27], v[8:9]
	v_fma_f64 v[18:19], v[20:21], v[28:29], v[7:8]
	v_fma_f64 v[7:8], v[22:23], v[30:31], v[10:11]
	s_waitcnt vmcnt(0)
	v_fma_f64 v[18:19], v[34:35], v[30:31], v[18:19]
	v_fma_f64 v[42:43], v[24:25], v[32:33], v[7:8]
	global_load_dwordx4 v[7:10], v[38:39], off offset:32
	v_fma_f64 v[34:35], v[36:37], v[32:33], v[18:19]
	global_load_dwordx4 v[18:21], v[38:39], off offset:48
	global_load_dwordx4 v[22:25], v[40:41], off offset:32
	global_load_dwordx4 v[26:29], v[40:41], off offset:48
	s_waitcnt vmcnt(1)
	v_fma_f64 v[7:8], v[7:8], v[22:23], v[42:43]
	v_fma_f64 v[36:37], v[9:10], v[24:25], v[7:8]
	global_load_dwordx4 v[7:10], v[38:39], off offset:160
	global_load_dwordx4 v[30:33], v[38:39], off offset:176
	s_waitcnt vmcnt(1)
	v_fma_f64 v[7:8], v[7:8], v[22:23], v[34:35]
	v_fma_f64 v[22:23], v[9:10], v[24:25], v[7:8]
	v_fma_f64 v[7:8], v[18:19], v[26:27], v[36:37]
	s_waitcnt vmcnt(0)
	v_fma_f64 v[18:19], v[30:31], v[26:27], v[22:23]
	v_fma_f64 v[34:35], v[20:21], v[28:29], v[7:8]
	global_load_dwordx4 v[7:10], v[38:39], off offset:64
	v_fma_f64 v[36:37], v[32:33], v[28:29], v[18:19]
	global_load_dwordx4 v[18:21], v[38:39], off offset:80
	global_load_dwordx4 v[22:25], v[40:41], off offset:64
	global_load_dwordx4 v[26:29], v[40:41], off offset:80
	;; [unrolled: 17-line block ×3, first 2 shown]
	s_waitcnt vmcnt(1)
	v_fma_f64 v[7:8], v[7:8], v[22:23], v[34:35]
	v_fma_f64 v[34:35], v[9:10], v[24:25], v[7:8]
	global_load_dwordx4 v[7:10], v[38:39], off offset:224
	global_load_dwordx4 v[30:33], v[38:39], off offset:240
	s_waitcnt vmcnt(1)
	v_fma_f64 v[7:8], v[7:8], v[22:23], v[36:37]
	v_fma_f64 v[7:8], v[9:10], v[24:25], v[7:8]
	;; [unrolled: 1-line block ×3, first 2 shown]
	s_waitcnt vmcnt(0)
	v_fma_f64 v[7:8], v[30:31], v[26:27], v[7:8]
	v_fma_f64 v[10:11], v[20:21], v[28:29], v[9:10]
	;; [unrolled: 1-line block ×3, first 2 shown]
	s_andn2_b64 exec, exec, s[0:1]
	s_cbranch_execnz .LBB150_15
; %bb.16:
	s_or_b64 exec, exec, s[0:1]
.LBB150_17:
	s_or_b64 exec, exec, s[6:7]
.LBB150_18:
	v_mov_b32_dpp v6, v10 row_shr:1 row_mask:0xf bank_mask:0xf
	v_mov_b32_dpp v7, v11 row_shr:1 row_mask:0xf bank_mask:0xf
	v_add_f64 v[6:7], v[10:11], v[6:7]
	v_mov_b32_dpp v10, v8 row_shr:1 row_mask:0xf bank_mask:0xf
	v_mov_b32_dpp v11, v9 row_shr:1 row_mask:0xf bank_mask:0xf
	v_add_f64 v[8:9], v[8:9], v[10:11]
	v_cmp_eq_u32_e32 vcc, 63, v0
	v_mov_b32_dpp v10, v6 row_shr:2 row_mask:0xf bank_mask:0xf
	v_mov_b32_dpp v11, v7 row_shr:2 row_mask:0xf bank_mask:0xf
	v_add_f64 v[6:7], v[6:7], v[10:11]
	v_mov_b32_dpp v12, v8 row_shr:2 row_mask:0xf bank_mask:0xf
	v_mov_b32_dpp v13, v9 row_shr:2 row_mask:0xf bank_mask:0xf
	v_add_f64 v[8:9], v[8:9], v[12:13]
	;; [unrolled: 3-line block ×6, first 2 shown]
	v_mov_b32_dpp v10, v6 row_bcast:15 row_mask:0xa bank_mask:0xf
	v_mov_b32_dpp v11, v7 row_bcast:15 row_mask:0xa bank_mask:0xf
	v_add_f64 v[6:7], v[6:7], v[10:11]
	v_mov_b32_dpp v12, v8 row_bcast:15 row_mask:0xa bank_mask:0xf
	v_mov_b32_dpp v13, v9 row_bcast:15 row_mask:0xa bank_mask:0xf
	v_add_f64 v[10:11], v[8:9], v[12:13]
	v_mov_b32_dpp v8, v6 row_bcast:31 row_mask:0xc bank_mask:0xf
	v_mov_b32_dpp v9, v7 row_bcast:31 row_mask:0xc bank_mask:0xf
	;; [unrolled: 1-line block ×4, first 2 shown]
	s_and_b64 exec, exec, vcc
	s_cbranch_execz .LBB150_23
; %bb.19:
	v_add_f64 v[8:9], v[6:7], v[8:9]
	v_add_f64 v[6:7], v[10:11], v[12:13]
	v_cmp_eq_f64_e32 vcc, 0, v[3:4]
	s_load_dwordx2 s[0:1], s[4:5], 0x38
	s_and_saveexec_b64 s[2:3], vcc
	s_xor_b64 s[2:3], exec, s[2:3]
	s_cbranch_execz .LBB150_21
; %bb.20:
	v_mul_f64 v[3:4], v[1:2], v[8:9]
	v_lshlrev_b32_e32 v0, 1, v5
	v_mul_f64 v[5:6], v[1:2], v[6:7]
	v_ashrrev_i32_e32 v1, 31, v0
	v_lshlrev_b64 v[0:1], 3, v[0:1]
	s_waitcnt lgkmcnt(0)
	v_mov_b32_e32 v2, s1
	v_add_co_u32_e32 v0, vcc, s0, v0
	v_addc_co_u32_e32 v1, vcc, v2, v1, vcc
	global_store_dwordx4 v[0:1], v[3:6], off
                                        ; implicit-def: $vgpr5
                                        ; implicit-def: $vgpr1_vgpr2
                                        ; implicit-def: $vgpr8_vgpr9
                                        ; implicit-def: $vgpr3_vgpr4
                                        ; implicit-def: $vgpr6_vgpr7
.LBB150_21:
	s_andn2_saveexec_b64 s[2:3], s[2:3]
	s_cbranch_execz .LBB150_23
; %bb.22:
	v_lshlrev_b32_e32 v10, 1, v5
	v_ashrrev_i32_e32 v11, 31, v10
	v_lshlrev_b64 v[10:11], 3, v[10:11]
	s_waitcnt lgkmcnt(0)
	v_mov_b32_e32 v0, s1
	v_add_co_u32_e32 v14, vcc, s0, v10
	v_addc_co_u32_e32 v15, vcc, v0, v11, vcc
	global_load_dwordx4 v[10:13], v[14:15], off
	v_mul_f64 v[8:9], v[1:2], v[8:9]
	v_mul_f64 v[5:6], v[1:2], v[6:7]
	s_waitcnt vmcnt(0)
	v_fma_f64 v[0:1], v[3:4], v[10:11], v[8:9]
	v_fma_f64 v[2:3], v[3:4], v[12:13], v[5:6]
	global_store_dwordx4 v[14:15], v[0:3], off
.LBB150_23:
	s_endpgm
	.section	.rodata,"a",@progbits
	.p2align	6, 0x0
	.amdhsa_kernel _ZN9rocsparseL19gebsrmvn_2xn_kernelILj128ELj16ELj64EdEEvi20rocsparse_direction_NS_24const_host_device_scalarIT2_EEPKiS6_PKS3_S8_S4_PS3_21rocsparse_index_base_b
		.amdhsa_group_segment_fixed_size 0
		.amdhsa_private_segment_fixed_size 0
		.amdhsa_kernarg_size 72
		.amdhsa_user_sgpr_count 6
		.amdhsa_user_sgpr_private_segment_buffer 1
		.amdhsa_user_sgpr_dispatch_ptr 0
		.amdhsa_user_sgpr_queue_ptr 0
		.amdhsa_user_sgpr_kernarg_segment_ptr 1
		.amdhsa_user_sgpr_dispatch_id 0
		.amdhsa_user_sgpr_flat_scratch_init 0
		.amdhsa_user_sgpr_private_segment_size 0
		.amdhsa_uses_dynamic_stack 0
		.amdhsa_system_sgpr_private_segment_wavefront_offset 0
		.amdhsa_system_sgpr_workgroup_id_x 1
		.amdhsa_system_sgpr_workgroup_id_y 0
		.amdhsa_system_sgpr_workgroup_id_z 0
		.amdhsa_system_sgpr_workgroup_info 0
		.amdhsa_system_vgpr_workitem_id 0
		.amdhsa_next_free_vgpr 55
		.amdhsa_next_free_sgpr 16
		.amdhsa_reserve_vcc 1
		.amdhsa_reserve_flat_scratch 0
		.amdhsa_float_round_mode_32 0
		.amdhsa_float_round_mode_16_64 0
		.amdhsa_float_denorm_mode_32 3
		.amdhsa_float_denorm_mode_16_64 3
		.amdhsa_dx10_clamp 1
		.amdhsa_ieee_mode 1
		.amdhsa_fp16_overflow 0
		.amdhsa_exception_fp_ieee_invalid_op 0
		.amdhsa_exception_fp_denorm_src 0
		.amdhsa_exception_fp_ieee_div_zero 0
		.amdhsa_exception_fp_ieee_overflow 0
		.amdhsa_exception_fp_ieee_underflow 0
		.amdhsa_exception_fp_ieee_inexact 0
		.amdhsa_exception_int_div_zero 0
	.end_amdhsa_kernel
	.section	.text._ZN9rocsparseL19gebsrmvn_2xn_kernelILj128ELj16ELj64EdEEvi20rocsparse_direction_NS_24const_host_device_scalarIT2_EEPKiS6_PKS3_S8_S4_PS3_21rocsparse_index_base_b,"axG",@progbits,_ZN9rocsparseL19gebsrmvn_2xn_kernelILj128ELj16ELj64EdEEvi20rocsparse_direction_NS_24const_host_device_scalarIT2_EEPKiS6_PKS3_S8_S4_PS3_21rocsparse_index_base_b,comdat
.Lfunc_end150:
	.size	_ZN9rocsparseL19gebsrmvn_2xn_kernelILj128ELj16ELj64EdEEvi20rocsparse_direction_NS_24const_host_device_scalarIT2_EEPKiS6_PKS3_S8_S4_PS3_21rocsparse_index_base_b, .Lfunc_end150-_ZN9rocsparseL19gebsrmvn_2xn_kernelILj128ELj16ELj64EdEEvi20rocsparse_direction_NS_24const_host_device_scalarIT2_EEPKiS6_PKS3_S8_S4_PS3_21rocsparse_index_base_b
                                        ; -- End function
	.set _ZN9rocsparseL19gebsrmvn_2xn_kernelILj128ELj16ELj64EdEEvi20rocsparse_direction_NS_24const_host_device_scalarIT2_EEPKiS6_PKS3_S8_S4_PS3_21rocsparse_index_base_b.num_vgpr, 55
	.set _ZN9rocsparseL19gebsrmvn_2xn_kernelILj128ELj16ELj64EdEEvi20rocsparse_direction_NS_24const_host_device_scalarIT2_EEPKiS6_PKS3_S8_S4_PS3_21rocsparse_index_base_b.num_agpr, 0
	.set _ZN9rocsparseL19gebsrmvn_2xn_kernelILj128ELj16ELj64EdEEvi20rocsparse_direction_NS_24const_host_device_scalarIT2_EEPKiS6_PKS3_S8_S4_PS3_21rocsparse_index_base_b.numbered_sgpr, 16
	.set _ZN9rocsparseL19gebsrmvn_2xn_kernelILj128ELj16ELj64EdEEvi20rocsparse_direction_NS_24const_host_device_scalarIT2_EEPKiS6_PKS3_S8_S4_PS3_21rocsparse_index_base_b.num_named_barrier, 0
	.set _ZN9rocsparseL19gebsrmvn_2xn_kernelILj128ELj16ELj64EdEEvi20rocsparse_direction_NS_24const_host_device_scalarIT2_EEPKiS6_PKS3_S8_S4_PS3_21rocsparse_index_base_b.private_seg_size, 0
	.set _ZN9rocsparseL19gebsrmvn_2xn_kernelILj128ELj16ELj64EdEEvi20rocsparse_direction_NS_24const_host_device_scalarIT2_EEPKiS6_PKS3_S8_S4_PS3_21rocsparse_index_base_b.uses_vcc, 1
	.set _ZN9rocsparseL19gebsrmvn_2xn_kernelILj128ELj16ELj64EdEEvi20rocsparse_direction_NS_24const_host_device_scalarIT2_EEPKiS6_PKS3_S8_S4_PS3_21rocsparse_index_base_b.uses_flat_scratch, 0
	.set _ZN9rocsparseL19gebsrmvn_2xn_kernelILj128ELj16ELj64EdEEvi20rocsparse_direction_NS_24const_host_device_scalarIT2_EEPKiS6_PKS3_S8_S4_PS3_21rocsparse_index_base_b.has_dyn_sized_stack, 0
	.set _ZN9rocsparseL19gebsrmvn_2xn_kernelILj128ELj16ELj64EdEEvi20rocsparse_direction_NS_24const_host_device_scalarIT2_EEPKiS6_PKS3_S8_S4_PS3_21rocsparse_index_base_b.has_recursion, 0
	.set _ZN9rocsparseL19gebsrmvn_2xn_kernelILj128ELj16ELj64EdEEvi20rocsparse_direction_NS_24const_host_device_scalarIT2_EEPKiS6_PKS3_S8_S4_PS3_21rocsparse_index_base_b.has_indirect_call, 0
	.section	.AMDGPU.csdata,"",@progbits
; Kernel info:
; codeLenInByte = 2076
; TotalNumSgprs: 20
; NumVgprs: 55
; ScratchSize: 0
; MemoryBound: 1
; FloatMode: 240
; IeeeMode: 1
; LDSByteSize: 0 bytes/workgroup (compile time only)
; SGPRBlocks: 2
; VGPRBlocks: 13
; NumSGPRsForWavesPerEU: 20
; NumVGPRsForWavesPerEU: 55
; Occupancy: 4
; WaveLimiterHint : 1
; COMPUTE_PGM_RSRC2:SCRATCH_EN: 0
; COMPUTE_PGM_RSRC2:USER_SGPR: 6
; COMPUTE_PGM_RSRC2:TRAP_HANDLER: 0
; COMPUTE_PGM_RSRC2:TGID_X_EN: 1
; COMPUTE_PGM_RSRC2:TGID_Y_EN: 0
; COMPUTE_PGM_RSRC2:TGID_Z_EN: 0
; COMPUTE_PGM_RSRC2:TIDIG_COMP_CNT: 0
	.section	.text._ZN9rocsparseL23gebsrmvn_general_kernelILj32ELj32EdEEvi20rocsparse_direction_NS_24const_host_device_scalarIT1_EEPKiS6_PKS3_iiS8_S4_PS3_21rocsparse_index_base_b,"axG",@progbits,_ZN9rocsparseL23gebsrmvn_general_kernelILj32ELj32EdEEvi20rocsparse_direction_NS_24const_host_device_scalarIT1_EEPKiS6_PKS3_iiS8_S4_PS3_21rocsparse_index_base_b,comdat
	.globl	_ZN9rocsparseL23gebsrmvn_general_kernelILj32ELj32EdEEvi20rocsparse_direction_NS_24const_host_device_scalarIT1_EEPKiS6_PKS3_iiS8_S4_PS3_21rocsparse_index_base_b ; -- Begin function _ZN9rocsparseL23gebsrmvn_general_kernelILj32ELj32EdEEvi20rocsparse_direction_NS_24const_host_device_scalarIT1_EEPKiS6_PKS3_iiS8_S4_PS3_21rocsparse_index_base_b
	.p2align	8
	.type	_ZN9rocsparseL23gebsrmvn_general_kernelILj32ELj32EdEEvi20rocsparse_direction_NS_24const_host_device_scalarIT1_EEPKiS6_PKS3_iiS8_S4_PS3_21rocsparse_index_base_b,@function
_ZN9rocsparseL23gebsrmvn_general_kernelILj32ELj32EdEEvi20rocsparse_direction_NS_24const_host_device_scalarIT1_EEPKiS6_PKS3_iiS8_S4_PS3_21rocsparse_index_base_b: ; @_ZN9rocsparseL23gebsrmvn_general_kernelILj32ELj32EdEEvi20rocsparse_direction_NS_24const_host_device_scalarIT1_EEPKiS6_PKS3_iiS8_S4_PS3_21rocsparse_index_base_b
; %bb.0:
	s_load_dwordx2 s[12:13], s[4:5], 0x48
	s_load_dwordx2 s[8:9], s[4:5], 0x8
	;; [unrolled: 1-line block ×3, first 2 shown]
	s_waitcnt lgkmcnt(0)
	s_bitcmp1_b32 s13, 0
	s_cselect_b64 s[10:11], -1, 0
	v_mov_b32_e32 v1, s8
	s_xor_b64 s[2:3], s[10:11], -1
	s_and_b64 vcc, exec, s[10:11]
	v_mov_b32_e32 v2, s9
	s_cbranch_vccnz .LBB151_2
; %bb.1:
	v_mov_b32_e32 v1, s8
	v_mov_b32_e32 v2, s9
	flat_load_dwordx2 v[1:2], v[1:2]
.LBB151_2:
	v_mov_b32_e32 v4, s1
	s_andn2_b64 vcc, exec, s[2:3]
	v_mov_b32_e32 v3, s0
	s_cbranch_vccnz .LBB151_4
; %bb.3:
	v_mov_b32_e32 v4, s1
	v_mov_b32_e32 v3, s0
	flat_load_dwordx2 v[3:4], v[3:4]
.LBB151_4:
	s_waitcnt vmcnt(0) lgkmcnt(0)
	v_cmp_neq_f64_e32 vcc, 0, v[1:2]
	v_cmp_neq_f64_e64 s[0:1], 1.0, v[3:4]
	s_or_b64 s[0:1], vcc, s[0:1]
	s_and_saveexec_b64 s[2:3], s[0:1]
	s_cbranch_execz .LBB151_24
; %bb.5:
	s_load_dwordx2 s[14:15], s[4:5], 0x28
	s_waitcnt lgkmcnt(0)
	s_cmp_gt_i32 s14, 0
	s_cselect_b64 s[0:1], -1, 0
	s_and_b64 exec, exec, s[0:1]
	s_cbranch_execz .LBB151_24
; %bb.6:
	s_load_dwordx4 s[8:11], s[4:5], 0x10
	s_load_dword s20, s[4:5], 0x4
	s_ashr_i32 s7, s6, 31
	s_lshl_b64 s[0:1], s[6:7], 2
	s_mul_i32 s34, s14, s6
	s_waitcnt lgkmcnt(0)
	s_add_u32 s0, s8, s0
	s_addc_u32 s1, s9, s1
	s_load_dwordx2 s[2:3], s[0:1], 0x0
	s_load_dwordx2 s[8:9], s[4:5], 0x20
	s_load_dwordx2 s[16:17], s[4:5], 0x30
	s_load_dwordx2 s[18:19], s[4:5], 0x40
	v_cmp_eq_f64_e64 s[4:5], 0, v[3:4]
	s_waitcnt lgkmcnt(0)
	s_sub_i32 s13, s2, s12
	s_sub_i32 s33, s3, s12
	s_cmp_lt_i32 s2, s3
	s_cselect_b64 s[24:25], -1, 0
	s_mul_i32 s6, s14, s13
	s_cmp_lg_u32 s20, 0
	s_mul_i32 s6, s15, s6
	v_cndmask_b32_e64 v6, 0, 1, s[24:25]
	v_mov_b32_e32 v5, 0
	v_cmp_gt_i32_e64 s[0:1], s15, v0
	s_cselect_b64 s[20:21], -1, 0
	v_cmp_eq_u32_e64 s[2:3], 31, v0
	s_mov_b64 s[22:23], 0
	v_mov_b32_e32 v10, s6
	s_mul_i32 s35, s15, s14
	v_cmp_ne_u32_e64 s[6:7], 1, v6
	s_branch .LBB151_8
.LBB151_7:                              ;   in Loop: Header=BB151_8 Depth=1
	s_or_b64 exec, exec, s[24:25]
	v_add_u32_e32 v5, 1, v5
	v_cmp_le_i32_e32 vcc, s14, v5
	s_or_b64 s[22:23], vcc, s[22:23]
	v_add_u32_e32 v10, s15, v10
	s_andn2_b64 exec, exec, s[22:23]
	s_cbranch_execz .LBB151_24
.LBB151_8:                              ; =>This Loop Header: Depth=1
                                        ;     Child Loop BB151_12 Depth 2
                                        ;       Child Loop BB151_15 Depth 3
	v_mov_b32_e32 v6, 0
	v_mov_b32_e32 v7, 0
	s_and_b64 vcc, exec, s[6:7]
	s_cbranch_vccnz .LBB151_19
; %bb.9:                                ;   in Loop: Header=BB151_8 Depth=1
	v_mov_b32_e32 v6, 0
	v_mov_b32_e32 v7, 0
	;; [unrolled: 1-line block ×3, first 2 shown]
	s_mov_b32 s24, s13
	s_branch .LBB151_12
.LBB151_10:                             ;   in Loop: Header=BB151_12 Depth=2
	s_or_b64 exec, exec, s[28:29]
.LBB151_11:                             ;   in Loop: Header=BB151_12 Depth=2
	s_or_b64 exec, exec, s[26:27]
	s_add_i32 s24, s24, 1
	s_cmp_ge_i32 s24, s33
	v_add_u32_e32 v11, s35, v11
	s_cbranch_scc1 .LBB151_19
.LBB151_12:                             ;   Parent Loop BB151_8 Depth=1
                                        ; =>  This Loop Header: Depth=2
                                        ;       Child Loop BB151_15 Depth 3
	s_and_saveexec_b64 s[26:27], s[0:1]
	s_cbranch_execz .LBB151_11
; %bb.13:                               ;   in Loop: Header=BB151_12 Depth=2
	s_ashr_i32 s25, s24, 31
	s_lshl_b64 s[28:29], s[24:25], 2
	s_add_u32 s28, s10, s28
	s_addc_u32 s29, s11, s29
	s_load_dword s30, s[28:29], 0x0
	s_mul_i32 s25, s24, s15
	s_mov_b64 s[28:29], 0
	v_mov_b32_e32 v12, v0
	s_waitcnt lgkmcnt(0)
	s_sub_i32 s36, s30, s12
	s_mul_i32 s36, s36, s15
	s_branch .LBB151_15
.LBB151_14:                             ;   in Loop: Header=BB151_15 Depth=3
	v_ashrrev_i32_e32 v9, 31, v8
	v_lshlrev_b64 v[8:9], 3, v[8:9]
	v_mov_b32_e32 v13, s9
	v_add_co_u32_e32 v8, vcc, s8, v8
	v_addc_co_u32_e32 v9, vcc, v13, v9, vcc
	v_add_u32_e32 v13, s36, v12
	v_ashrrev_i32_e32 v14, 31, v13
	v_lshlrev_b64 v[13:14], 3, v[13:14]
	v_mov_b32_e32 v15, s17
	v_add_co_u32_e32 v13, vcc, s16, v13
	v_addc_co_u32_e32 v14, vcc, v15, v14, vcc
	global_load_dwordx2 v[8:9], v[8:9], off
	v_add_u32_e32 v12, 32, v12
	global_load_dwordx2 v[13:14], v[13:14], off
	v_cmp_le_i32_e32 vcc, s15, v12
	s_or_b64 s[28:29], vcc, s[28:29]
	s_waitcnt vmcnt(0)
	v_fma_f64 v[6:7], v[8:9], v[13:14], v[6:7]
	s_andn2_b64 exec, exec, s[28:29]
	s_cbranch_execz .LBB151_10
.LBB151_15:                             ;   Parent Loop BB151_8 Depth=1
                                        ;     Parent Loop BB151_12 Depth=2
                                        ; =>    This Inner Loop Header: Depth=3
	s_and_b64 vcc, exec, s[20:21]
	s_cbranch_vccz .LBB151_17
; %bb.16:                               ;   in Loop: Header=BB151_15 Depth=3
	v_add_u32_e32 v8, s25, v12
	v_mad_u64_u32 v[8:9], s[30:31], v8, s14, v[5:6]
	s_cbranch_execnz .LBB151_14
	s_branch .LBB151_18
.LBB151_17:                             ;   in Loop: Header=BB151_15 Depth=3
                                        ; implicit-def: $vgpr8
.LBB151_18:                             ;   in Loop: Header=BB151_15 Depth=3
	v_add_u32_e32 v8, v11, v12
	s_branch .LBB151_14
.LBB151_19:                             ;   in Loop: Header=BB151_8 Depth=1
	v_mov_b32_dpp v8, v6 row_shr:1 row_mask:0xf bank_mask:0xf
	v_mov_b32_dpp v9, v7 row_shr:1 row_mask:0xf bank_mask:0xf
	v_add_f64 v[6:7], v[6:7], v[8:9]
	s_nop 1
	v_mov_b32_dpp v8, v6 row_shr:2 row_mask:0xf bank_mask:0xf
	v_mov_b32_dpp v9, v7 row_shr:2 row_mask:0xf bank_mask:0xf
	v_add_f64 v[6:7], v[6:7], v[8:9]
	s_nop 1
	;; [unrolled: 4-line block ×4, first 2 shown]
	v_mov_b32_dpp v8, v6 row_bcast:15 row_mask:0xa bank_mask:0xf
	v_mov_b32_dpp v9, v7 row_bcast:15 row_mask:0xa bank_mask:0xf
	s_and_saveexec_b64 s[24:25], s[2:3]
	s_cbranch_execz .LBB151_7
; %bb.20:                               ;   in Loop: Header=BB151_8 Depth=1
	v_add_f64 v[6:7], v[6:7], v[8:9]
	v_add_u32_e32 v8, s34, v5
	v_ashrrev_i32_e32 v9, 31, v8
	v_mul_f64 v[6:7], v[1:2], v[6:7]
	s_and_saveexec_b64 s[26:27], s[4:5]
	s_xor_b64 s[26:27], exec, s[26:27]
	s_cbranch_execz .LBB151_22
; %bb.21:                               ;   in Loop: Header=BB151_8 Depth=1
	v_lshlrev_b64 v[8:9], 3, v[8:9]
	v_mov_b32_e32 v11, s19
	v_add_co_u32_e32 v8, vcc, s18, v8
	v_addc_co_u32_e32 v9, vcc, v11, v9, vcc
	global_store_dwordx2 v[8:9], v[6:7], off
                                        ; implicit-def: $vgpr8
                                        ; implicit-def: $vgpr6_vgpr7
.LBB151_22:                             ;   in Loop: Header=BB151_8 Depth=1
	s_andn2_saveexec_b64 s[26:27], s[26:27]
	s_cbranch_execz .LBB151_7
; %bb.23:                               ;   in Loop: Header=BB151_8 Depth=1
	v_lshlrev_b64 v[8:9], 3, v[8:9]
	v_mov_b32_e32 v11, s19
	v_add_co_u32_e32 v8, vcc, s18, v8
	v_addc_co_u32_e32 v9, vcc, v11, v9, vcc
	global_load_dwordx2 v[11:12], v[8:9], off
	s_waitcnt vmcnt(0)
	v_fma_f64 v[6:7], v[3:4], v[11:12], v[6:7]
	global_store_dwordx2 v[8:9], v[6:7], off
	s_branch .LBB151_7
.LBB151_24:
	s_endpgm
	.section	.rodata,"a",@progbits
	.p2align	6, 0x0
	.amdhsa_kernel _ZN9rocsparseL23gebsrmvn_general_kernelILj32ELj32EdEEvi20rocsparse_direction_NS_24const_host_device_scalarIT1_EEPKiS6_PKS3_iiS8_S4_PS3_21rocsparse_index_base_b
		.amdhsa_group_segment_fixed_size 0
		.amdhsa_private_segment_fixed_size 0
		.amdhsa_kernarg_size 80
		.amdhsa_user_sgpr_count 6
		.amdhsa_user_sgpr_private_segment_buffer 1
		.amdhsa_user_sgpr_dispatch_ptr 0
		.amdhsa_user_sgpr_queue_ptr 0
		.amdhsa_user_sgpr_kernarg_segment_ptr 1
		.amdhsa_user_sgpr_dispatch_id 0
		.amdhsa_user_sgpr_flat_scratch_init 0
		.amdhsa_user_sgpr_private_segment_size 0
		.amdhsa_uses_dynamic_stack 0
		.amdhsa_system_sgpr_private_segment_wavefront_offset 0
		.amdhsa_system_sgpr_workgroup_id_x 1
		.amdhsa_system_sgpr_workgroup_id_y 0
		.amdhsa_system_sgpr_workgroup_id_z 0
		.amdhsa_system_sgpr_workgroup_info 0
		.amdhsa_system_vgpr_workitem_id 0
		.amdhsa_next_free_vgpr 16
		.amdhsa_next_free_sgpr 37
		.amdhsa_reserve_vcc 1
		.amdhsa_reserve_flat_scratch 0
		.amdhsa_float_round_mode_32 0
		.amdhsa_float_round_mode_16_64 0
		.amdhsa_float_denorm_mode_32 3
		.amdhsa_float_denorm_mode_16_64 3
		.amdhsa_dx10_clamp 1
		.amdhsa_ieee_mode 1
		.amdhsa_fp16_overflow 0
		.amdhsa_exception_fp_ieee_invalid_op 0
		.amdhsa_exception_fp_denorm_src 0
		.amdhsa_exception_fp_ieee_div_zero 0
		.amdhsa_exception_fp_ieee_overflow 0
		.amdhsa_exception_fp_ieee_underflow 0
		.amdhsa_exception_fp_ieee_inexact 0
		.amdhsa_exception_int_div_zero 0
	.end_amdhsa_kernel
	.section	.text._ZN9rocsparseL23gebsrmvn_general_kernelILj32ELj32EdEEvi20rocsparse_direction_NS_24const_host_device_scalarIT1_EEPKiS6_PKS3_iiS8_S4_PS3_21rocsparse_index_base_b,"axG",@progbits,_ZN9rocsparseL23gebsrmvn_general_kernelILj32ELj32EdEEvi20rocsparse_direction_NS_24const_host_device_scalarIT1_EEPKiS6_PKS3_iiS8_S4_PS3_21rocsparse_index_base_b,comdat
.Lfunc_end151:
	.size	_ZN9rocsparseL23gebsrmvn_general_kernelILj32ELj32EdEEvi20rocsparse_direction_NS_24const_host_device_scalarIT1_EEPKiS6_PKS3_iiS8_S4_PS3_21rocsparse_index_base_b, .Lfunc_end151-_ZN9rocsparseL23gebsrmvn_general_kernelILj32ELj32EdEEvi20rocsparse_direction_NS_24const_host_device_scalarIT1_EEPKiS6_PKS3_iiS8_S4_PS3_21rocsparse_index_base_b
                                        ; -- End function
	.set _ZN9rocsparseL23gebsrmvn_general_kernelILj32ELj32EdEEvi20rocsparse_direction_NS_24const_host_device_scalarIT1_EEPKiS6_PKS3_iiS8_S4_PS3_21rocsparse_index_base_b.num_vgpr, 16
	.set _ZN9rocsparseL23gebsrmvn_general_kernelILj32ELj32EdEEvi20rocsparse_direction_NS_24const_host_device_scalarIT1_EEPKiS6_PKS3_iiS8_S4_PS3_21rocsparse_index_base_b.num_agpr, 0
	.set _ZN9rocsparseL23gebsrmvn_general_kernelILj32ELj32EdEEvi20rocsparse_direction_NS_24const_host_device_scalarIT1_EEPKiS6_PKS3_iiS8_S4_PS3_21rocsparse_index_base_b.numbered_sgpr, 37
	.set _ZN9rocsparseL23gebsrmvn_general_kernelILj32ELj32EdEEvi20rocsparse_direction_NS_24const_host_device_scalarIT1_EEPKiS6_PKS3_iiS8_S4_PS3_21rocsparse_index_base_b.num_named_barrier, 0
	.set _ZN9rocsparseL23gebsrmvn_general_kernelILj32ELj32EdEEvi20rocsparse_direction_NS_24const_host_device_scalarIT1_EEPKiS6_PKS3_iiS8_S4_PS3_21rocsparse_index_base_b.private_seg_size, 0
	.set _ZN9rocsparseL23gebsrmvn_general_kernelILj32ELj32EdEEvi20rocsparse_direction_NS_24const_host_device_scalarIT1_EEPKiS6_PKS3_iiS8_S4_PS3_21rocsparse_index_base_b.uses_vcc, 1
	.set _ZN9rocsparseL23gebsrmvn_general_kernelILj32ELj32EdEEvi20rocsparse_direction_NS_24const_host_device_scalarIT1_EEPKiS6_PKS3_iiS8_S4_PS3_21rocsparse_index_base_b.uses_flat_scratch, 0
	.set _ZN9rocsparseL23gebsrmvn_general_kernelILj32ELj32EdEEvi20rocsparse_direction_NS_24const_host_device_scalarIT1_EEPKiS6_PKS3_iiS8_S4_PS3_21rocsparse_index_base_b.has_dyn_sized_stack, 0
	.set _ZN9rocsparseL23gebsrmvn_general_kernelILj32ELj32EdEEvi20rocsparse_direction_NS_24const_host_device_scalarIT1_EEPKiS6_PKS3_iiS8_S4_PS3_21rocsparse_index_base_b.has_recursion, 0
	.set _ZN9rocsparseL23gebsrmvn_general_kernelILj32ELj32EdEEvi20rocsparse_direction_NS_24const_host_device_scalarIT1_EEPKiS6_PKS3_iiS8_S4_PS3_21rocsparse_index_base_b.has_indirect_call, 0
	.section	.AMDGPU.csdata,"",@progbits
; Kernel info:
; codeLenInByte = 876
; TotalNumSgprs: 41
; NumVgprs: 16
; ScratchSize: 0
; MemoryBound: 0
; FloatMode: 240
; IeeeMode: 1
; LDSByteSize: 0 bytes/workgroup (compile time only)
; SGPRBlocks: 5
; VGPRBlocks: 3
; NumSGPRsForWavesPerEU: 41
; NumVGPRsForWavesPerEU: 16
; Occupancy: 10
; WaveLimiterHint : 1
; COMPUTE_PGM_RSRC2:SCRATCH_EN: 0
; COMPUTE_PGM_RSRC2:USER_SGPR: 6
; COMPUTE_PGM_RSRC2:TRAP_HANDLER: 0
; COMPUTE_PGM_RSRC2:TGID_X_EN: 1
; COMPUTE_PGM_RSRC2:TGID_Y_EN: 0
; COMPUTE_PGM_RSRC2:TGID_Z_EN: 0
; COMPUTE_PGM_RSRC2:TIDIG_COMP_CNT: 0
	.section	.text._ZN9rocsparseL19gebsrmvn_2xn_kernelILj128ELj1ELj4E21rocsparse_complex_numIfEEEvi20rocsparse_direction_NS_24const_host_device_scalarIT2_EEPKiS8_PKS5_SA_S6_PS5_21rocsparse_index_base_b,"axG",@progbits,_ZN9rocsparseL19gebsrmvn_2xn_kernelILj128ELj1ELj4E21rocsparse_complex_numIfEEEvi20rocsparse_direction_NS_24const_host_device_scalarIT2_EEPKiS8_PKS5_SA_S6_PS5_21rocsparse_index_base_b,comdat
	.globl	_ZN9rocsparseL19gebsrmvn_2xn_kernelILj128ELj1ELj4E21rocsparse_complex_numIfEEEvi20rocsparse_direction_NS_24const_host_device_scalarIT2_EEPKiS8_PKS5_SA_S6_PS5_21rocsparse_index_base_b ; -- Begin function _ZN9rocsparseL19gebsrmvn_2xn_kernelILj128ELj1ELj4E21rocsparse_complex_numIfEEEvi20rocsparse_direction_NS_24const_host_device_scalarIT2_EEPKiS8_PKS5_SA_S6_PS5_21rocsparse_index_base_b
	.p2align	8
	.type	_ZN9rocsparseL19gebsrmvn_2xn_kernelILj128ELj1ELj4E21rocsparse_complex_numIfEEEvi20rocsparse_direction_NS_24const_host_device_scalarIT2_EEPKiS8_PKS5_SA_S6_PS5_21rocsparse_index_base_b,@function
_ZN9rocsparseL19gebsrmvn_2xn_kernelILj128ELj1ELj4E21rocsparse_complex_numIfEEEvi20rocsparse_direction_NS_24const_host_device_scalarIT2_EEPKiS8_PKS5_SA_S6_PS5_21rocsparse_index_base_b: ; @_ZN9rocsparseL19gebsrmvn_2xn_kernelILj128ELj1ELj4E21rocsparse_complex_numIfEEEvi20rocsparse_direction_NS_24const_host_device_scalarIT2_EEPKiS8_PKS5_SA_S6_PS5_21rocsparse_index_base_b
; %bb.0:
	s_load_dwordx2 s[0:1], s[4:5], 0x8
	s_load_dwordx2 s[8:9], s[4:5], 0x30
	s_load_dwordx2 s[2:3], s[4:5], 0x40
	s_add_u32 s7, s4, 8
	s_addc_u32 s10, s5, 0
	s_add_u32 s11, s4, 48
	s_addc_u32 s12, s5, 0
	s_waitcnt lgkmcnt(0)
	s_bitcmp1_b32 s3, 0
	s_cselect_b32 s1, s10, s1
	s_cselect_b32 s0, s7, s0
	v_mov_b32_e32 v1, s0
	v_mov_b32_e32 v2, s1
	flat_load_dwordx2 v[1:2], v[1:2]
	s_cselect_b32 s0, s12, s9
	s_cselect_b32 s1, s11, s8
	v_mov_b32_e32 v3, s1
	v_mov_b32_e32 v4, s0
	flat_load_dwordx2 v[3:4], v[3:4]
	s_waitcnt vmcnt(0) lgkmcnt(0)
	v_cmp_eq_f32_e32 vcc, 0, v1
	v_cmp_eq_f32_e64 s[0:1], 0, v2
	s_and_b64 s[10:11], vcc, s[0:1]
	s_mov_b64 s[0:1], -1
	s_and_saveexec_b64 s[8:9], s[10:11]
; %bb.1:
	v_cmp_neq_f32_e32 vcc, 1.0, v3
	v_cmp_neq_f32_e64 s[0:1], 0, v4
	s_or_b64 s[0:1], vcc, s[0:1]
	s_orn2_b64 s[0:1], s[0:1], exec
; %bb.2:
	s_or_b64 exec, exec, s[8:9]
	s_and_saveexec_b64 s[8:9], s[0:1]
	s_cbranch_execz .LBB152_21
; %bb.3:
	s_load_dwordx2 s[0:1], s[4:5], 0x0
	v_lshrrev_b32_e32 v5, 2, v0
	v_lshl_or_b32 v5, s6, 5, v5
	s_waitcnt lgkmcnt(0)
	v_cmp_gt_i32_e32 vcc, s0, v5
	s_and_b64 exec, exec, vcc
	s_cbranch_execz .LBB152_21
; %bb.4:
	s_load_dwordx8 s[8:15], s[4:5], 0x10
	v_ashrrev_i32_e32 v6, 31, v5
	v_lshlrev_b64 v[6:7], 2, v[5:6]
	v_and_b32_e32 v0, 3, v0
	s_cmp_lg_u32 s1, 0
	s_waitcnt lgkmcnt(0)
	v_mov_b32_e32 v8, s9
	v_add_co_u32_e32 v6, vcc, s8, v6
	v_addc_co_u32_e32 v7, vcc, v8, v7, vcc
	global_load_dwordx2 v[6:7], v[6:7], off
	s_waitcnt vmcnt(0)
	v_subrev_u32_e32 v6, s2, v6
	v_subrev_u32_e32 v11, s2, v7
	v_add_u32_e32 v6, v6, v0
	v_cmp_lt_i32_e64 s[0:1], v6, v11
	s_cbranch_scc0 .LBB152_10
; %bb.5:
	v_mov_b32_e32 v12, 0
	v_mov_b32_e32 v14, 0
	;; [unrolled: 1-line block ×4, first 2 shown]
	s_and_saveexec_b64 s[6:7], s[0:1]
	s_cbranch_execz .LBB152_9
; %bb.6:
	v_mov_b32_e32 v8, 0
	v_lshlrev_b32_e32 v7, 1, v6
	s_mov_b64 s[8:9], 0
	v_mov_b32_e32 v16, s11
	v_mov_b32_e32 v17, s13
	;; [unrolled: 1-line block ×8, first 2 shown]
.LBB152_7:                              ; =>This Inner Loop Header: Depth=1
	v_ashrrev_i32_e32 v10, 31, v9
	v_lshlrev_b64 v[19:20], 2, v[9:10]
	v_mov_b32_e32 v24, v8
	v_add_co_u32_e32 v19, vcc, s10, v19
	v_addc_co_u32_e32 v20, vcc, v16, v20, vcc
	global_load_dword v10, v[19:20], off
	v_lshlrev_b64 v[19:20], 3, v[7:8]
	v_add_u32_e32 v9, 4, v9
	v_add_co_u32_e32 v19, vcc, s12, v19
	v_addc_co_u32_e32 v20, vcc, v17, v20, vcc
	global_load_dwordx4 v[19:22], v[19:20], off
	v_add_u32_e32 v7, 8, v7
	s_waitcnt vmcnt(1)
	v_subrev_u32_e32 v23, s2, v10
	v_lshlrev_b64 v[23:24], 3, v[23:24]
	v_add_co_u32_e32 v23, vcc, s14, v23
	v_addc_co_u32_e32 v24, vcc, v18, v24, vcc
	global_load_dwordx2 v[23:24], v[23:24], off
	v_cmp_ge_i32_e32 vcc, v9, v11
	s_or_b64 s[8:9], vcc, s[8:9]
	s_waitcnt vmcnt(0)
	v_fmac_f32_e32 v14, v19, v23
	v_fmac_f32_e32 v12, v20, v23
	v_fmac_f32_e32 v13, v21, v23
	v_fmac_f32_e32 v15, v22, v23
	v_fma_f32 v14, -v20, v24, v14
	v_fmac_f32_e32 v12, v19, v24
	v_fma_f32 v13, -v22, v24, v13
	v_fmac_f32_e32 v15, v21, v24
	s_andn2_b64 exec, exec, s[8:9]
	s_cbranch_execnz .LBB152_7
; %bb.8:
	s_or_b64 exec, exec, s[8:9]
.LBB152_9:
	s_or_b64 exec, exec, s[6:7]
	s_cbranch_execz .LBB152_11
	s_branch .LBB152_16
.LBB152_10:
                                        ; implicit-def: $vgpr12
                                        ; implicit-def: $vgpr14
                                        ; implicit-def: $vgpr13
                                        ; implicit-def: $vgpr15
.LBB152_11:
	v_mov_b32_e32 v12, 0
	v_mov_b32_e32 v14, 0
	;; [unrolled: 1-line block ×4, first 2 shown]
	s_and_saveexec_b64 s[6:7], s[0:1]
	s_cbranch_execz .LBB152_15
; %bb.12:
	v_mov_b32_e32 v9, 0
	v_lshlrev_b32_e32 v8, 1, v6
	s_mov_b64 s[0:1], 0
	v_mov_b32_e32 v10, s11
	v_mov_b32_e32 v16, s13
	;; [unrolled: 1-line block ×7, first 2 shown]
.LBB152_13:                             ; =>This Inner Loop Header: Depth=1
	v_ashrrev_i32_e32 v7, 31, v6
	v_lshlrev_b64 v[18:19], 2, v[6:7]
	v_mov_b32_e32 v23, v9
	v_add_co_u32_e32 v18, vcc, s10, v18
	v_addc_co_u32_e32 v19, vcc, v10, v19, vcc
	global_load_dword v7, v[18:19], off
	v_lshlrev_b64 v[18:19], 3, v[8:9]
	v_add_u32_e32 v6, 4, v6
	v_add_co_u32_e32 v18, vcc, s12, v18
	v_addc_co_u32_e32 v19, vcc, v16, v19, vcc
	global_load_dwordx4 v[18:21], v[18:19], off
	v_add_u32_e32 v8, 8, v8
	s_waitcnt vmcnt(1)
	v_subrev_u32_e32 v22, s2, v7
	v_lshlrev_b64 v[22:23], 3, v[22:23]
	v_add_co_u32_e32 v22, vcc, s14, v22
	v_addc_co_u32_e32 v23, vcc, v17, v23, vcc
	global_load_dwordx2 v[22:23], v[22:23], off
	v_cmp_ge_i32_e32 vcc, v6, v11
	s_or_b64 s[0:1], vcc, s[0:1]
	s_waitcnt vmcnt(0)
	v_fmac_f32_e32 v14, v18, v22
	v_fmac_f32_e32 v12, v19, v22
	;; [unrolled: 1-line block ×4, first 2 shown]
	v_fma_f32 v14, -v19, v23, v14
	v_fmac_f32_e32 v12, v18, v23
	v_fma_f32 v13, -v21, v23, v13
	v_fmac_f32_e32 v15, v20, v23
	s_andn2_b64 exec, exec, s[0:1]
	s_cbranch_execnz .LBB152_13
; %bb.14:
	s_or_b64 exec, exec, s[0:1]
.LBB152_15:
	s_or_b64 exec, exec, s[6:7]
.LBB152_16:
	v_mov_b32_dpp v8, v12 row_shr:1 row_mask:0xf bank_mask:0xf
	v_mov_b32_dpp v6, v14 row_shr:1 row_mask:0xf bank_mask:0xf
	v_add_f32_e32 v8, v12, v8
	v_mov_b32_dpp v10, v13 row_shr:1 row_mask:0xf bank_mask:0xf
	v_mov_b32_dpp v12, v15 row_shr:1 row_mask:0xf bank_mask:0xf
	v_add_f32_e32 v6, v14, v6
	v_add_f32_e32 v10, v13, v10
	;; [unrolled: 1-line block ×3, first 2 shown]
	v_mov_b32_dpp v7, v6 row_shr:2 row_mask:0xf bank_mask:0xf
	v_mov_b32_dpp v9, v8 row_shr:2 row_mask:0xf bank_mask:0xf
	;; [unrolled: 1-line block ×4, first 2 shown]
	v_cmp_eq_u32_e32 vcc, 3, v0
	s_and_b64 exec, exec, vcc
	s_cbranch_execz .LBB152_21
; %bb.17:
	s_load_dwordx2 s[2:3], s[4:5], 0x38
	v_cmp_eq_f32_e32 vcc, 0, v3
	v_cmp_eq_f32_e64 s[0:1], 0, v4
	v_add_f32_e32 v7, v6, v7
	v_add_f32_e32 v8, v8, v9
	;; [unrolled: 1-line block ×4, first 2 shown]
	s_and_b64 s[0:1], vcc, s[0:1]
	s_and_saveexec_b64 s[4:5], s[0:1]
	s_xor_b64 s[0:1], exec, s[4:5]
	s_cbranch_execz .LBB152_19
; %bb.18:
	v_mul_f32_e64 v3, v8, -v2
	v_mul_f32_e32 v4, v1, v8
	v_fmac_f32_e32 v3, v1, v7
	v_fmac_f32_e32 v4, v2, v7
	v_lshlrev_b32_e32 v7, 1, v5
	v_ashrrev_i32_e32 v8, 31, v7
	v_lshlrev_b64 v[7:8], 3, v[7:8]
	s_waitcnt lgkmcnt(0)
	v_mov_b32_e32 v5, s3
	v_add_co_u32_e32 v7, vcc, s2, v7
	v_addc_co_u32_e32 v8, vcc, v5, v8, vcc
	v_mul_f32_e64 v5, v6, -v2
	v_mul_f32_e32 v6, v1, v6
	v_fmac_f32_e32 v5, v1, v0
	v_fmac_f32_e32 v6, v2, v0
	global_store_dwordx4 v[7:8], v[3:6], off
                                        ; implicit-def: $vgpr5
                                        ; implicit-def: $vgpr1_vgpr2
                                        ; implicit-def: $vgpr8
                                        ; implicit-def: $vgpr7
                                        ; implicit-def: $vgpr3_vgpr4
                                        ; implicit-def: $vgpr6
                                        ; implicit-def: $vgpr0
.LBB152_19:
	s_andn2_saveexec_b64 s[0:1], s[0:1]
	s_cbranch_execz .LBB152_21
; %bb.20:
	v_lshlrev_b32_e32 v9, 1, v5
	v_ashrrev_i32_e32 v10, 31, v9
	v_lshlrev_b64 v[9:10], 3, v[9:10]
	s_waitcnt lgkmcnt(0)
	v_mov_b32_e32 v5, s3
	v_add_co_u32_e32 v17, vcc, s2, v9
	v_addc_co_u32_e32 v18, vcc, v5, v10, vcc
	global_load_dwordx4 v[9:12], v[17:18], off
	v_mul_f32_e64 v5, v8, -v2
	v_mul_f32_e32 v14, v1, v8
	v_mul_f32_e64 v8, v6, -v2
	v_mul_f32_e32 v16, v1, v6
	v_fmac_f32_e32 v5, v1, v7
	v_fmac_f32_e32 v14, v2, v7
	;; [unrolled: 1-line block ×4, first 2 shown]
	s_waitcnt vmcnt(0)
	v_fmac_f32_e32 v5, v3, v9
	v_fmac_f32_e32 v14, v4, v9
	;; [unrolled: 1-line block ×4, first 2 shown]
	v_fma_f32 v13, -v4, v10, v5
	v_fmac_f32_e32 v14, v3, v10
	v_fma_f32 v15, -v4, v12, v8
	v_fmac_f32_e32 v16, v3, v12
	global_store_dwordx4 v[17:18], v[13:16], off
.LBB152_21:
	s_endpgm
	.section	.rodata,"a",@progbits
	.p2align	6, 0x0
	.amdhsa_kernel _ZN9rocsparseL19gebsrmvn_2xn_kernelILj128ELj1ELj4E21rocsparse_complex_numIfEEEvi20rocsparse_direction_NS_24const_host_device_scalarIT2_EEPKiS8_PKS5_SA_S6_PS5_21rocsparse_index_base_b
		.amdhsa_group_segment_fixed_size 0
		.amdhsa_private_segment_fixed_size 0
		.amdhsa_kernarg_size 72
		.amdhsa_user_sgpr_count 6
		.amdhsa_user_sgpr_private_segment_buffer 1
		.amdhsa_user_sgpr_dispatch_ptr 0
		.amdhsa_user_sgpr_queue_ptr 0
		.amdhsa_user_sgpr_kernarg_segment_ptr 1
		.amdhsa_user_sgpr_dispatch_id 0
		.amdhsa_user_sgpr_flat_scratch_init 0
		.amdhsa_user_sgpr_private_segment_size 0
		.amdhsa_uses_dynamic_stack 0
		.amdhsa_system_sgpr_private_segment_wavefront_offset 0
		.amdhsa_system_sgpr_workgroup_id_x 1
		.amdhsa_system_sgpr_workgroup_id_y 0
		.amdhsa_system_sgpr_workgroup_id_z 0
		.amdhsa_system_sgpr_workgroup_info 0
		.amdhsa_system_vgpr_workitem_id 0
		.amdhsa_next_free_vgpr 25
		.amdhsa_next_free_sgpr 16
		.amdhsa_reserve_vcc 1
		.amdhsa_reserve_flat_scratch 0
		.amdhsa_float_round_mode_32 0
		.amdhsa_float_round_mode_16_64 0
		.amdhsa_float_denorm_mode_32 3
		.amdhsa_float_denorm_mode_16_64 3
		.amdhsa_dx10_clamp 1
		.amdhsa_ieee_mode 1
		.amdhsa_fp16_overflow 0
		.amdhsa_exception_fp_ieee_invalid_op 0
		.amdhsa_exception_fp_denorm_src 0
		.amdhsa_exception_fp_ieee_div_zero 0
		.amdhsa_exception_fp_ieee_overflow 0
		.amdhsa_exception_fp_ieee_underflow 0
		.amdhsa_exception_fp_ieee_inexact 0
		.amdhsa_exception_int_div_zero 0
	.end_amdhsa_kernel
	.section	.text._ZN9rocsparseL19gebsrmvn_2xn_kernelILj128ELj1ELj4E21rocsparse_complex_numIfEEEvi20rocsparse_direction_NS_24const_host_device_scalarIT2_EEPKiS8_PKS5_SA_S6_PS5_21rocsparse_index_base_b,"axG",@progbits,_ZN9rocsparseL19gebsrmvn_2xn_kernelILj128ELj1ELj4E21rocsparse_complex_numIfEEEvi20rocsparse_direction_NS_24const_host_device_scalarIT2_EEPKiS8_PKS5_SA_S6_PS5_21rocsparse_index_base_b,comdat
.Lfunc_end152:
	.size	_ZN9rocsparseL19gebsrmvn_2xn_kernelILj128ELj1ELj4E21rocsparse_complex_numIfEEEvi20rocsparse_direction_NS_24const_host_device_scalarIT2_EEPKiS8_PKS5_SA_S6_PS5_21rocsparse_index_base_b, .Lfunc_end152-_ZN9rocsparseL19gebsrmvn_2xn_kernelILj128ELj1ELj4E21rocsparse_complex_numIfEEEvi20rocsparse_direction_NS_24const_host_device_scalarIT2_EEPKiS8_PKS5_SA_S6_PS5_21rocsparse_index_base_b
                                        ; -- End function
	.set _ZN9rocsparseL19gebsrmvn_2xn_kernelILj128ELj1ELj4E21rocsparse_complex_numIfEEEvi20rocsparse_direction_NS_24const_host_device_scalarIT2_EEPKiS8_PKS5_SA_S6_PS5_21rocsparse_index_base_b.num_vgpr, 25
	.set _ZN9rocsparseL19gebsrmvn_2xn_kernelILj128ELj1ELj4E21rocsparse_complex_numIfEEEvi20rocsparse_direction_NS_24const_host_device_scalarIT2_EEPKiS8_PKS5_SA_S6_PS5_21rocsparse_index_base_b.num_agpr, 0
	.set _ZN9rocsparseL19gebsrmvn_2xn_kernelILj128ELj1ELj4E21rocsparse_complex_numIfEEEvi20rocsparse_direction_NS_24const_host_device_scalarIT2_EEPKiS8_PKS5_SA_S6_PS5_21rocsparse_index_base_b.numbered_sgpr, 16
	.set _ZN9rocsparseL19gebsrmvn_2xn_kernelILj128ELj1ELj4E21rocsparse_complex_numIfEEEvi20rocsparse_direction_NS_24const_host_device_scalarIT2_EEPKiS8_PKS5_SA_S6_PS5_21rocsparse_index_base_b.num_named_barrier, 0
	.set _ZN9rocsparseL19gebsrmvn_2xn_kernelILj128ELj1ELj4E21rocsparse_complex_numIfEEEvi20rocsparse_direction_NS_24const_host_device_scalarIT2_EEPKiS8_PKS5_SA_S6_PS5_21rocsparse_index_base_b.private_seg_size, 0
	.set _ZN9rocsparseL19gebsrmvn_2xn_kernelILj128ELj1ELj4E21rocsparse_complex_numIfEEEvi20rocsparse_direction_NS_24const_host_device_scalarIT2_EEPKiS8_PKS5_SA_S6_PS5_21rocsparse_index_base_b.uses_vcc, 1
	.set _ZN9rocsparseL19gebsrmvn_2xn_kernelILj128ELj1ELj4E21rocsparse_complex_numIfEEEvi20rocsparse_direction_NS_24const_host_device_scalarIT2_EEPKiS8_PKS5_SA_S6_PS5_21rocsparse_index_base_b.uses_flat_scratch, 0
	.set _ZN9rocsparseL19gebsrmvn_2xn_kernelILj128ELj1ELj4E21rocsparse_complex_numIfEEEvi20rocsparse_direction_NS_24const_host_device_scalarIT2_EEPKiS8_PKS5_SA_S6_PS5_21rocsparse_index_base_b.has_dyn_sized_stack, 0
	.set _ZN9rocsparseL19gebsrmvn_2xn_kernelILj128ELj1ELj4E21rocsparse_complex_numIfEEEvi20rocsparse_direction_NS_24const_host_device_scalarIT2_EEPKiS8_PKS5_SA_S6_PS5_21rocsparse_index_base_b.has_recursion, 0
	.set _ZN9rocsparseL19gebsrmvn_2xn_kernelILj128ELj1ELj4E21rocsparse_complex_numIfEEEvi20rocsparse_direction_NS_24const_host_device_scalarIT2_EEPKiS8_PKS5_SA_S6_PS5_21rocsparse_index_base_b.has_indirect_call, 0
	.section	.AMDGPU.csdata,"",@progbits
; Kernel info:
; codeLenInByte = 1108
; TotalNumSgprs: 20
; NumVgprs: 25
; ScratchSize: 0
; MemoryBound: 0
; FloatMode: 240
; IeeeMode: 1
; LDSByteSize: 0 bytes/workgroup (compile time only)
; SGPRBlocks: 2
; VGPRBlocks: 6
; NumSGPRsForWavesPerEU: 20
; NumVGPRsForWavesPerEU: 25
; Occupancy: 9
; WaveLimiterHint : 1
; COMPUTE_PGM_RSRC2:SCRATCH_EN: 0
; COMPUTE_PGM_RSRC2:USER_SGPR: 6
; COMPUTE_PGM_RSRC2:TRAP_HANDLER: 0
; COMPUTE_PGM_RSRC2:TGID_X_EN: 1
; COMPUTE_PGM_RSRC2:TGID_Y_EN: 0
; COMPUTE_PGM_RSRC2:TGID_Z_EN: 0
; COMPUTE_PGM_RSRC2:TIDIG_COMP_CNT: 0
	.section	.text._ZN9rocsparseL19gebsrmvn_2xn_kernelILj128ELj1ELj8E21rocsparse_complex_numIfEEEvi20rocsparse_direction_NS_24const_host_device_scalarIT2_EEPKiS8_PKS5_SA_S6_PS5_21rocsparse_index_base_b,"axG",@progbits,_ZN9rocsparseL19gebsrmvn_2xn_kernelILj128ELj1ELj8E21rocsparse_complex_numIfEEEvi20rocsparse_direction_NS_24const_host_device_scalarIT2_EEPKiS8_PKS5_SA_S6_PS5_21rocsparse_index_base_b,comdat
	.globl	_ZN9rocsparseL19gebsrmvn_2xn_kernelILj128ELj1ELj8E21rocsparse_complex_numIfEEEvi20rocsparse_direction_NS_24const_host_device_scalarIT2_EEPKiS8_PKS5_SA_S6_PS5_21rocsparse_index_base_b ; -- Begin function _ZN9rocsparseL19gebsrmvn_2xn_kernelILj128ELj1ELj8E21rocsparse_complex_numIfEEEvi20rocsparse_direction_NS_24const_host_device_scalarIT2_EEPKiS8_PKS5_SA_S6_PS5_21rocsparse_index_base_b
	.p2align	8
	.type	_ZN9rocsparseL19gebsrmvn_2xn_kernelILj128ELj1ELj8E21rocsparse_complex_numIfEEEvi20rocsparse_direction_NS_24const_host_device_scalarIT2_EEPKiS8_PKS5_SA_S6_PS5_21rocsparse_index_base_b,@function
_ZN9rocsparseL19gebsrmvn_2xn_kernelILj128ELj1ELj8E21rocsparse_complex_numIfEEEvi20rocsparse_direction_NS_24const_host_device_scalarIT2_EEPKiS8_PKS5_SA_S6_PS5_21rocsparse_index_base_b: ; @_ZN9rocsparseL19gebsrmvn_2xn_kernelILj128ELj1ELj8E21rocsparse_complex_numIfEEEvi20rocsparse_direction_NS_24const_host_device_scalarIT2_EEPKiS8_PKS5_SA_S6_PS5_21rocsparse_index_base_b
; %bb.0:
	s_load_dwordx2 s[0:1], s[4:5], 0x8
	s_load_dwordx2 s[8:9], s[4:5], 0x30
	;; [unrolled: 1-line block ×3, first 2 shown]
	s_add_u32 s7, s4, 8
	s_addc_u32 s10, s5, 0
	s_add_u32 s11, s4, 48
	s_addc_u32 s12, s5, 0
	s_waitcnt lgkmcnt(0)
	s_bitcmp1_b32 s3, 0
	s_cselect_b32 s1, s10, s1
	s_cselect_b32 s0, s7, s0
	v_mov_b32_e32 v1, s0
	v_mov_b32_e32 v2, s1
	flat_load_dwordx2 v[1:2], v[1:2]
	s_cselect_b32 s0, s12, s9
	s_cselect_b32 s1, s11, s8
	v_mov_b32_e32 v3, s1
	v_mov_b32_e32 v4, s0
	flat_load_dwordx2 v[3:4], v[3:4]
	s_waitcnt vmcnt(0) lgkmcnt(0)
	v_cmp_eq_f32_e32 vcc, 0, v1
	v_cmp_eq_f32_e64 s[0:1], 0, v2
	s_and_b64 s[10:11], vcc, s[0:1]
	s_mov_b64 s[0:1], -1
	s_and_saveexec_b64 s[8:9], s[10:11]
; %bb.1:
	v_cmp_neq_f32_e32 vcc, 1.0, v3
	v_cmp_neq_f32_e64 s[0:1], 0, v4
	s_or_b64 s[0:1], vcc, s[0:1]
	s_orn2_b64 s[0:1], s[0:1], exec
; %bb.2:
	s_or_b64 exec, exec, s[8:9]
	s_and_saveexec_b64 s[8:9], s[0:1]
	s_cbranch_execz .LBB153_21
; %bb.3:
	s_load_dwordx2 s[0:1], s[4:5], 0x0
	v_lshrrev_b32_e32 v5, 3, v0
	v_lshl_or_b32 v5, s6, 4, v5
	s_waitcnt lgkmcnt(0)
	v_cmp_gt_i32_e32 vcc, s0, v5
	s_and_b64 exec, exec, vcc
	s_cbranch_execz .LBB153_21
; %bb.4:
	s_load_dwordx8 s[8:15], s[4:5], 0x10
	v_ashrrev_i32_e32 v6, 31, v5
	v_lshlrev_b64 v[6:7], 2, v[5:6]
	v_and_b32_e32 v0, 7, v0
	s_cmp_lg_u32 s1, 0
	s_waitcnt lgkmcnt(0)
	v_mov_b32_e32 v8, s9
	v_add_co_u32_e32 v6, vcc, s8, v6
	v_addc_co_u32_e32 v7, vcc, v8, v7, vcc
	global_load_dwordx2 v[6:7], v[6:7], off
	s_waitcnt vmcnt(0)
	v_subrev_u32_e32 v6, s2, v6
	v_subrev_u32_e32 v11, s2, v7
	v_add_u32_e32 v6, v6, v0
	v_cmp_lt_i32_e64 s[0:1], v6, v11
	s_cbranch_scc0 .LBB153_10
; %bb.5:
	v_mov_b32_e32 v12, 0
	v_mov_b32_e32 v15, 0
	;; [unrolled: 1-line block ×4, first 2 shown]
	s_and_saveexec_b64 s[6:7], s[0:1]
	s_cbranch_execz .LBB153_9
; %bb.6:
	v_mov_b32_e32 v8, 0
	v_lshlrev_b32_e32 v7, 1, v6
	s_mov_b64 s[8:9], 0
	v_mov_b32_e32 v16, s11
	v_mov_b32_e32 v17, s13
	;; [unrolled: 1-line block ×8, first 2 shown]
.LBB153_7:                              ; =>This Inner Loop Header: Depth=1
	v_ashrrev_i32_e32 v10, 31, v9
	v_lshlrev_b64 v[19:20], 2, v[9:10]
	v_mov_b32_e32 v24, v8
	v_add_co_u32_e32 v19, vcc, s10, v19
	v_addc_co_u32_e32 v20, vcc, v16, v20, vcc
	global_load_dword v10, v[19:20], off
	v_lshlrev_b64 v[19:20], 3, v[7:8]
	v_add_u32_e32 v9, 8, v9
	v_add_co_u32_e32 v19, vcc, s12, v19
	v_addc_co_u32_e32 v20, vcc, v17, v20, vcc
	global_load_dwordx4 v[19:22], v[19:20], off
	v_add_u32_e32 v7, 16, v7
	s_waitcnt vmcnt(1)
	v_subrev_u32_e32 v23, s2, v10
	v_lshlrev_b64 v[23:24], 3, v[23:24]
	v_add_co_u32_e32 v23, vcc, s14, v23
	v_addc_co_u32_e32 v24, vcc, v18, v24, vcc
	global_load_dwordx2 v[23:24], v[23:24], off
	v_cmp_ge_i32_e32 vcc, v9, v11
	s_or_b64 s[8:9], vcc, s[8:9]
	s_waitcnt vmcnt(0)
	v_fmac_f32_e32 v15, v19, v23
	v_fmac_f32_e32 v12, v20, v23
	;; [unrolled: 1-line block ×4, first 2 shown]
	v_fma_f32 v15, -v20, v24, v15
	v_fmac_f32_e32 v12, v19, v24
	v_fma_f32 v13, -v22, v24, v13
	v_fmac_f32_e32 v14, v21, v24
	s_andn2_b64 exec, exec, s[8:9]
	s_cbranch_execnz .LBB153_7
; %bb.8:
	s_or_b64 exec, exec, s[8:9]
.LBB153_9:
	s_or_b64 exec, exec, s[6:7]
	s_cbranch_execz .LBB153_11
	s_branch .LBB153_16
.LBB153_10:
                                        ; implicit-def: $vgpr12
                                        ; implicit-def: $vgpr15
                                        ; implicit-def: $vgpr13
                                        ; implicit-def: $vgpr14
.LBB153_11:
	v_mov_b32_e32 v12, 0
	v_mov_b32_e32 v15, 0
	;; [unrolled: 1-line block ×4, first 2 shown]
	s_and_saveexec_b64 s[6:7], s[0:1]
	s_cbranch_execz .LBB153_15
; %bb.12:
	v_mov_b32_e32 v9, 0
	v_lshlrev_b32_e32 v8, 1, v6
	s_mov_b64 s[0:1], 0
	v_mov_b32_e32 v10, s11
	v_mov_b32_e32 v16, s13
	;; [unrolled: 1-line block ×7, first 2 shown]
.LBB153_13:                             ; =>This Inner Loop Header: Depth=1
	v_ashrrev_i32_e32 v7, 31, v6
	v_lshlrev_b64 v[18:19], 2, v[6:7]
	v_mov_b32_e32 v23, v9
	v_add_co_u32_e32 v18, vcc, s10, v18
	v_addc_co_u32_e32 v19, vcc, v10, v19, vcc
	global_load_dword v7, v[18:19], off
	v_lshlrev_b64 v[18:19], 3, v[8:9]
	v_add_u32_e32 v6, 8, v6
	v_add_co_u32_e32 v18, vcc, s12, v18
	v_addc_co_u32_e32 v19, vcc, v16, v19, vcc
	global_load_dwordx4 v[18:21], v[18:19], off
	v_add_u32_e32 v8, 16, v8
	s_waitcnt vmcnt(1)
	v_subrev_u32_e32 v22, s2, v7
	v_lshlrev_b64 v[22:23], 3, v[22:23]
	v_add_co_u32_e32 v22, vcc, s14, v22
	v_addc_co_u32_e32 v23, vcc, v17, v23, vcc
	global_load_dwordx2 v[22:23], v[22:23], off
	v_cmp_ge_i32_e32 vcc, v6, v11
	s_or_b64 s[0:1], vcc, s[0:1]
	s_waitcnt vmcnt(0)
	v_fmac_f32_e32 v15, v18, v22
	v_fmac_f32_e32 v12, v19, v22
	;; [unrolled: 1-line block ×4, first 2 shown]
	v_fma_f32 v15, -v19, v23, v15
	v_fmac_f32_e32 v12, v18, v23
	v_fma_f32 v13, -v21, v23, v13
	v_fmac_f32_e32 v14, v20, v23
	s_andn2_b64 exec, exec, s[0:1]
	s_cbranch_execnz .LBB153_13
; %bb.14:
	s_or_b64 exec, exec, s[0:1]
.LBB153_15:
	s_or_b64 exec, exec, s[6:7]
.LBB153_16:
	v_mov_b32_dpp v8, v12 row_shr:1 row_mask:0xf bank_mask:0xf
	v_mov_b32_dpp v6, v15 row_shr:1 row_mask:0xf bank_mask:0xf
	v_add_f32_e32 v8, v12, v8
	v_mov_b32_dpp v10, v13 row_shr:1 row_mask:0xf bank_mask:0xf
	v_mov_b32_dpp v12, v14 row_shr:1 row_mask:0xf bank_mask:0xf
	v_add_f32_e32 v6, v15, v6
	v_add_f32_e32 v10, v13, v10
	;; [unrolled: 1-line block ×3, first 2 shown]
	v_mov_b32_dpp v7, v6 row_shr:2 row_mask:0xf bank_mask:0xf
	v_mov_b32_dpp v9, v8 row_shr:2 row_mask:0xf bank_mask:0xf
	;; [unrolled: 1-line block ×4, first 2 shown]
	v_add_f32_e32 v6, v6, v7
	v_add_f32_e32 v8, v8, v9
	;; [unrolled: 1-line block ×4, first 2 shown]
	v_mov_b32_dpp v7, v6 row_shr:4 row_mask:0xf bank_mask:0xe
	v_mov_b32_dpp v9, v8 row_shr:4 row_mask:0xf bank_mask:0xe
	;; [unrolled: 1-line block ×4, first 2 shown]
	v_cmp_eq_u32_e32 vcc, 7, v0
	s_and_b64 exec, exec, vcc
	s_cbranch_execz .LBB153_21
; %bb.17:
	s_load_dwordx2 s[2:3], s[4:5], 0x38
	v_cmp_eq_f32_e32 vcc, 0, v3
	v_cmp_eq_f32_e64 s[0:1], 0, v4
	v_add_f32_e32 v7, v6, v7
	v_add_f32_e32 v8, v8, v9
	;; [unrolled: 1-line block ×4, first 2 shown]
	s_and_b64 s[0:1], vcc, s[0:1]
	s_and_saveexec_b64 s[4:5], s[0:1]
	s_xor_b64 s[0:1], exec, s[4:5]
	s_cbranch_execz .LBB153_19
; %bb.18:
	v_mul_f32_e64 v3, v8, -v2
	v_mul_f32_e32 v4, v1, v8
	v_fmac_f32_e32 v3, v1, v7
	v_fmac_f32_e32 v4, v2, v7
	v_lshlrev_b32_e32 v7, 1, v5
	v_ashrrev_i32_e32 v8, 31, v7
	v_lshlrev_b64 v[7:8], 3, v[7:8]
	s_waitcnt lgkmcnt(0)
	v_mov_b32_e32 v5, s3
	v_add_co_u32_e32 v7, vcc, s2, v7
	v_addc_co_u32_e32 v8, vcc, v5, v8, vcc
	v_mul_f32_e64 v5, v6, -v2
	v_mul_f32_e32 v6, v1, v6
	v_fmac_f32_e32 v5, v1, v0
	v_fmac_f32_e32 v6, v2, v0
	global_store_dwordx4 v[7:8], v[3:6], off
                                        ; implicit-def: $vgpr5
                                        ; implicit-def: $vgpr1_vgpr2
                                        ; implicit-def: $vgpr8
                                        ; implicit-def: $vgpr7
                                        ; implicit-def: $vgpr3_vgpr4
                                        ; implicit-def: $vgpr6
                                        ; implicit-def: $vgpr0
.LBB153_19:
	s_andn2_saveexec_b64 s[0:1], s[0:1]
	s_cbranch_execz .LBB153_21
; %bb.20:
	v_lshlrev_b32_e32 v9, 1, v5
	v_ashrrev_i32_e32 v10, 31, v9
	v_lshlrev_b64 v[9:10], 3, v[9:10]
	s_waitcnt lgkmcnt(0)
	v_mov_b32_e32 v5, s3
	v_add_co_u32_e32 v17, vcc, s2, v9
	v_addc_co_u32_e32 v18, vcc, v5, v10, vcc
	global_load_dwordx4 v[9:12], v[17:18], off
	v_mul_f32_e64 v5, v8, -v2
	v_mul_f32_e32 v14, v1, v8
	v_mul_f32_e64 v8, v6, -v2
	v_mul_f32_e32 v16, v1, v6
	v_fmac_f32_e32 v5, v1, v7
	v_fmac_f32_e32 v14, v2, v7
	;; [unrolled: 1-line block ×4, first 2 shown]
	s_waitcnt vmcnt(0)
	v_fmac_f32_e32 v5, v3, v9
	v_fmac_f32_e32 v14, v4, v9
	;; [unrolled: 1-line block ×4, first 2 shown]
	v_fma_f32 v13, -v4, v10, v5
	v_fmac_f32_e32 v14, v3, v10
	v_fma_f32 v15, -v4, v12, v8
	v_fmac_f32_e32 v16, v3, v12
	global_store_dwordx4 v[17:18], v[13:16], off
.LBB153_21:
	s_endpgm
	.section	.rodata,"a",@progbits
	.p2align	6, 0x0
	.amdhsa_kernel _ZN9rocsparseL19gebsrmvn_2xn_kernelILj128ELj1ELj8E21rocsparse_complex_numIfEEEvi20rocsparse_direction_NS_24const_host_device_scalarIT2_EEPKiS8_PKS5_SA_S6_PS5_21rocsparse_index_base_b
		.amdhsa_group_segment_fixed_size 0
		.amdhsa_private_segment_fixed_size 0
		.amdhsa_kernarg_size 72
		.amdhsa_user_sgpr_count 6
		.amdhsa_user_sgpr_private_segment_buffer 1
		.amdhsa_user_sgpr_dispatch_ptr 0
		.amdhsa_user_sgpr_queue_ptr 0
		.amdhsa_user_sgpr_kernarg_segment_ptr 1
		.amdhsa_user_sgpr_dispatch_id 0
		.amdhsa_user_sgpr_flat_scratch_init 0
		.amdhsa_user_sgpr_private_segment_size 0
		.amdhsa_uses_dynamic_stack 0
		.amdhsa_system_sgpr_private_segment_wavefront_offset 0
		.amdhsa_system_sgpr_workgroup_id_x 1
		.amdhsa_system_sgpr_workgroup_id_y 0
		.amdhsa_system_sgpr_workgroup_id_z 0
		.amdhsa_system_sgpr_workgroup_info 0
		.amdhsa_system_vgpr_workitem_id 0
		.amdhsa_next_free_vgpr 25
		.amdhsa_next_free_sgpr 16
		.amdhsa_reserve_vcc 1
		.amdhsa_reserve_flat_scratch 0
		.amdhsa_float_round_mode_32 0
		.amdhsa_float_round_mode_16_64 0
		.amdhsa_float_denorm_mode_32 3
		.amdhsa_float_denorm_mode_16_64 3
		.amdhsa_dx10_clamp 1
		.amdhsa_ieee_mode 1
		.amdhsa_fp16_overflow 0
		.amdhsa_exception_fp_ieee_invalid_op 0
		.amdhsa_exception_fp_denorm_src 0
		.amdhsa_exception_fp_ieee_div_zero 0
		.amdhsa_exception_fp_ieee_overflow 0
		.amdhsa_exception_fp_ieee_underflow 0
		.amdhsa_exception_fp_ieee_inexact 0
		.amdhsa_exception_int_div_zero 0
	.end_amdhsa_kernel
	.section	.text._ZN9rocsparseL19gebsrmvn_2xn_kernelILj128ELj1ELj8E21rocsparse_complex_numIfEEEvi20rocsparse_direction_NS_24const_host_device_scalarIT2_EEPKiS8_PKS5_SA_S6_PS5_21rocsparse_index_base_b,"axG",@progbits,_ZN9rocsparseL19gebsrmvn_2xn_kernelILj128ELj1ELj8E21rocsparse_complex_numIfEEEvi20rocsparse_direction_NS_24const_host_device_scalarIT2_EEPKiS8_PKS5_SA_S6_PS5_21rocsparse_index_base_b,comdat
.Lfunc_end153:
	.size	_ZN9rocsparseL19gebsrmvn_2xn_kernelILj128ELj1ELj8E21rocsparse_complex_numIfEEEvi20rocsparse_direction_NS_24const_host_device_scalarIT2_EEPKiS8_PKS5_SA_S6_PS5_21rocsparse_index_base_b, .Lfunc_end153-_ZN9rocsparseL19gebsrmvn_2xn_kernelILj128ELj1ELj8E21rocsparse_complex_numIfEEEvi20rocsparse_direction_NS_24const_host_device_scalarIT2_EEPKiS8_PKS5_SA_S6_PS5_21rocsparse_index_base_b
                                        ; -- End function
	.set _ZN9rocsparseL19gebsrmvn_2xn_kernelILj128ELj1ELj8E21rocsparse_complex_numIfEEEvi20rocsparse_direction_NS_24const_host_device_scalarIT2_EEPKiS8_PKS5_SA_S6_PS5_21rocsparse_index_base_b.num_vgpr, 25
	.set _ZN9rocsparseL19gebsrmvn_2xn_kernelILj128ELj1ELj8E21rocsparse_complex_numIfEEEvi20rocsparse_direction_NS_24const_host_device_scalarIT2_EEPKiS8_PKS5_SA_S6_PS5_21rocsparse_index_base_b.num_agpr, 0
	.set _ZN9rocsparseL19gebsrmvn_2xn_kernelILj128ELj1ELj8E21rocsparse_complex_numIfEEEvi20rocsparse_direction_NS_24const_host_device_scalarIT2_EEPKiS8_PKS5_SA_S6_PS5_21rocsparse_index_base_b.numbered_sgpr, 16
	.set _ZN9rocsparseL19gebsrmvn_2xn_kernelILj128ELj1ELj8E21rocsparse_complex_numIfEEEvi20rocsparse_direction_NS_24const_host_device_scalarIT2_EEPKiS8_PKS5_SA_S6_PS5_21rocsparse_index_base_b.num_named_barrier, 0
	.set _ZN9rocsparseL19gebsrmvn_2xn_kernelILj128ELj1ELj8E21rocsparse_complex_numIfEEEvi20rocsparse_direction_NS_24const_host_device_scalarIT2_EEPKiS8_PKS5_SA_S6_PS5_21rocsparse_index_base_b.private_seg_size, 0
	.set _ZN9rocsparseL19gebsrmvn_2xn_kernelILj128ELj1ELj8E21rocsparse_complex_numIfEEEvi20rocsparse_direction_NS_24const_host_device_scalarIT2_EEPKiS8_PKS5_SA_S6_PS5_21rocsparse_index_base_b.uses_vcc, 1
	.set _ZN9rocsparseL19gebsrmvn_2xn_kernelILj128ELj1ELj8E21rocsparse_complex_numIfEEEvi20rocsparse_direction_NS_24const_host_device_scalarIT2_EEPKiS8_PKS5_SA_S6_PS5_21rocsparse_index_base_b.uses_flat_scratch, 0
	.set _ZN9rocsparseL19gebsrmvn_2xn_kernelILj128ELj1ELj8E21rocsparse_complex_numIfEEEvi20rocsparse_direction_NS_24const_host_device_scalarIT2_EEPKiS8_PKS5_SA_S6_PS5_21rocsparse_index_base_b.has_dyn_sized_stack, 0
	.set _ZN9rocsparseL19gebsrmvn_2xn_kernelILj128ELj1ELj8E21rocsparse_complex_numIfEEEvi20rocsparse_direction_NS_24const_host_device_scalarIT2_EEPKiS8_PKS5_SA_S6_PS5_21rocsparse_index_base_b.has_recursion, 0
	.set _ZN9rocsparseL19gebsrmvn_2xn_kernelILj128ELj1ELj8E21rocsparse_complex_numIfEEEvi20rocsparse_direction_NS_24const_host_device_scalarIT2_EEPKiS8_PKS5_SA_S6_PS5_21rocsparse_index_base_b.has_indirect_call, 0
	.section	.AMDGPU.csdata,"",@progbits
; Kernel info:
; codeLenInByte = 1156
; TotalNumSgprs: 20
; NumVgprs: 25
; ScratchSize: 0
; MemoryBound: 0
; FloatMode: 240
; IeeeMode: 1
; LDSByteSize: 0 bytes/workgroup (compile time only)
; SGPRBlocks: 2
; VGPRBlocks: 6
; NumSGPRsForWavesPerEU: 20
; NumVGPRsForWavesPerEU: 25
; Occupancy: 9
; WaveLimiterHint : 1
; COMPUTE_PGM_RSRC2:SCRATCH_EN: 0
; COMPUTE_PGM_RSRC2:USER_SGPR: 6
; COMPUTE_PGM_RSRC2:TRAP_HANDLER: 0
; COMPUTE_PGM_RSRC2:TGID_X_EN: 1
; COMPUTE_PGM_RSRC2:TGID_Y_EN: 0
; COMPUTE_PGM_RSRC2:TGID_Z_EN: 0
; COMPUTE_PGM_RSRC2:TIDIG_COMP_CNT: 0
	.section	.text._ZN9rocsparseL19gebsrmvn_2xn_kernelILj128ELj1ELj16E21rocsparse_complex_numIfEEEvi20rocsparse_direction_NS_24const_host_device_scalarIT2_EEPKiS8_PKS5_SA_S6_PS5_21rocsparse_index_base_b,"axG",@progbits,_ZN9rocsparseL19gebsrmvn_2xn_kernelILj128ELj1ELj16E21rocsparse_complex_numIfEEEvi20rocsparse_direction_NS_24const_host_device_scalarIT2_EEPKiS8_PKS5_SA_S6_PS5_21rocsparse_index_base_b,comdat
	.globl	_ZN9rocsparseL19gebsrmvn_2xn_kernelILj128ELj1ELj16E21rocsparse_complex_numIfEEEvi20rocsparse_direction_NS_24const_host_device_scalarIT2_EEPKiS8_PKS5_SA_S6_PS5_21rocsparse_index_base_b ; -- Begin function _ZN9rocsparseL19gebsrmvn_2xn_kernelILj128ELj1ELj16E21rocsparse_complex_numIfEEEvi20rocsparse_direction_NS_24const_host_device_scalarIT2_EEPKiS8_PKS5_SA_S6_PS5_21rocsparse_index_base_b
	.p2align	8
	.type	_ZN9rocsparseL19gebsrmvn_2xn_kernelILj128ELj1ELj16E21rocsparse_complex_numIfEEEvi20rocsparse_direction_NS_24const_host_device_scalarIT2_EEPKiS8_PKS5_SA_S6_PS5_21rocsparse_index_base_b,@function
_ZN9rocsparseL19gebsrmvn_2xn_kernelILj128ELj1ELj16E21rocsparse_complex_numIfEEEvi20rocsparse_direction_NS_24const_host_device_scalarIT2_EEPKiS8_PKS5_SA_S6_PS5_21rocsparse_index_base_b: ; @_ZN9rocsparseL19gebsrmvn_2xn_kernelILj128ELj1ELj16E21rocsparse_complex_numIfEEEvi20rocsparse_direction_NS_24const_host_device_scalarIT2_EEPKiS8_PKS5_SA_S6_PS5_21rocsparse_index_base_b
; %bb.0:
	s_load_dwordx2 s[0:1], s[4:5], 0x8
	s_load_dwordx2 s[8:9], s[4:5], 0x30
	;; [unrolled: 1-line block ×3, first 2 shown]
	s_add_u32 s7, s4, 8
	s_addc_u32 s10, s5, 0
	s_add_u32 s11, s4, 48
	s_addc_u32 s12, s5, 0
	s_waitcnt lgkmcnt(0)
	s_bitcmp1_b32 s3, 0
	s_cselect_b32 s1, s10, s1
	s_cselect_b32 s0, s7, s0
	v_mov_b32_e32 v1, s0
	v_mov_b32_e32 v2, s1
	flat_load_dwordx2 v[1:2], v[1:2]
	s_cselect_b32 s0, s12, s9
	s_cselect_b32 s1, s11, s8
	v_mov_b32_e32 v3, s1
	v_mov_b32_e32 v4, s0
	flat_load_dwordx2 v[3:4], v[3:4]
	s_waitcnt vmcnt(0) lgkmcnt(0)
	v_cmp_eq_f32_e32 vcc, 0, v1
	v_cmp_eq_f32_e64 s[0:1], 0, v2
	s_and_b64 s[10:11], vcc, s[0:1]
	s_mov_b64 s[0:1], -1
	s_and_saveexec_b64 s[8:9], s[10:11]
; %bb.1:
	v_cmp_neq_f32_e32 vcc, 1.0, v3
	v_cmp_neq_f32_e64 s[0:1], 0, v4
	s_or_b64 s[0:1], vcc, s[0:1]
	s_orn2_b64 s[0:1], s[0:1], exec
; %bb.2:
	s_or_b64 exec, exec, s[8:9]
	s_and_saveexec_b64 s[8:9], s[0:1]
	s_cbranch_execz .LBB154_21
; %bb.3:
	s_load_dwordx2 s[0:1], s[4:5], 0x0
	v_lshrrev_b32_e32 v5, 4, v0
	v_lshl_or_b32 v5, s6, 3, v5
	s_waitcnt lgkmcnt(0)
	v_cmp_gt_i32_e32 vcc, s0, v5
	s_and_b64 exec, exec, vcc
	s_cbranch_execz .LBB154_21
; %bb.4:
	s_load_dwordx8 s[8:15], s[4:5], 0x10
	v_ashrrev_i32_e32 v6, 31, v5
	v_lshlrev_b64 v[6:7], 2, v[5:6]
	v_and_b32_e32 v0, 15, v0
	s_cmp_lg_u32 s1, 0
	s_waitcnt lgkmcnt(0)
	v_mov_b32_e32 v8, s9
	v_add_co_u32_e32 v6, vcc, s8, v6
	v_addc_co_u32_e32 v7, vcc, v8, v7, vcc
	global_load_dwordx2 v[6:7], v[6:7], off
	s_waitcnt vmcnt(0)
	v_subrev_u32_e32 v6, s2, v6
	v_subrev_u32_e32 v12, s2, v7
	v_add_u32_e32 v6, v6, v0
	v_cmp_lt_i32_e64 s[0:1], v6, v12
	s_cbranch_scc0 .LBB154_10
; %bb.5:
	v_mov_b32_e32 v11, 0
	v_mov_b32_e32 v15, 0
	;; [unrolled: 1-line block ×4, first 2 shown]
	s_and_saveexec_b64 s[6:7], s[0:1]
	s_cbranch_execz .LBB154_9
; %bb.6:
	v_mov_b32_e32 v8, 0
	v_lshlrev_b32_e32 v7, 1, v6
	s_mov_b64 s[8:9], 0
	v_mov_b32_e32 v16, s11
	v_mov_b32_e32 v17, s13
	;; [unrolled: 1-line block ×8, first 2 shown]
.LBB154_7:                              ; =>This Inner Loop Header: Depth=1
	v_ashrrev_i32_e32 v10, 31, v9
	v_lshlrev_b64 v[19:20], 2, v[9:10]
	v_mov_b32_e32 v24, v8
	v_add_co_u32_e32 v19, vcc, s10, v19
	v_addc_co_u32_e32 v20, vcc, v16, v20, vcc
	global_load_dword v10, v[19:20], off
	v_lshlrev_b64 v[19:20], 3, v[7:8]
	v_add_u32_e32 v9, 16, v9
	v_add_co_u32_e32 v19, vcc, s12, v19
	v_addc_co_u32_e32 v20, vcc, v17, v20, vcc
	global_load_dwordx4 v[19:22], v[19:20], off
	v_add_u32_e32 v7, 32, v7
	s_waitcnt vmcnt(1)
	v_subrev_u32_e32 v23, s2, v10
	v_lshlrev_b64 v[23:24], 3, v[23:24]
	v_add_co_u32_e32 v23, vcc, s14, v23
	v_addc_co_u32_e32 v24, vcc, v18, v24, vcc
	global_load_dwordx2 v[23:24], v[23:24], off
	v_cmp_ge_i32_e32 vcc, v9, v12
	s_or_b64 s[8:9], vcc, s[8:9]
	s_waitcnt vmcnt(0)
	v_fmac_f32_e32 v15, v19, v23
	v_fmac_f32_e32 v11, v20, v23
	;; [unrolled: 1-line block ×4, first 2 shown]
	v_fma_f32 v15, -v20, v24, v15
	v_fmac_f32_e32 v11, v19, v24
	v_fma_f32 v14, -v22, v24, v14
	v_fmac_f32_e32 v13, v21, v24
	s_andn2_b64 exec, exec, s[8:9]
	s_cbranch_execnz .LBB154_7
; %bb.8:
	s_or_b64 exec, exec, s[8:9]
.LBB154_9:
	s_or_b64 exec, exec, s[6:7]
	s_cbranch_execz .LBB154_11
	s_branch .LBB154_16
.LBB154_10:
                                        ; implicit-def: $vgpr11
                                        ; implicit-def: $vgpr15
                                        ; implicit-def: $vgpr14
                                        ; implicit-def: $vgpr13
.LBB154_11:
	v_mov_b32_e32 v11, 0
	v_mov_b32_e32 v15, 0
	;; [unrolled: 1-line block ×4, first 2 shown]
	s_and_saveexec_b64 s[6:7], s[0:1]
	s_cbranch_execz .LBB154_15
; %bb.12:
	v_mov_b32_e32 v9, 0
	v_lshlrev_b32_e32 v8, 1, v6
	s_mov_b64 s[0:1], 0
	v_mov_b32_e32 v10, s11
	v_mov_b32_e32 v16, s13
	v_mov_b32_e32 v17, s15
	v_mov_b32_e32 v11, v9
	v_mov_b32_e32 v15, v9
	v_mov_b32_e32 v14, v9
	v_mov_b32_e32 v13, v9
.LBB154_13:                             ; =>This Inner Loop Header: Depth=1
	v_ashrrev_i32_e32 v7, 31, v6
	v_lshlrev_b64 v[18:19], 2, v[6:7]
	v_mov_b32_e32 v23, v9
	v_add_co_u32_e32 v18, vcc, s10, v18
	v_addc_co_u32_e32 v19, vcc, v10, v19, vcc
	global_load_dword v7, v[18:19], off
	v_lshlrev_b64 v[18:19], 3, v[8:9]
	v_add_u32_e32 v6, 16, v6
	v_add_co_u32_e32 v18, vcc, s12, v18
	v_addc_co_u32_e32 v19, vcc, v16, v19, vcc
	global_load_dwordx4 v[18:21], v[18:19], off
	v_add_u32_e32 v8, 32, v8
	s_waitcnt vmcnt(1)
	v_subrev_u32_e32 v22, s2, v7
	v_lshlrev_b64 v[22:23], 3, v[22:23]
	v_add_co_u32_e32 v22, vcc, s14, v22
	v_addc_co_u32_e32 v23, vcc, v17, v23, vcc
	global_load_dwordx2 v[22:23], v[22:23], off
	v_cmp_ge_i32_e32 vcc, v6, v12
	s_or_b64 s[0:1], vcc, s[0:1]
	s_waitcnt vmcnt(0)
	v_fmac_f32_e32 v15, v18, v22
	v_fmac_f32_e32 v11, v19, v22
	;; [unrolled: 1-line block ×4, first 2 shown]
	v_fma_f32 v15, -v19, v23, v15
	v_fmac_f32_e32 v11, v18, v23
	v_fma_f32 v14, -v21, v23, v14
	v_fmac_f32_e32 v13, v20, v23
	s_andn2_b64 exec, exec, s[0:1]
	s_cbranch_execnz .LBB154_13
; %bb.14:
	s_or_b64 exec, exec, s[0:1]
.LBB154_15:
	s_or_b64 exec, exec, s[6:7]
.LBB154_16:
	v_mov_b32_dpp v6, v15 row_shr:1 row_mask:0xf bank_mask:0xf
	v_mov_b32_dpp v8, v11 row_shr:1 row_mask:0xf bank_mask:0xf
	v_mov_b32_dpp v10, v14 row_shr:1 row_mask:0xf bank_mask:0xf
	v_mov_b32_dpp v12, v13 row_shr:1 row_mask:0xf bank_mask:0xf
	v_add_f32_e32 v6, v15, v6
	v_add_f32_e32 v8, v11, v8
	v_add_f32_e32 v10, v14, v10
	v_add_f32_e32 v12, v13, v12
	v_mov_b32_dpp v7, v6 row_shr:2 row_mask:0xf bank_mask:0xf
	v_mov_b32_dpp v9, v8 row_shr:2 row_mask:0xf bank_mask:0xf
	v_mov_b32_dpp v11, v10 row_shr:2 row_mask:0xf bank_mask:0xf
	v_mov_b32_dpp v13, v12 row_shr:2 row_mask:0xf bank_mask:0xf
	v_add_f32_e32 v6, v6, v7
	v_add_f32_e32 v8, v8, v9
	v_add_f32_e32 v10, v10, v11
	v_add_f32_e32 v12, v12, v13
	;; [unrolled: 8-line block ×3, first 2 shown]
	v_mov_b32_dpp v7, v6 row_shr:8 row_mask:0xf bank_mask:0xc
	v_mov_b32_dpp v9, v8 row_shr:8 row_mask:0xf bank_mask:0xc
	;; [unrolled: 1-line block ×4, first 2 shown]
	v_cmp_eq_u32_e32 vcc, 15, v0
	s_and_b64 exec, exec, vcc
	s_cbranch_execz .LBB154_21
; %bb.17:
	s_load_dwordx2 s[2:3], s[4:5], 0x38
	v_cmp_eq_f32_e32 vcc, 0, v3
	v_cmp_eq_f32_e64 s[0:1], 0, v4
	v_add_f32_e32 v7, v6, v7
	v_add_f32_e32 v8, v8, v9
	;; [unrolled: 1-line block ×4, first 2 shown]
	s_and_b64 s[0:1], vcc, s[0:1]
	s_and_saveexec_b64 s[4:5], s[0:1]
	s_xor_b64 s[0:1], exec, s[4:5]
	s_cbranch_execz .LBB154_19
; %bb.18:
	v_mul_f32_e64 v3, v8, -v2
	v_mul_f32_e32 v4, v1, v8
	v_fmac_f32_e32 v3, v1, v7
	v_fmac_f32_e32 v4, v2, v7
	v_lshlrev_b32_e32 v7, 1, v5
	v_ashrrev_i32_e32 v8, 31, v7
	v_lshlrev_b64 v[7:8], 3, v[7:8]
	s_waitcnt lgkmcnt(0)
	v_mov_b32_e32 v5, s3
	v_add_co_u32_e32 v7, vcc, s2, v7
	v_addc_co_u32_e32 v8, vcc, v5, v8, vcc
	v_mul_f32_e64 v5, v6, -v2
	v_mul_f32_e32 v6, v1, v6
	v_fmac_f32_e32 v5, v1, v0
	v_fmac_f32_e32 v6, v2, v0
	global_store_dwordx4 v[7:8], v[3:6], off
                                        ; implicit-def: $vgpr5
                                        ; implicit-def: $vgpr1_vgpr2
                                        ; implicit-def: $vgpr8
                                        ; implicit-def: $vgpr7
                                        ; implicit-def: $vgpr3_vgpr4
                                        ; implicit-def: $vgpr6
                                        ; implicit-def: $vgpr0
.LBB154_19:
	s_andn2_saveexec_b64 s[0:1], s[0:1]
	s_cbranch_execz .LBB154_21
; %bb.20:
	v_lshlrev_b32_e32 v9, 1, v5
	v_ashrrev_i32_e32 v10, 31, v9
	v_lshlrev_b64 v[9:10], 3, v[9:10]
	s_waitcnt lgkmcnt(0)
	v_mov_b32_e32 v5, s3
	v_add_co_u32_e32 v17, vcc, s2, v9
	v_addc_co_u32_e32 v18, vcc, v5, v10, vcc
	global_load_dwordx4 v[9:12], v[17:18], off
	v_mul_f32_e64 v5, v8, -v2
	v_mul_f32_e32 v14, v1, v8
	v_mul_f32_e64 v8, v6, -v2
	v_mul_f32_e32 v16, v1, v6
	v_fmac_f32_e32 v5, v1, v7
	v_fmac_f32_e32 v14, v2, v7
	v_fmac_f32_e32 v8, v1, v0
	v_fmac_f32_e32 v16, v2, v0
	s_waitcnt vmcnt(0)
	v_fmac_f32_e32 v5, v3, v9
	v_fmac_f32_e32 v14, v4, v9
	;; [unrolled: 1-line block ×4, first 2 shown]
	v_fma_f32 v13, -v4, v10, v5
	v_fmac_f32_e32 v14, v3, v10
	v_fma_f32 v15, -v4, v12, v8
	v_fmac_f32_e32 v16, v3, v12
	global_store_dwordx4 v[17:18], v[13:16], off
.LBB154_21:
	s_endpgm
	.section	.rodata,"a",@progbits
	.p2align	6, 0x0
	.amdhsa_kernel _ZN9rocsparseL19gebsrmvn_2xn_kernelILj128ELj1ELj16E21rocsparse_complex_numIfEEEvi20rocsparse_direction_NS_24const_host_device_scalarIT2_EEPKiS8_PKS5_SA_S6_PS5_21rocsparse_index_base_b
		.amdhsa_group_segment_fixed_size 0
		.amdhsa_private_segment_fixed_size 0
		.amdhsa_kernarg_size 72
		.amdhsa_user_sgpr_count 6
		.amdhsa_user_sgpr_private_segment_buffer 1
		.amdhsa_user_sgpr_dispatch_ptr 0
		.amdhsa_user_sgpr_queue_ptr 0
		.amdhsa_user_sgpr_kernarg_segment_ptr 1
		.amdhsa_user_sgpr_dispatch_id 0
		.amdhsa_user_sgpr_flat_scratch_init 0
		.amdhsa_user_sgpr_private_segment_size 0
		.amdhsa_uses_dynamic_stack 0
		.amdhsa_system_sgpr_private_segment_wavefront_offset 0
		.amdhsa_system_sgpr_workgroup_id_x 1
		.amdhsa_system_sgpr_workgroup_id_y 0
		.amdhsa_system_sgpr_workgroup_id_z 0
		.amdhsa_system_sgpr_workgroup_info 0
		.amdhsa_system_vgpr_workitem_id 0
		.amdhsa_next_free_vgpr 25
		.amdhsa_next_free_sgpr 16
		.amdhsa_reserve_vcc 1
		.amdhsa_reserve_flat_scratch 0
		.amdhsa_float_round_mode_32 0
		.amdhsa_float_round_mode_16_64 0
		.amdhsa_float_denorm_mode_32 3
		.amdhsa_float_denorm_mode_16_64 3
		.amdhsa_dx10_clamp 1
		.amdhsa_ieee_mode 1
		.amdhsa_fp16_overflow 0
		.amdhsa_exception_fp_ieee_invalid_op 0
		.amdhsa_exception_fp_denorm_src 0
		.amdhsa_exception_fp_ieee_div_zero 0
		.amdhsa_exception_fp_ieee_overflow 0
		.amdhsa_exception_fp_ieee_underflow 0
		.amdhsa_exception_fp_ieee_inexact 0
		.amdhsa_exception_int_div_zero 0
	.end_amdhsa_kernel
	.section	.text._ZN9rocsparseL19gebsrmvn_2xn_kernelILj128ELj1ELj16E21rocsparse_complex_numIfEEEvi20rocsparse_direction_NS_24const_host_device_scalarIT2_EEPKiS8_PKS5_SA_S6_PS5_21rocsparse_index_base_b,"axG",@progbits,_ZN9rocsparseL19gebsrmvn_2xn_kernelILj128ELj1ELj16E21rocsparse_complex_numIfEEEvi20rocsparse_direction_NS_24const_host_device_scalarIT2_EEPKiS8_PKS5_SA_S6_PS5_21rocsparse_index_base_b,comdat
.Lfunc_end154:
	.size	_ZN9rocsparseL19gebsrmvn_2xn_kernelILj128ELj1ELj16E21rocsparse_complex_numIfEEEvi20rocsparse_direction_NS_24const_host_device_scalarIT2_EEPKiS8_PKS5_SA_S6_PS5_21rocsparse_index_base_b, .Lfunc_end154-_ZN9rocsparseL19gebsrmvn_2xn_kernelILj128ELj1ELj16E21rocsparse_complex_numIfEEEvi20rocsparse_direction_NS_24const_host_device_scalarIT2_EEPKiS8_PKS5_SA_S6_PS5_21rocsparse_index_base_b
                                        ; -- End function
	.set _ZN9rocsparseL19gebsrmvn_2xn_kernelILj128ELj1ELj16E21rocsparse_complex_numIfEEEvi20rocsparse_direction_NS_24const_host_device_scalarIT2_EEPKiS8_PKS5_SA_S6_PS5_21rocsparse_index_base_b.num_vgpr, 25
	.set _ZN9rocsparseL19gebsrmvn_2xn_kernelILj128ELj1ELj16E21rocsparse_complex_numIfEEEvi20rocsparse_direction_NS_24const_host_device_scalarIT2_EEPKiS8_PKS5_SA_S6_PS5_21rocsparse_index_base_b.num_agpr, 0
	.set _ZN9rocsparseL19gebsrmvn_2xn_kernelILj128ELj1ELj16E21rocsparse_complex_numIfEEEvi20rocsparse_direction_NS_24const_host_device_scalarIT2_EEPKiS8_PKS5_SA_S6_PS5_21rocsparse_index_base_b.numbered_sgpr, 16
	.set _ZN9rocsparseL19gebsrmvn_2xn_kernelILj128ELj1ELj16E21rocsparse_complex_numIfEEEvi20rocsparse_direction_NS_24const_host_device_scalarIT2_EEPKiS8_PKS5_SA_S6_PS5_21rocsparse_index_base_b.num_named_barrier, 0
	.set _ZN9rocsparseL19gebsrmvn_2xn_kernelILj128ELj1ELj16E21rocsparse_complex_numIfEEEvi20rocsparse_direction_NS_24const_host_device_scalarIT2_EEPKiS8_PKS5_SA_S6_PS5_21rocsparse_index_base_b.private_seg_size, 0
	.set _ZN9rocsparseL19gebsrmvn_2xn_kernelILj128ELj1ELj16E21rocsparse_complex_numIfEEEvi20rocsparse_direction_NS_24const_host_device_scalarIT2_EEPKiS8_PKS5_SA_S6_PS5_21rocsparse_index_base_b.uses_vcc, 1
	.set _ZN9rocsparseL19gebsrmvn_2xn_kernelILj128ELj1ELj16E21rocsparse_complex_numIfEEEvi20rocsparse_direction_NS_24const_host_device_scalarIT2_EEPKiS8_PKS5_SA_S6_PS5_21rocsparse_index_base_b.uses_flat_scratch, 0
	.set _ZN9rocsparseL19gebsrmvn_2xn_kernelILj128ELj1ELj16E21rocsparse_complex_numIfEEEvi20rocsparse_direction_NS_24const_host_device_scalarIT2_EEPKiS8_PKS5_SA_S6_PS5_21rocsparse_index_base_b.has_dyn_sized_stack, 0
	.set _ZN9rocsparseL19gebsrmvn_2xn_kernelILj128ELj1ELj16E21rocsparse_complex_numIfEEEvi20rocsparse_direction_NS_24const_host_device_scalarIT2_EEPKiS8_PKS5_SA_S6_PS5_21rocsparse_index_base_b.has_recursion, 0
	.set _ZN9rocsparseL19gebsrmvn_2xn_kernelILj128ELj1ELj16E21rocsparse_complex_numIfEEEvi20rocsparse_direction_NS_24const_host_device_scalarIT2_EEPKiS8_PKS5_SA_S6_PS5_21rocsparse_index_base_b.has_indirect_call, 0
	.section	.AMDGPU.csdata,"",@progbits
; Kernel info:
; codeLenInByte = 1204
; TotalNumSgprs: 20
; NumVgprs: 25
; ScratchSize: 0
; MemoryBound: 0
; FloatMode: 240
; IeeeMode: 1
; LDSByteSize: 0 bytes/workgroup (compile time only)
; SGPRBlocks: 2
; VGPRBlocks: 6
; NumSGPRsForWavesPerEU: 20
; NumVGPRsForWavesPerEU: 25
; Occupancy: 9
; WaveLimiterHint : 1
; COMPUTE_PGM_RSRC2:SCRATCH_EN: 0
; COMPUTE_PGM_RSRC2:USER_SGPR: 6
; COMPUTE_PGM_RSRC2:TRAP_HANDLER: 0
; COMPUTE_PGM_RSRC2:TGID_X_EN: 1
; COMPUTE_PGM_RSRC2:TGID_Y_EN: 0
; COMPUTE_PGM_RSRC2:TGID_Z_EN: 0
; COMPUTE_PGM_RSRC2:TIDIG_COMP_CNT: 0
	.section	.text._ZN9rocsparseL19gebsrmvn_2xn_kernelILj128ELj1ELj32E21rocsparse_complex_numIfEEEvi20rocsparse_direction_NS_24const_host_device_scalarIT2_EEPKiS8_PKS5_SA_S6_PS5_21rocsparse_index_base_b,"axG",@progbits,_ZN9rocsparseL19gebsrmvn_2xn_kernelILj128ELj1ELj32E21rocsparse_complex_numIfEEEvi20rocsparse_direction_NS_24const_host_device_scalarIT2_EEPKiS8_PKS5_SA_S6_PS5_21rocsparse_index_base_b,comdat
	.globl	_ZN9rocsparseL19gebsrmvn_2xn_kernelILj128ELj1ELj32E21rocsparse_complex_numIfEEEvi20rocsparse_direction_NS_24const_host_device_scalarIT2_EEPKiS8_PKS5_SA_S6_PS5_21rocsparse_index_base_b ; -- Begin function _ZN9rocsparseL19gebsrmvn_2xn_kernelILj128ELj1ELj32E21rocsparse_complex_numIfEEEvi20rocsparse_direction_NS_24const_host_device_scalarIT2_EEPKiS8_PKS5_SA_S6_PS5_21rocsparse_index_base_b
	.p2align	8
	.type	_ZN9rocsparseL19gebsrmvn_2xn_kernelILj128ELj1ELj32E21rocsparse_complex_numIfEEEvi20rocsparse_direction_NS_24const_host_device_scalarIT2_EEPKiS8_PKS5_SA_S6_PS5_21rocsparse_index_base_b,@function
_ZN9rocsparseL19gebsrmvn_2xn_kernelILj128ELj1ELj32E21rocsparse_complex_numIfEEEvi20rocsparse_direction_NS_24const_host_device_scalarIT2_EEPKiS8_PKS5_SA_S6_PS5_21rocsparse_index_base_b: ; @_ZN9rocsparseL19gebsrmvn_2xn_kernelILj128ELj1ELj32E21rocsparse_complex_numIfEEEvi20rocsparse_direction_NS_24const_host_device_scalarIT2_EEPKiS8_PKS5_SA_S6_PS5_21rocsparse_index_base_b
; %bb.0:
	s_load_dwordx2 s[0:1], s[4:5], 0x8
	s_load_dwordx2 s[8:9], s[4:5], 0x30
	s_load_dwordx2 s[2:3], s[4:5], 0x40
	s_add_u32 s7, s4, 8
	s_addc_u32 s10, s5, 0
	s_add_u32 s11, s4, 48
	s_addc_u32 s12, s5, 0
	s_waitcnt lgkmcnt(0)
	s_bitcmp1_b32 s3, 0
	s_cselect_b32 s1, s10, s1
	s_cselect_b32 s0, s7, s0
	v_mov_b32_e32 v1, s0
	v_mov_b32_e32 v2, s1
	flat_load_dwordx2 v[1:2], v[1:2]
	s_cselect_b32 s0, s12, s9
	s_cselect_b32 s1, s11, s8
	v_mov_b32_e32 v3, s1
	v_mov_b32_e32 v4, s0
	flat_load_dwordx2 v[3:4], v[3:4]
	s_waitcnt vmcnt(0) lgkmcnt(0)
	v_cmp_eq_f32_e32 vcc, 0, v1
	v_cmp_eq_f32_e64 s[0:1], 0, v2
	s_and_b64 s[10:11], vcc, s[0:1]
	s_mov_b64 s[0:1], -1
	s_and_saveexec_b64 s[8:9], s[10:11]
; %bb.1:
	v_cmp_neq_f32_e32 vcc, 1.0, v3
	v_cmp_neq_f32_e64 s[0:1], 0, v4
	s_or_b64 s[0:1], vcc, s[0:1]
	s_orn2_b64 s[0:1], s[0:1], exec
; %bb.2:
	s_or_b64 exec, exec, s[8:9]
	s_and_saveexec_b64 s[8:9], s[0:1]
	s_cbranch_execz .LBB155_21
; %bb.3:
	s_load_dwordx2 s[0:1], s[4:5], 0x0
	v_lshrrev_b32_e32 v5, 5, v0
	v_lshl_or_b32 v5, s6, 2, v5
	s_waitcnt lgkmcnt(0)
	v_cmp_gt_i32_e32 vcc, s0, v5
	s_and_b64 exec, exec, vcc
	s_cbranch_execz .LBB155_21
; %bb.4:
	s_load_dwordx8 s[8:15], s[4:5], 0x10
	v_ashrrev_i32_e32 v6, 31, v5
	v_lshlrev_b64 v[6:7], 2, v[5:6]
	v_and_b32_e32 v0, 31, v0
	s_cmp_lg_u32 s1, 0
	s_waitcnt lgkmcnt(0)
	v_mov_b32_e32 v8, s9
	v_add_co_u32_e32 v6, vcc, s8, v6
	v_addc_co_u32_e32 v7, vcc, v8, v7, vcc
	global_load_dwordx2 v[6:7], v[6:7], off
	s_waitcnt vmcnt(0)
	v_subrev_u32_e32 v6, s2, v6
	v_subrev_u32_e32 v14, s2, v7
	v_add_u32_e32 v6, v6, v0
	v_cmp_lt_i32_e64 s[0:1], v6, v14
	s_cbranch_scc0 .LBB155_10
; %bb.5:
	v_mov_b32_e32 v12, 0
	v_mov_b32_e32 v15, 0
	;; [unrolled: 1-line block ×4, first 2 shown]
	s_and_saveexec_b64 s[6:7], s[0:1]
	s_cbranch_execz .LBB155_9
; %bb.6:
	v_mov_b32_e32 v8, 0
	v_lshlrev_b32_e32 v7, 1, v6
	s_mov_b64 s[8:9], 0
	v_mov_b32_e32 v16, s11
	v_mov_b32_e32 v17, s13
	;; [unrolled: 1-line block ×8, first 2 shown]
.LBB155_7:                              ; =>This Inner Loop Header: Depth=1
	v_ashrrev_i32_e32 v10, 31, v9
	v_lshlrev_b64 v[19:20], 2, v[9:10]
	v_mov_b32_e32 v24, v8
	v_add_co_u32_e32 v19, vcc, s10, v19
	v_addc_co_u32_e32 v20, vcc, v16, v20, vcc
	global_load_dword v10, v[19:20], off
	v_lshlrev_b64 v[19:20], 3, v[7:8]
	v_add_u32_e32 v9, 32, v9
	v_add_co_u32_e32 v19, vcc, s12, v19
	v_addc_co_u32_e32 v20, vcc, v17, v20, vcc
	global_load_dwordx4 v[19:22], v[19:20], off
	v_add_u32_e32 v7, 64, v7
	s_waitcnt vmcnt(1)
	v_subrev_u32_e32 v23, s2, v10
	v_lshlrev_b64 v[23:24], 3, v[23:24]
	v_add_co_u32_e32 v23, vcc, s14, v23
	v_addc_co_u32_e32 v24, vcc, v18, v24, vcc
	global_load_dwordx2 v[23:24], v[23:24], off
	v_cmp_ge_i32_e32 vcc, v9, v14
	s_or_b64 s[8:9], vcc, s[8:9]
	s_waitcnt vmcnt(0)
	v_fmac_f32_e32 v15, v19, v23
	v_fmac_f32_e32 v12, v20, v23
	;; [unrolled: 1-line block ×4, first 2 shown]
	v_fma_f32 v15, -v20, v24, v15
	v_fmac_f32_e32 v12, v19, v24
	v_fma_f32 v13, -v22, v24, v13
	v_fmac_f32_e32 v11, v21, v24
	s_andn2_b64 exec, exec, s[8:9]
	s_cbranch_execnz .LBB155_7
; %bb.8:
	s_or_b64 exec, exec, s[8:9]
.LBB155_9:
	s_or_b64 exec, exec, s[6:7]
	s_cbranch_execz .LBB155_11
	s_branch .LBB155_16
.LBB155_10:
                                        ; implicit-def: $vgpr12
                                        ; implicit-def: $vgpr15
                                        ; implicit-def: $vgpr13
                                        ; implicit-def: $vgpr11
.LBB155_11:
	v_mov_b32_e32 v12, 0
	v_mov_b32_e32 v15, 0
	;; [unrolled: 1-line block ×4, first 2 shown]
	s_and_saveexec_b64 s[6:7], s[0:1]
	s_cbranch_execz .LBB155_15
; %bb.12:
	v_mov_b32_e32 v9, 0
	v_lshlrev_b32_e32 v8, 1, v6
	s_mov_b64 s[0:1], 0
	v_mov_b32_e32 v10, s11
	v_mov_b32_e32 v16, s13
	;; [unrolled: 1-line block ×7, first 2 shown]
.LBB155_13:                             ; =>This Inner Loop Header: Depth=1
	v_ashrrev_i32_e32 v7, 31, v6
	v_lshlrev_b64 v[18:19], 2, v[6:7]
	v_mov_b32_e32 v23, v9
	v_add_co_u32_e32 v18, vcc, s10, v18
	v_addc_co_u32_e32 v19, vcc, v10, v19, vcc
	global_load_dword v7, v[18:19], off
	v_lshlrev_b64 v[18:19], 3, v[8:9]
	v_add_u32_e32 v6, 32, v6
	v_add_co_u32_e32 v18, vcc, s12, v18
	v_addc_co_u32_e32 v19, vcc, v16, v19, vcc
	global_load_dwordx4 v[18:21], v[18:19], off
	v_add_u32_e32 v8, 64, v8
	s_waitcnt vmcnt(1)
	v_subrev_u32_e32 v22, s2, v7
	v_lshlrev_b64 v[22:23], 3, v[22:23]
	v_add_co_u32_e32 v22, vcc, s14, v22
	v_addc_co_u32_e32 v23, vcc, v17, v23, vcc
	global_load_dwordx2 v[22:23], v[22:23], off
	v_cmp_ge_i32_e32 vcc, v6, v14
	s_or_b64 s[0:1], vcc, s[0:1]
	s_waitcnt vmcnt(0)
	v_fmac_f32_e32 v15, v18, v22
	v_fmac_f32_e32 v12, v19, v22
	;; [unrolled: 1-line block ×4, first 2 shown]
	v_fma_f32 v15, -v19, v23, v15
	v_fmac_f32_e32 v12, v18, v23
	v_fma_f32 v13, -v21, v23, v13
	v_fmac_f32_e32 v11, v20, v23
	s_andn2_b64 exec, exec, s[0:1]
	s_cbranch_execnz .LBB155_13
; %bb.14:
	s_or_b64 exec, exec, s[0:1]
.LBB155_15:
	s_or_b64 exec, exec, s[6:7]
.LBB155_16:
	v_mov_b32_dpp v10, v13 row_shr:1 row_mask:0xf bank_mask:0xf
	v_mov_b32_dpp v6, v15 row_shr:1 row_mask:0xf bank_mask:0xf
	;; [unrolled: 1-line block ×3, first 2 shown]
	v_add_f32_e32 v10, v13, v10
	v_mov_b32_dpp v13, v11 row_shr:1 row_mask:0xf bank_mask:0xf
	v_add_f32_e32 v6, v15, v6
	v_add_f32_e32 v8, v12, v8
	v_add_f32_e32 v11, v11, v13
	v_mov_b32_dpp v7, v6 row_shr:2 row_mask:0xf bank_mask:0xf
	v_mov_b32_dpp v9, v8 row_shr:2 row_mask:0xf bank_mask:0xf
	v_mov_b32_dpp v12, v10 row_shr:2 row_mask:0xf bank_mask:0xf
	v_mov_b32_dpp v13, v11 row_shr:2 row_mask:0xf bank_mask:0xf
	v_add_f32_e32 v6, v6, v7
	v_add_f32_e32 v8, v8, v9
	v_add_f32_e32 v10, v10, v12
	v_add_f32_e32 v11, v11, v13
	v_mov_b32_dpp v7, v6 row_shr:4 row_mask:0xf bank_mask:0xe
	v_mov_b32_dpp v9, v8 row_shr:4 row_mask:0xf bank_mask:0xe
	v_mov_b32_dpp v12, v10 row_shr:4 row_mask:0xf bank_mask:0xe
	v_mov_b32_dpp v13, v11 row_shr:4 row_mask:0xf bank_mask:0xe
	v_add_f32_e32 v6, v6, v7
	;; [unrolled: 8-line block ×3, first 2 shown]
	v_add_f32_e32 v8, v8, v9
	v_add_f32_e32 v10, v10, v12
	;; [unrolled: 1-line block ×3, first 2 shown]
	v_mov_b32_dpp v7, v6 row_bcast:15 row_mask:0xa bank_mask:0xf
	v_mov_b32_dpp v9, v8 row_bcast:15 row_mask:0xa bank_mask:0xf
	;; [unrolled: 1-line block ×4, first 2 shown]
	v_cmp_eq_u32_e32 vcc, 31, v0
	s_and_b64 exec, exec, vcc
	s_cbranch_execz .LBB155_21
; %bb.17:
	s_load_dwordx2 s[2:3], s[4:5], 0x38
	v_cmp_eq_f32_e32 vcc, 0, v3
	v_cmp_eq_f32_e64 s[0:1], 0, v4
	v_add_f32_e32 v7, v6, v7
	v_add_f32_e32 v8, v8, v9
	;; [unrolled: 1-line block ×4, first 2 shown]
	s_and_b64 s[0:1], vcc, s[0:1]
	s_and_saveexec_b64 s[4:5], s[0:1]
	s_xor_b64 s[0:1], exec, s[4:5]
	s_cbranch_execz .LBB155_19
; %bb.18:
	v_mul_f32_e64 v3, v8, -v2
	v_mul_f32_e32 v4, v1, v8
	v_fmac_f32_e32 v3, v1, v7
	v_fmac_f32_e32 v4, v2, v7
	v_lshlrev_b32_e32 v7, 1, v5
	v_ashrrev_i32_e32 v8, 31, v7
	v_lshlrev_b64 v[7:8], 3, v[7:8]
	s_waitcnt lgkmcnt(0)
	v_mov_b32_e32 v5, s3
	v_add_co_u32_e32 v7, vcc, s2, v7
	v_addc_co_u32_e32 v8, vcc, v5, v8, vcc
	v_mul_f32_e64 v5, v6, -v2
	v_mul_f32_e32 v6, v1, v6
	v_fmac_f32_e32 v5, v1, v0
	v_fmac_f32_e32 v6, v2, v0
	global_store_dwordx4 v[7:8], v[3:6], off
                                        ; implicit-def: $vgpr5
                                        ; implicit-def: $vgpr1_vgpr2
                                        ; implicit-def: $vgpr8
                                        ; implicit-def: $vgpr7
                                        ; implicit-def: $vgpr3_vgpr4
                                        ; implicit-def: $vgpr6
                                        ; implicit-def: $vgpr0
.LBB155_19:
	s_andn2_saveexec_b64 s[0:1], s[0:1]
	s_cbranch_execz .LBB155_21
; %bb.20:
	v_lshlrev_b32_e32 v9, 1, v5
	v_ashrrev_i32_e32 v10, 31, v9
	v_lshlrev_b64 v[9:10], 3, v[9:10]
	s_waitcnt lgkmcnt(0)
	v_mov_b32_e32 v5, s3
	v_add_co_u32_e32 v17, vcc, s2, v9
	v_addc_co_u32_e32 v18, vcc, v5, v10, vcc
	global_load_dwordx4 v[9:12], v[17:18], off
	v_mul_f32_e64 v5, v8, -v2
	v_mul_f32_e32 v14, v1, v8
	v_mul_f32_e64 v8, v6, -v2
	v_mul_f32_e32 v16, v1, v6
	v_fmac_f32_e32 v5, v1, v7
	v_fmac_f32_e32 v14, v2, v7
	;; [unrolled: 1-line block ×4, first 2 shown]
	s_waitcnt vmcnt(0)
	v_fmac_f32_e32 v5, v3, v9
	v_fmac_f32_e32 v14, v4, v9
	;; [unrolled: 1-line block ×4, first 2 shown]
	v_fma_f32 v13, -v4, v10, v5
	v_fmac_f32_e32 v14, v3, v10
	v_fma_f32 v15, -v4, v12, v8
	v_fmac_f32_e32 v16, v3, v12
	global_store_dwordx4 v[17:18], v[13:16], off
.LBB155_21:
	s_endpgm
	.section	.rodata,"a",@progbits
	.p2align	6, 0x0
	.amdhsa_kernel _ZN9rocsparseL19gebsrmvn_2xn_kernelILj128ELj1ELj32E21rocsparse_complex_numIfEEEvi20rocsparse_direction_NS_24const_host_device_scalarIT2_EEPKiS8_PKS5_SA_S6_PS5_21rocsparse_index_base_b
		.amdhsa_group_segment_fixed_size 0
		.amdhsa_private_segment_fixed_size 0
		.amdhsa_kernarg_size 72
		.amdhsa_user_sgpr_count 6
		.amdhsa_user_sgpr_private_segment_buffer 1
		.amdhsa_user_sgpr_dispatch_ptr 0
		.amdhsa_user_sgpr_queue_ptr 0
		.amdhsa_user_sgpr_kernarg_segment_ptr 1
		.amdhsa_user_sgpr_dispatch_id 0
		.amdhsa_user_sgpr_flat_scratch_init 0
		.amdhsa_user_sgpr_private_segment_size 0
		.amdhsa_uses_dynamic_stack 0
		.amdhsa_system_sgpr_private_segment_wavefront_offset 0
		.amdhsa_system_sgpr_workgroup_id_x 1
		.amdhsa_system_sgpr_workgroup_id_y 0
		.amdhsa_system_sgpr_workgroup_id_z 0
		.amdhsa_system_sgpr_workgroup_info 0
		.amdhsa_system_vgpr_workitem_id 0
		.amdhsa_next_free_vgpr 25
		.amdhsa_next_free_sgpr 16
		.amdhsa_reserve_vcc 1
		.amdhsa_reserve_flat_scratch 0
		.amdhsa_float_round_mode_32 0
		.amdhsa_float_round_mode_16_64 0
		.amdhsa_float_denorm_mode_32 3
		.amdhsa_float_denorm_mode_16_64 3
		.amdhsa_dx10_clamp 1
		.amdhsa_ieee_mode 1
		.amdhsa_fp16_overflow 0
		.amdhsa_exception_fp_ieee_invalid_op 0
		.amdhsa_exception_fp_denorm_src 0
		.amdhsa_exception_fp_ieee_div_zero 0
		.amdhsa_exception_fp_ieee_overflow 0
		.amdhsa_exception_fp_ieee_underflow 0
		.amdhsa_exception_fp_ieee_inexact 0
		.amdhsa_exception_int_div_zero 0
	.end_amdhsa_kernel
	.section	.text._ZN9rocsparseL19gebsrmvn_2xn_kernelILj128ELj1ELj32E21rocsparse_complex_numIfEEEvi20rocsparse_direction_NS_24const_host_device_scalarIT2_EEPKiS8_PKS5_SA_S6_PS5_21rocsparse_index_base_b,"axG",@progbits,_ZN9rocsparseL19gebsrmvn_2xn_kernelILj128ELj1ELj32E21rocsparse_complex_numIfEEEvi20rocsparse_direction_NS_24const_host_device_scalarIT2_EEPKiS8_PKS5_SA_S6_PS5_21rocsparse_index_base_b,comdat
.Lfunc_end155:
	.size	_ZN9rocsparseL19gebsrmvn_2xn_kernelILj128ELj1ELj32E21rocsparse_complex_numIfEEEvi20rocsparse_direction_NS_24const_host_device_scalarIT2_EEPKiS8_PKS5_SA_S6_PS5_21rocsparse_index_base_b, .Lfunc_end155-_ZN9rocsparseL19gebsrmvn_2xn_kernelILj128ELj1ELj32E21rocsparse_complex_numIfEEEvi20rocsparse_direction_NS_24const_host_device_scalarIT2_EEPKiS8_PKS5_SA_S6_PS5_21rocsparse_index_base_b
                                        ; -- End function
	.set _ZN9rocsparseL19gebsrmvn_2xn_kernelILj128ELj1ELj32E21rocsparse_complex_numIfEEEvi20rocsparse_direction_NS_24const_host_device_scalarIT2_EEPKiS8_PKS5_SA_S6_PS5_21rocsparse_index_base_b.num_vgpr, 25
	.set _ZN9rocsparseL19gebsrmvn_2xn_kernelILj128ELj1ELj32E21rocsparse_complex_numIfEEEvi20rocsparse_direction_NS_24const_host_device_scalarIT2_EEPKiS8_PKS5_SA_S6_PS5_21rocsparse_index_base_b.num_agpr, 0
	.set _ZN9rocsparseL19gebsrmvn_2xn_kernelILj128ELj1ELj32E21rocsparse_complex_numIfEEEvi20rocsparse_direction_NS_24const_host_device_scalarIT2_EEPKiS8_PKS5_SA_S6_PS5_21rocsparse_index_base_b.numbered_sgpr, 16
	.set _ZN9rocsparseL19gebsrmvn_2xn_kernelILj128ELj1ELj32E21rocsparse_complex_numIfEEEvi20rocsparse_direction_NS_24const_host_device_scalarIT2_EEPKiS8_PKS5_SA_S6_PS5_21rocsparse_index_base_b.num_named_barrier, 0
	.set _ZN9rocsparseL19gebsrmvn_2xn_kernelILj128ELj1ELj32E21rocsparse_complex_numIfEEEvi20rocsparse_direction_NS_24const_host_device_scalarIT2_EEPKiS8_PKS5_SA_S6_PS5_21rocsparse_index_base_b.private_seg_size, 0
	.set _ZN9rocsparseL19gebsrmvn_2xn_kernelILj128ELj1ELj32E21rocsparse_complex_numIfEEEvi20rocsparse_direction_NS_24const_host_device_scalarIT2_EEPKiS8_PKS5_SA_S6_PS5_21rocsparse_index_base_b.uses_vcc, 1
	.set _ZN9rocsparseL19gebsrmvn_2xn_kernelILj128ELj1ELj32E21rocsparse_complex_numIfEEEvi20rocsparse_direction_NS_24const_host_device_scalarIT2_EEPKiS8_PKS5_SA_S6_PS5_21rocsparse_index_base_b.uses_flat_scratch, 0
	.set _ZN9rocsparseL19gebsrmvn_2xn_kernelILj128ELj1ELj32E21rocsparse_complex_numIfEEEvi20rocsparse_direction_NS_24const_host_device_scalarIT2_EEPKiS8_PKS5_SA_S6_PS5_21rocsparse_index_base_b.has_dyn_sized_stack, 0
	.set _ZN9rocsparseL19gebsrmvn_2xn_kernelILj128ELj1ELj32E21rocsparse_complex_numIfEEEvi20rocsparse_direction_NS_24const_host_device_scalarIT2_EEPKiS8_PKS5_SA_S6_PS5_21rocsparse_index_base_b.has_recursion, 0
	.set _ZN9rocsparseL19gebsrmvn_2xn_kernelILj128ELj1ELj32E21rocsparse_complex_numIfEEEvi20rocsparse_direction_NS_24const_host_device_scalarIT2_EEPKiS8_PKS5_SA_S6_PS5_21rocsparse_index_base_b.has_indirect_call, 0
	.section	.AMDGPU.csdata,"",@progbits
; Kernel info:
; codeLenInByte = 1252
; TotalNumSgprs: 20
; NumVgprs: 25
; ScratchSize: 0
; MemoryBound: 0
; FloatMode: 240
; IeeeMode: 1
; LDSByteSize: 0 bytes/workgroup (compile time only)
; SGPRBlocks: 2
; VGPRBlocks: 6
; NumSGPRsForWavesPerEU: 20
; NumVGPRsForWavesPerEU: 25
; Occupancy: 9
; WaveLimiterHint : 1
; COMPUTE_PGM_RSRC2:SCRATCH_EN: 0
; COMPUTE_PGM_RSRC2:USER_SGPR: 6
; COMPUTE_PGM_RSRC2:TRAP_HANDLER: 0
; COMPUTE_PGM_RSRC2:TGID_X_EN: 1
; COMPUTE_PGM_RSRC2:TGID_Y_EN: 0
; COMPUTE_PGM_RSRC2:TGID_Z_EN: 0
; COMPUTE_PGM_RSRC2:TIDIG_COMP_CNT: 0
	.section	.text._ZN9rocsparseL19gebsrmvn_2xn_kernelILj128ELj1ELj64E21rocsparse_complex_numIfEEEvi20rocsparse_direction_NS_24const_host_device_scalarIT2_EEPKiS8_PKS5_SA_S6_PS5_21rocsparse_index_base_b,"axG",@progbits,_ZN9rocsparseL19gebsrmvn_2xn_kernelILj128ELj1ELj64E21rocsparse_complex_numIfEEEvi20rocsparse_direction_NS_24const_host_device_scalarIT2_EEPKiS8_PKS5_SA_S6_PS5_21rocsparse_index_base_b,comdat
	.globl	_ZN9rocsparseL19gebsrmvn_2xn_kernelILj128ELj1ELj64E21rocsparse_complex_numIfEEEvi20rocsparse_direction_NS_24const_host_device_scalarIT2_EEPKiS8_PKS5_SA_S6_PS5_21rocsparse_index_base_b ; -- Begin function _ZN9rocsparseL19gebsrmvn_2xn_kernelILj128ELj1ELj64E21rocsparse_complex_numIfEEEvi20rocsparse_direction_NS_24const_host_device_scalarIT2_EEPKiS8_PKS5_SA_S6_PS5_21rocsparse_index_base_b
	.p2align	8
	.type	_ZN9rocsparseL19gebsrmvn_2xn_kernelILj128ELj1ELj64E21rocsparse_complex_numIfEEEvi20rocsparse_direction_NS_24const_host_device_scalarIT2_EEPKiS8_PKS5_SA_S6_PS5_21rocsparse_index_base_b,@function
_ZN9rocsparseL19gebsrmvn_2xn_kernelILj128ELj1ELj64E21rocsparse_complex_numIfEEEvi20rocsparse_direction_NS_24const_host_device_scalarIT2_EEPKiS8_PKS5_SA_S6_PS5_21rocsparse_index_base_b: ; @_ZN9rocsparseL19gebsrmvn_2xn_kernelILj128ELj1ELj64E21rocsparse_complex_numIfEEEvi20rocsparse_direction_NS_24const_host_device_scalarIT2_EEPKiS8_PKS5_SA_S6_PS5_21rocsparse_index_base_b
; %bb.0:
	s_load_dwordx2 s[0:1], s[4:5], 0x8
	s_load_dwordx2 s[8:9], s[4:5], 0x30
	;; [unrolled: 1-line block ×3, first 2 shown]
	s_add_u32 s7, s4, 8
	s_addc_u32 s10, s5, 0
	s_add_u32 s11, s4, 48
	s_addc_u32 s12, s5, 0
	s_waitcnt lgkmcnt(0)
	s_bitcmp1_b32 s3, 0
	s_cselect_b32 s1, s10, s1
	s_cselect_b32 s0, s7, s0
	v_mov_b32_e32 v1, s0
	v_mov_b32_e32 v2, s1
	flat_load_dwordx2 v[1:2], v[1:2]
	s_cselect_b32 s0, s12, s9
	s_cselect_b32 s1, s11, s8
	v_mov_b32_e32 v3, s1
	v_mov_b32_e32 v4, s0
	flat_load_dwordx2 v[3:4], v[3:4]
	s_waitcnt vmcnt(0) lgkmcnt(0)
	v_cmp_eq_f32_e32 vcc, 0, v1
	v_cmp_eq_f32_e64 s[0:1], 0, v2
	s_and_b64 s[10:11], vcc, s[0:1]
	s_mov_b64 s[0:1], -1
	s_and_saveexec_b64 s[8:9], s[10:11]
; %bb.1:
	v_cmp_neq_f32_e32 vcc, 1.0, v3
	v_cmp_neq_f32_e64 s[0:1], 0, v4
	s_or_b64 s[0:1], vcc, s[0:1]
	s_orn2_b64 s[0:1], s[0:1], exec
; %bb.2:
	s_or_b64 exec, exec, s[8:9]
	s_and_saveexec_b64 s[8:9], s[0:1]
	s_cbranch_execz .LBB156_21
; %bb.3:
	s_load_dwordx2 s[0:1], s[4:5], 0x0
	v_lshrrev_b32_e32 v5, 6, v0
	v_lshl_or_b32 v5, s6, 1, v5
	s_waitcnt lgkmcnt(0)
	v_cmp_gt_i32_e32 vcc, s0, v5
	s_and_b64 exec, exec, vcc
	s_cbranch_execz .LBB156_21
; %bb.4:
	s_load_dwordx8 s[8:15], s[4:5], 0x10
	v_ashrrev_i32_e32 v6, 31, v5
	v_lshlrev_b64 v[6:7], 2, v[5:6]
	v_and_b32_e32 v0, 63, v0
	s_cmp_lg_u32 s1, 0
	s_waitcnt lgkmcnt(0)
	v_mov_b32_e32 v8, s9
	v_add_co_u32_e32 v6, vcc, s8, v6
	v_addc_co_u32_e32 v7, vcc, v8, v7, vcc
	global_load_dwordx2 v[6:7], v[6:7], off
	s_waitcnt vmcnt(0)
	v_subrev_u32_e32 v6, s2, v6
	v_subrev_u32_e32 v14, s2, v7
	v_add_u32_e32 v6, v6, v0
	v_cmp_lt_i32_e64 s[0:1], v6, v14
	s_cbranch_scc0 .LBB156_10
; %bb.5:
	v_mov_b32_e32 v12, 0
	v_mov_b32_e32 v15, 0
	;; [unrolled: 1-line block ×4, first 2 shown]
	s_and_saveexec_b64 s[6:7], s[0:1]
	s_cbranch_execz .LBB156_9
; %bb.6:
	v_mov_b32_e32 v8, 0
	v_lshlrev_b32_e32 v7, 1, v6
	s_mov_b64 s[8:9], 0
	v_mov_b32_e32 v16, s11
	v_mov_b32_e32 v17, s13
	;; [unrolled: 1-line block ×8, first 2 shown]
.LBB156_7:                              ; =>This Inner Loop Header: Depth=1
	v_ashrrev_i32_e32 v10, 31, v9
	v_lshlrev_b64 v[19:20], 2, v[9:10]
	v_mov_b32_e32 v24, v8
	v_add_co_u32_e32 v19, vcc, s10, v19
	v_addc_co_u32_e32 v20, vcc, v16, v20, vcc
	global_load_dword v10, v[19:20], off
	v_lshlrev_b64 v[19:20], 3, v[7:8]
	v_add_u32_e32 v9, 64, v9
	v_add_co_u32_e32 v19, vcc, s12, v19
	v_addc_co_u32_e32 v20, vcc, v17, v20, vcc
	global_load_dwordx4 v[19:22], v[19:20], off
	v_add_u32_e32 v7, 0x80, v7
	s_waitcnt vmcnt(1)
	v_subrev_u32_e32 v23, s2, v10
	v_lshlrev_b64 v[23:24], 3, v[23:24]
	v_add_co_u32_e32 v23, vcc, s14, v23
	v_addc_co_u32_e32 v24, vcc, v18, v24, vcc
	global_load_dwordx2 v[23:24], v[23:24], off
	v_cmp_ge_i32_e32 vcc, v9, v14
	s_or_b64 s[8:9], vcc, s[8:9]
	s_waitcnt vmcnt(0)
	v_fmac_f32_e32 v15, v19, v23
	v_fmac_f32_e32 v12, v20, v23
	;; [unrolled: 1-line block ×4, first 2 shown]
	v_fma_f32 v15, -v20, v24, v15
	v_fmac_f32_e32 v12, v19, v24
	v_fma_f32 v13, -v22, v24, v13
	v_fmac_f32_e32 v11, v21, v24
	s_andn2_b64 exec, exec, s[8:9]
	s_cbranch_execnz .LBB156_7
; %bb.8:
	s_or_b64 exec, exec, s[8:9]
.LBB156_9:
	s_or_b64 exec, exec, s[6:7]
	s_cbranch_execz .LBB156_11
	s_branch .LBB156_16
.LBB156_10:
                                        ; implicit-def: $vgpr12
                                        ; implicit-def: $vgpr15
                                        ; implicit-def: $vgpr13
                                        ; implicit-def: $vgpr11
.LBB156_11:
	v_mov_b32_e32 v12, 0
	v_mov_b32_e32 v15, 0
	;; [unrolled: 1-line block ×4, first 2 shown]
	s_and_saveexec_b64 s[6:7], s[0:1]
	s_cbranch_execz .LBB156_15
; %bb.12:
	v_mov_b32_e32 v9, 0
	v_lshlrev_b32_e32 v8, 1, v6
	s_mov_b64 s[0:1], 0
	v_mov_b32_e32 v10, s11
	v_mov_b32_e32 v16, s13
	;; [unrolled: 1-line block ×7, first 2 shown]
.LBB156_13:                             ; =>This Inner Loop Header: Depth=1
	v_ashrrev_i32_e32 v7, 31, v6
	v_lshlrev_b64 v[18:19], 2, v[6:7]
	v_mov_b32_e32 v23, v9
	v_add_co_u32_e32 v18, vcc, s10, v18
	v_addc_co_u32_e32 v19, vcc, v10, v19, vcc
	global_load_dword v7, v[18:19], off
	v_lshlrev_b64 v[18:19], 3, v[8:9]
	v_add_u32_e32 v6, 64, v6
	v_add_co_u32_e32 v18, vcc, s12, v18
	v_addc_co_u32_e32 v19, vcc, v16, v19, vcc
	global_load_dwordx4 v[18:21], v[18:19], off
	v_add_u32_e32 v8, 0x80, v8
	s_waitcnt vmcnt(1)
	v_subrev_u32_e32 v22, s2, v7
	v_lshlrev_b64 v[22:23], 3, v[22:23]
	v_add_co_u32_e32 v22, vcc, s14, v22
	v_addc_co_u32_e32 v23, vcc, v17, v23, vcc
	global_load_dwordx2 v[22:23], v[22:23], off
	v_cmp_ge_i32_e32 vcc, v6, v14
	s_or_b64 s[0:1], vcc, s[0:1]
	s_waitcnt vmcnt(0)
	v_fmac_f32_e32 v15, v18, v22
	v_fmac_f32_e32 v12, v19, v22
	;; [unrolled: 1-line block ×4, first 2 shown]
	v_fma_f32 v15, -v19, v23, v15
	v_fmac_f32_e32 v12, v18, v23
	v_fma_f32 v13, -v21, v23, v13
	v_fmac_f32_e32 v11, v20, v23
	s_andn2_b64 exec, exec, s[0:1]
	s_cbranch_execnz .LBB156_13
; %bb.14:
	s_or_b64 exec, exec, s[0:1]
.LBB156_15:
	s_or_b64 exec, exec, s[6:7]
.LBB156_16:
	v_mov_b32_dpp v10, v13 row_shr:1 row_mask:0xf bank_mask:0xf
	v_mov_b32_dpp v6, v15 row_shr:1 row_mask:0xf bank_mask:0xf
	;; [unrolled: 1-line block ×3, first 2 shown]
	v_add_f32_e32 v10, v13, v10
	v_mov_b32_dpp v13, v11 row_shr:1 row_mask:0xf bank_mask:0xf
	v_add_f32_e32 v6, v15, v6
	v_add_f32_e32 v8, v12, v8
	v_add_f32_e32 v11, v11, v13
	v_mov_b32_dpp v7, v6 row_shr:2 row_mask:0xf bank_mask:0xf
	v_mov_b32_dpp v9, v8 row_shr:2 row_mask:0xf bank_mask:0xf
	v_mov_b32_dpp v12, v10 row_shr:2 row_mask:0xf bank_mask:0xf
	v_mov_b32_dpp v13, v11 row_shr:2 row_mask:0xf bank_mask:0xf
	v_add_f32_e32 v6, v6, v7
	v_add_f32_e32 v8, v8, v9
	v_add_f32_e32 v10, v10, v12
	v_add_f32_e32 v11, v11, v13
	v_mov_b32_dpp v7, v6 row_shr:4 row_mask:0xf bank_mask:0xe
	v_mov_b32_dpp v9, v8 row_shr:4 row_mask:0xf bank_mask:0xe
	v_mov_b32_dpp v12, v10 row_shr:4 row_mask:0xf bank_mask:0xe
	v_mov_b32_dpp v13, v11 row_shr:4 row_mask:0xf bank_mask:0xe
	v_add_f32_e32 v6, v6, v7
	;; [unrolled: 8-line block ×3, first 2 shown]
	v_add_f32_e32 v8, v8, v9
	v_add_f32_e32 v10, v10, v12
	;; [unrolled: 1-line block ×3, first 2 shown]
	v_mov_b32_dpp v7, v6 row_bcast:15 row_mask:0xa bank_mask:0xf
	v_mov_b32_dpp v9, v8 row_bcast:15 row_mask:0xa bank_mask:0xf
	;; [unrolled: 1-line block ×4, first 2 shown]
	v_add_f32_e32 v6, v6, v7
	v_add_f32_e32 v8, v8, v9
	;; [unrolled: 1-line block ×4, first 2 shown]
	v_mov_b32_dpp v7, v6 row_bcast:31 row_mask:0xc bank_mask:0xf
	v_mov_b32_dpp v9, v8 row_bcast:31 row_mask:0xc bank_mask:0xf
	;; [unrolled: 1-line block ×4, first 2 shown]
	v_cmp_eq_u32_e32 vcc, 63, v0
	s_and_b64 exec, exec, vcc
	s_cbranch_execz .LBB156_21
; %bb.17:
	s_load_dwordx2 s[2:3], s[4:5], 0x38
	v_cmp_eq_f32_e32 vcc, 0, v3
	v_cmp_eq_f32_e64 s[0:1], 0, v4
	v_add_f32_e32 v7, v6, v7
	v_add_f32_e32 v8, v8, v9
	;; [unrolled: 1-line block ×4, first 2 shown]
	s_and_b64 s[0:1], vcc, s[0:1]
	s_and_saveexec_b64 s[4:5], s[0:1]
	s_xor_b64 s[0:1], exec, s[4:5]
	s_cbranch_execz .LBB156_19
; %bb.18:
	v_mul_f32_e64 v3, v8, -v2
	v_mul_f32_e32 v4, v1, v8
	v_fmac_f32_e32 v3, v1, v7
	v_fmac_f32_e32 v4, v2, v7
	v_lshlrev_b32_e32 v7, 1, v5
	v_ashrrev_i32_e32 v8, 31, v7
	v_lshlrev_b64 v[7:8], 3, v[7:8]
	s_waitcnt lgkmcnt(0)
	v_mov_b32_e32 v5, s3
	v_add_co_u32_e32 v7, vcc, s2, v7
	v_addc_co_u32_e32 v8, vcc, v5, v8, vcc
	v_mul_f32_e64 v5, v6, -v2
	v_mul_f32_e32 v6, v1, v6
	v_fmac_f32_e32 v5, v1, v0
	v_fmac_f32_e32 v6, v2, v0
	global_store_dwordx4 v[7:8], v[3:6], off
                                        ; implicit-def: $vgpr5
                                        ; implicit-def: $vgpr1_vgpr2
                                        ; implicit-def: $vgpr8
                                        ; implicit-def: $vgpr7
                                        ; implicit-def: $vgpr3_vgpr4
                                        ; implicit-def: $vgpr6
                                        ; implicit-def: $vgpr0
.LBB156_19:
	s_andn2_saveexec_b64 s[0:1], s[0:1]
	s_cbranch_execz .LBB156_21
; %bb.20:
	v_lshlrev_b32_e32 v9, 1, v5
	v_ashrrev_i32_e32 v10, 31, v9
	v_lshlrev_b64 v[9:10], 3, v[9:10]
	s_waitcnt lgkmcnt(0)
	v_mov_b32_e32 v5, s3
	v_add_co_u32_e32 v17, vcc, s2, v9
	v_addc_co_u32_e32 v18, vcc, v5, v10, vcc
	global_load_dwordx4 v[9:12], v[17:18], off
	v_mul_f32_e64 v5, v8, -v2
	v_mul_f32_e32 v14, v1, v8
	v_mul_f32_e64 v8, v6, -v2
	v_mul_f32_e32 v16, v1, v6
	v_fmac_f32_e32 v5, v1, v7
	v_fmac_f32_e32 v14, v2, v7
	;; [unrolled: 1-line block ×4, first 2 shown]
	s_waitcnt vmcnt(0)
	v_fmac_f32_e32 v5, v3, v9
	v_fmac_f32_e32 v14, v4, v9
	;; [unrolled: 1-line block ×4, first 2 shown]
	v_fma_f32 v13, -v4, v10, v5
	v_fmac_f32_e32 v14, v3, v10
	v_fma_f32 v15, -v4, v12, v8
	v_fmac_f32_e32 v16, v3, v12
	global_store_dwordx4 v[17:18], v[13:16], off
.LBB156_21:
	s_endpgm
	.section	.rodata,"a",@progbits
	.p2align	6, 0x0
	.amdhsa_kernel _ZN9rocsparseL19gebsrmvn_2xn_kernelILj128ELj1ELj64E21rocsparse_complex_numIfEEEvi20rocsparse_direction_NS_24const_host_device_scalarIT2_EEPKiS8_PKS5_SA_S6_PS5_21rocsparse_index_base_b
		.amdhsa_group_segment_fixed_size 0
		.amdhsa_private_segment_fixed_size 0
		.amdhsa_kernarg_size 72
		.amdhsa_user_sgpr_count 6
		.amdhsa_user_sgpr_private_segment_buffer 1
		.amdhsa_user_sgpr_dispatch_ptr 0
		.amdhsa_user_sgpr_queue_ptr 0
		.amdhsa_user_sgpr_kernarg_segment_ptr 1
		.amdhsa_user_sgpr_dispatch_id 0
		.amdhsa_user_sgpr_flat_scratch_init 0
		.amdhsa_user_sgpr_private_segment_size 0
		.amdhsa_uses_dynamic_stack 0
		.amdhsa_system_sgpr_private_segment_wavefront_offset 0
		.amdhsa_system_sgpr_workgroup_id_x 1
		.amdhsa_system_sgpr_workgroup_id_y 0
		.amdhsa_system_sgpr_workgroup_id_z 0
		.amdhsa_system_sgpr_workgroup_info 0
		.amdhsa_system_vgpr_workitem_id 0
		.amdhsa_next_free_vgpr 25
		.amdhsa_next_free_sgpr 16
		.amdhsa_reserve_vcc 1
		.amdhsa_reserve_flat_scratch 0
		.amdhsa_float_round_mode_32 0
		.amdhsa_float_round_mode_16_64 0
		.amdhsa_float_denorm_mode_32 3
		.amdhsa_float_denorm_mode_16_64 3
		.amdhsa_dx10_clamp 1
		.amdhsa_ieee_mode 1
		.amdhsa_fp16_overflow 0
		.amdhsa_exception_fp_ieee_invalid_op 0
		.amdhsa_exception_fp_denorm_src 0
		.amdhsa_exception_fp_ieee_div_zero 0
		.amdhsa_exception_fp_ieee_overflow 0
		.amdhsa_exception_fp_ieee_underflow 0
		.amdhsa_exception_fp_ieee_inexact 0
		.amdhsa_exception_int_div_zero 0
	.end_amdhsa_kernel
	.section	.text._ZN9rocsparseL19gebsrmvn_2xn_kernelILj128ELj1ELj64E21rocsparse_complex_numIfEEEvi20rocsparse_direction_NS_24const_host_device_scalarIT2_EEPKiS8_PKS5_SA_S6_PS5_21rocsparse_index_base_b,"axG",@progbits,_ZN9rocsparseL19gebsrmvn_2xn_kernelILj128ELj1ELj64E21rocsparse_complex_numIfEEEvi20rocsparse_direction_NS_24const_host_device_scalarIT2_EEPKiS8_PKS5_SA_S6_PS5_21rocsparse_index_base_b,comdat
.Lfunc_end156:
	.size	_ZN9rocsparseL19gebsrmvn_2xn_kernelILj128ELj1ELj64E21rocsparse_complex_numIfEEEvi20rocsparse_direction_NS_24const_host_device_scalarIT2_EEPKiS8_PKS5_SA_S6_PS5_21rocsparse_index_base_b, .Lfunc_end156-_ZN9rocsparseL19gebsrmvn_2xn_kernelILj128ELj1ELj64E21rocsparse_complex_numIfEEEvi20rocsparse_direction_NS_24const_host_device_scalarIT2_EEPKiS8_PKS5_SA_S6_PS5_21rocsparse_index_base_b
                                        ; -- End function
	.set _ZN9rocsparseL19gebsrmvn_2xn_kernelILj128ELj1ELj64E21rocsparse_complex_numIfEEEvi20rocsparse_direction_NS_24const_host_device_scalarIT2_EEPKiS8_PKS5_SA_S6_PS5_21rocsparse_index_base_b.num_vgpr, 25
	.set _ZN9rocsparseL19gebsrmvn_2xn_kernelILj128ELj1ELj64E21rocsparse_complex_numIfEEEvi20rocsparse_direction_NS_24const_host_device_scalarIT2_EEPKiS8_PKS5_SA_S6_PS5_21rocsparse_index_base_b.num_agpr, 0
	.set _ZN9rocsparseL19gebsrmvn_2xn_kernelILj128ELj1ELj64E21rocsparse_complex_numIfEEEvi20rocsparse_direction_NS_24const_host_device_scalarIT2_EEPKiS8_PKS5_SA_S6_PS5_21rocsparse_index_base_b.numbered_sgpr, 16
	.set _ZN9rocsparseL19gebsrmvn_2xn_kernelILj128ELj1ELj64E21rocsparse_complex_numIfEEEvi20rocsparse_direction_NS_24const_host_device_scalarIT2_EEPKiS8_PKS5_SA_S6_PS5_21rocsparse_index_base_b.num_named_barrier, 0
	.set _ZN9rocsparseL19gebsrmvn_2xn_kernelILj128ELj1ELj64E21rocsparse_complex_numIfEEEvi20rocsparse_direction_NS_24const_host_device_scalarIT2_EEPKiS8_PKS5_SA_S6_PS5_21rocsparse_index_base_b.private_seg_size, 0
	.set _ZN9rocsparseL19gebsrmvn_2xn_kernelILj128ELj1ELj64E21rocsparse_complex_numIfEEEvi20rocsparse_direction_NS_24const_host_device_scalarIT2_EEPKiS8_PKS5_SA_S6_PS5_21rocsparse_index_base_b.uses_vcc, 1
	.set _ZN9rocsparseL19gebsrmvn_2xn_kernelILj128ELj1ELj64E21rocsparse_complex_numIfEEEvi20rocsparse_direction_NS_24const_host_device_scalarIT2_EEPKiS8_PKS5_SA_S6_PS5_21rocsparse_index_base_b.uses_flat_scratch, 0
	.set _ZN9rocsparseL19gebsrmvn_2xn_kernelILj128ELj1ELj64E21rocsparse_complex_numIfEEEvi20rocsparse_direction_NS_24const_host_device_scalarIT2_EEPKiS8_PKS5_SA_S6_PS5_21rocsparse_index_base_b.has_dyn_sized_stack, 0
	.set _ZN9rocsparseL19gebsrmvn_2xn_kernelILj128ELj1ELj64E21rocsparse_complex_numIfEEEvi20rocsparse_direction_NS_24const_host_device_scalarIT2_EEPKiS8_PKS5_SA_S6_PS5_21rocsparse_index_base_b.has_recursion, 0
	.set _ZN9rocsparseL19gebsrmvn_2xn_kernelILj128ELj1ELj64E21rocsparse_complex_numIfEEEvi20rocsparse_direction_NS_24const_host_device_scalarIT2_EEPKiS8_PKS5_SA_S6_PS5_21rocsparse_index_base_b.has_indirect_call, 0
	.section	.AMDGPU.csdata,"",@progbits
; Kernel info:
; codeLenInByte = 1308
; TotalNumSgprs: 20
; NumVgprs: 25
; ScratchSize: 0
; MemoryBound: 0
; FloatMode: 240
; IeeeMode: 1
; LDSByteSize: 0 bytes/workgroup (compile time only)
; SGPRBlocks: 2
; VGPRBlocks: 6
; NumSGPRsForWavesPerEU: 20
; NumVGPRsForWavesPerEU: 25
; Occupancy: 9
; WaveLimiterHint : 1
; COMPUTE_PGM_RSRC2:SCRATCH_EN: 0
; COMPUTE_PGM_RSRC2:USER_SGPR: 6
; COMPUTE_PGM_RSRC2:TRAP_HANDLER: 0
; COMPUTE_PGM_RSRC2:TGID_X_EN: 1
; COMPUTE_PGM_RSRC2:TGID_Y_EN: 0
; COMPUTE_PGM_RSRC2:TGID_Z_EN: 0
; COMPUTE_PGM_RSRC2:TIDIG_COMP_CNT: 0
	.section	.text._ZN9rocsparseL19gebsrmvn_2xn_kernelILj128ELj3ELj4E21rocsparse_complex_numIfEEEvi20rocsparse_direction_NS_24const_host_device_scalarIT2_EEPKiS8_PKS5_SA_S6_PS5_21rocsparse_index_base_b,"axG",@progbits,_ZN9rocsparseL19gebsrmvn_2xn_kernelILj128ELj3ELj4E21rocsparse_complex_numIfEEEvi20rocsparse_direction_NS_24const_host_device_scalarIT2_EEPKiS8_PKS5_SA_S6_PS5_21rocsparse_index_base_b,comdat
	.globl	_ZN9rocsparseL19gebsrmvn_2xn_kernelILj128ELj3ELj4E21rocsparse_complex_numIfEEEvi20rocsparse_direction_NS_24const_host_device_scalarIT2_EEPKiS8_PKS5_SA_S6_PS5_21rocsparse_index_base_b ; -- Begin function _ZN9rocsparseL19gebsrmvn_2xn_kernelILj128ELj3ELj4E21rocsparse_complex_numIfEEEvi20rocsparse_direction_NS_24const_host_device_scalarIT2_EEPKiS8_PKS5_SA_S6_PS5_21rocsparse_index_base_b
	.p2align	8
	.type	_ZN9rocsparseL19gebsrmvn_2xn_kernelILj128ELj3ELj4E21rocsparse_complex_numIfEEEvi20rocsparse_direction_NS_24const_host_device_scalarIT2_EEPKiS8_PKS5_SA_S6_PS5_21rocsparse_index_base_b,@function
_ZN9rocsparseL19gebsrmvn_2xn_kernelILj128ELj3ELj4E21rocsparse_complex_numIfEEEvi20rocsparse_direction_NS_24const_host_device_scalarIT2_EEPKiS8_PKS5_SA_S6_PS5_21rocsparse_index_base_b: ; @_ZN9rocsparseL19gebsrmvn_2xn_kernelILj128ELj3ELj4E21rocsparse_complex_numIfEEEvi20rocsparse_direction_NS_24const_host_device_scalarIT2_EEPKiS8_PKS5_SA_S6_PS5_21rocsparse_index_base_b
; %bb.0:
	s_load_dwordx2 s[0:1], s[4:5], 0x8
	s_load_dwordx2 s[8:9], s[4:5], 0x30
	;; [unrolled: 1-line block ×3, first 2 shown]
	s_add_u32 s7, s4, 8
	s_addc_u32 s10, s5, 0
	s_add_u32 s11, s4, 48
	s_addc_u32 s12, s5, 0
	s_waitcnt lgkmcnt(0)
	s_bitcmp1_b32 s3, 0
	s_cselect_b32 s1, s10, s1
	s_cselect_b32 s0, s7, s0
	v_mov_b32_e32 v1, s0
	v_mov_b32_e32 v2, s1
	flat_load_dwordx2 v[1:2], v[1:2]
	s_cselect_b32 s0, s12, s9
	s_cselect_b32 s1, s11, s8
	v_mov_b32_e32 v3, s1
	v_mov_b32_e32 v4, s0
	flat_load_dwordx2 v[3:4], v[3:4]
	s_waitcnt vmcnt(0) lgkmcnt(0)
	v_cmp_eq_f32_e32 vcc, 0, v1
	v_cmp_eq_f32_e64 s[0:1], 0, v2
	s_and_b64 s[10:11], vcc, s[0:1]
	s_mov_b64 s[0:1], -1
	s_and_saveexec_b64 s[8:9], s[10:11]
; %bb.1:
	v_cmp_neq_f32_e32 vcc, 1.0, v3
	v_cmp_neq_f32_e64 s[0:1], 0, v4
	s_or_b64 s[0:1], vcc, s[0:1]
	s_orn2_b64 s[0:1], s[0:1], exec
; %bb.2:
	s_or_b64 exec, exec, s[8:9]
	s_and_saveexec_b64 s[8:9], s[0:1]
	s_cbranch_execz .LBB157_21
; %bb.3:
	s_load_dwordx2 s[0:1], s[4:5], 0x0
	v_lshrrev_b32_e32 v5, 2, v0
	v_lshl_or_b32 v5, s6, 5, v5
	s_waitcnt lgkmcnt(0)
	v_cmp_gt_i32_e32 vcc, s0, v5
	s_and_b64 exec, exec, vcc
	s_cbranch_execz .LBB157_21
; %bb.4:
	s_load_dwordx8 s[8:15], s[4:5], 0x10
	v_ashrrev_i32_e32 v6, 31, v5
	v_lshlrev_b64 v[6:7], 2, v[5:6]
	v_and_b32_e32 v0, 3, v0
	s_cmp_lg_u32 s1, 0
	s_waitcnt lgkmcnt(0)
	v_mov_b32_e32 v8, s9
	v_add_co_u32_e32 v6, vcc, s8, v6
	v_addc_co_u32_e32 v7, vcc, v8, v7, vcc
	global_load_dwordx2 v[6:7], v[6:7], off
	s_waitcnt vmcnt(0)
	v_subrev_u32_e32 v6, s2, v6
	v_subrev_u32_e32 v12, s2, v7
	v_add_u32_e32 v6, v6, v0
	v_cmp_lt_i32_e64 s[0:1], v6, v12
	s_cbranch_scc0 .LBB157_10
; %bb.5:
	v_mov_b32_e32 v13, 0
	v_mov_b32_e32 v15, 0
	;; [unrolled: 1-line block ×4, first 2 shown]
	s_and_saveexec_b64 s[6:7], s[0:1]
	s_cbranch_execz .LBB157_9
; %bb.6:
	v_mul_lo_u32 v7, v6, 6
	v_mov_b32_e32 v8, 0
	s_mov_b64 s[8:9], 0
	v_mov_b32_e32 v11, s11
	v_mov_b32_e32 v17, s13
	;; [unrolled: 1-line block ×8, first 2 shown]
.LBB157_7:                              ; =>This Inner Loop Header: Depth=1
	v_lshlrev_b64 v[19:20], 3, v[7:8]
	v_ashrrev_i32_e32 v10, 31, v9
	v_lshlrev_b64 v[25:26], 2, v[9:10]
	v_add_co_u32_e32 v32, vcc, s12, v19
	v_addc_co_u32_e32 v33, vcc, v17, v20, vcc
	v_add_co_u32_e32 v19, vcc, s10, v25
	v_addc_co_u32_e32 v20, vcc, v11, v26, vcc
	global_load_dword v10, v[19:20], off
	v_add_u32_e32 v21, 2, v7
	v_mov_b32_e32 v22, v8
	v_lshlrev_b64 v[21:22], 3, v[21:22]
	v_add_u32_e32 v23, 4, v7
	v_mov_b32_e32 v24, v8
	v_lshlrev_b64 v[23:24], 3, v[23:24]
	v_add_co_u32_e32 v34, vcc, s12, v21
	v_mov_b32_e32 v28, v8
	v_addc_co_u32_e32 v35, vcc, v17, v22, vcc
	v_add_co_u32_e32 v36, vcc, s12, v23
	v_addc_co_u32_e32 v37, vcc, v17, v24, vcc
	v_mov_b32_e32 v29, v8
	v_mov_b32_e32 v31, v8
	v_add_u32_e32 v9, 4, v9
	v_add_u32_e32 v7, 24, v7
	s_waitcnt vmcnt(0)
	v_subrev_u32_e32 v10, s2, v10
	v_lshl_add_u32 v27, v10, 1, v10
	v_lshlrev_b64 v[19:20], 3, v[27:28]
	v_add_u32_e32 v28, 1, v27
	v_add_co_u32_e32 v23, vcc, s14, v19
	v_addc_co_u32_e32 v24, vcc, v18, v20, vcc
	global_load_dwordx4 v[19:22], v[32:33], off
	global_load_dwordx2 v[25:26], v[23:24], off
	v_add_u32_e32 v30, 2, v27
	s_waitcnt vmcnt(0)
	v_fmac_f32_e32 v15, v19, v25
	v_fmac_f32_e32 v16, v21, v25
	v_fma_f32 v10, -v20, v26, v15
	v_fma_f32 v33, -v22, v26, v16
	v_lshlrev_b64 v[15:16], 3, v[28:29]
	v_lshlrev_b64 v[27:28], 3, v[30:31]
	v_add_co_u32_e32 v15, vcc, s14, v15
	v_addc_co_u32_e32 v16, vcc, v18, v16, vcc
	v_fmac_f32_e32 v13, v20, v25
	v_fmac_f32_e32 v14, v22, v25
	v_add_co_u32_e32 v27, vcc, s14, v27
	v_fmac_f32_e32 v13, v19, v26
	v_fmac_f32_e32 v14, v21, v26
	global_load_dwordx4 v[19:22], v[34:35], off
	global_load_dwordx4 v[23:26], v[36:37], off
	v_addc_co_u32_e32 v28, vcc, v18, v28, vcc
	global_load_dwordx2 v[29:30], v[15:16], off
	global_load_dwordx2 v[31:32], v[27:28], off
	v_cmp_ge_i32_e32 vcc, v9, v12
	s_or_b64 s[8:9], vcc, s[8:9]
	s_waitcnt vmcnt(1)
	v_fmac_f32_e32 v10, v19, v29
	v_fmac_f32_e32 v13, v20, v29
	;; [unrolled: 1-line block ×4, first 2 shown]
	v_fma_f32 v10, -v20, v30, v10
	v_fmac_f32_e32 v13, v19, v30
	v_fma_f32 v16, -v22, v30, v33
	v_fmac_f32_e32 v14, v21, v30
	s_waitcnt vmcnt(0)
	v_fmac_f32_e32 v10, v23, v31
	v_fmac_f32_e32 v13, v24, v31
	;; [unrolled: 1-line block ×4, first 2 shown]
	v_fma_f32 v15, -v24, v32, v10
	v_fmac_f32_e32 v13, v23, v32
	v_fma_f32 v16, -v26, v32, v16
	v_fmac_f32_e32 v14, v25, v32
	s_andn2_b64 exec, exec, s[8:9]
	s_cbranch_execnz .LBB157_7
; %bb.8:
	s_or_b64 exec, exec, s[8:9]
.LBB157_9:
	s_or_b64 exec, exec, s[6:7]
	s_cbranch_execz .LBB157_11
	s_branch .LBB157_16
.LBB157_10:
                                        ; implicit-def: $vgpr13
                                        ; implicit-def: $vgpr15
                                        ; implicit-def: $vgpr16
                                        ; implicit-def: $vgpr14
.LBB157_11:
	v_mov_b32_e32 v13, 0
	v_mov_b32_e32 v15, 0
	;; [unrolled: 1-line block ×4, first 2 shown]
	s_and_saveexec_b64 s[6:7], s[0:1]
	s_cbranch_execz .LBB157_15
; %bb.12:
	v_mad_u64_u32 v[8:9], s[0:1], v6, 6, 5
	v_mov_b32_e32 v11, 0
	s_mov_b64 s[0:1], 0
	v_mov_b32_e32 v17, s11
	v_mov_b32_e32 v18, s13
	;; [unrolled: 1-line block ×7, first 2 shown]
.LBB157_13:                             ; =>This Inner Loop Header: Depth=1
	v_ashrrev_i32_e32 v7, 31, v6
	v_lshlrev_b64 v[22:23], 2, v[6:7]
	v_add_u32_e32 v10, -5, v8
	v_add_co_u32_e32 v22, vcc, s10, v22
	v_addc_co_u32_e32 v23, vcc, v17, v23, vcc
	global_load_dword v7, v[22:23], off
	v_lshlrev_b64 v[24:25], 3, v[10:11]
	v_add_u32_e32 v20, -2, v8
	v_mov_b32_e32 v21, v11
	v_lshlrev_b64 v[20:21], 3, v[20:21]
	v_add_co_u32_e32 v24, vcc, s12, v24
	v_mov_b32_e32 v9, v11
	v_addc_co_u32_e32 v25, vcc, v18, v25, vcc
	v_lshlrev_b64 v[9:10], 3, v[8:9]
	v_add_co_u32_e32 v20, vcc, s12, v20
	v_addc_co_u32_e32 v21, vcc, v18, v21, vcc
	v_add_co_u32_e32 v26, vcc, s12, v9
	v_addc_co_u32_e32 v27, vcc, v18, v10, vcc
	v_mov_b32_e32 v10, v11
	v_add_u32_e32 v6, 4, v6
	s_waitcnt vmcnt(0)
	v_subrev_u32_e32 v7, s2, v7
	v_lshl_add_u32 v9, v7, 1, v7
	v_lshlrev_b64 v[22:23], 3, v[9:10]
	v_add_u32_e32 v10, 1, v9
	v_add_co_u32_e32 v22, vcc, s14, v22
	v_addc_co_u32_e32 v23, vcc, v19, v23, vcc
	global_load_dwordx2 v[30:31], v[20:21], off
	global_load_dwordx2 v[32:33], v[22:23], off
	v_lshlrev_b64 v[28:29], 3, v[10:11]
	global_load_dwordx4 v[20:23], v[24:25], off
	v_add_co_u32_e32 v28, vcc, s14, v28
	v_addc_co_u32_e32 v29, vcc, v19, v29, vcc
	v_add_u32_e32 v10, -1, v8
	s_waitcnt vmcnt(1)
	v_fmac_f32_e32 v16, v30, v32
	v_fma_f32 v7, -v31, v33, v16
	s_waitcnt vmcnt(0)
	v_fmac_f32_e32 v15, v20, v32
	v_fmac_f32_e32 v13, v21, v32
	v_fma_f32 v21, -v21, v33, v15
	global_load_dwordx2 v[15:16], v[28:29], off
	v_fmac_f32_e32 v13, v20, v33
	v_fmac_f32_e32 v14, v31, v32
	;; [unrolled: 1-line block ×3, first 2 shown]
	s_waitcnt vmcnt(0)
	v_fmac_f32_e32 v21, v22, v15
	v_fma_f32 v34, -v23, v16, v21
	v_lshlrev_b64 v[20:21], 3, v[10:11]
	v_fmac_f32_e32 v13, v23, v15
	v_add_u32_e32 v10, -3, v8
	v_fmac_f32_e32 v13, v22, v16
	v_lshlrev_b64 v[22:23], 3, v[10:11]
	v_add_co_u32_e32 v20, vcc, s12, v20
	v_add_u32_e32 v10, 2, v9
	v_addc_co_u32_e32 v21, vcc, v18, v21, vcc
	v_add_co_u32_e32 v22, vcc, s12, v22
	v_lshlrev_b64 v[9:10], 3, v[10:11]
	v_addc_co_u32_e32 v23, vcc, v18, v23, vcc
	v_add_co_u32_e32 v9, vcc, s14, v9
	v_addc_co_u32_e32 v10, vcc, v19, v10, vcc
	global_load_dwordx2 v[24:25], v[26:27], off
	global_load_dwordx2 v[28:29], v[20:21], off
	;; [unrolled: 1-line block ×4, first 2 shown]
	v_cmp_ge_i32_e32 vcc, v6, v12
	s_or_b64 s[0:1], vcc, s[0:1]
	v_add_u32_e32 v8, 24, v8
	s_waitcnt vmcnt(2)
	v_fmac_f32_e32 v7, v28, v15
	v_fmac_f32_e32 v14, v29, v15
	v_fma_f32 v7, -v29, v16, v7
	v_fmac_f32_e32 v14, v28, v16
	s_waitcnt vmcnt(0)
	v_fmac_f32_e32 v34, v30, v32
	v_fmac_f32_e32 v13, v31, v32
	;; [unrolled: 1-line block ×4, first 2 shown]
	v_fma_f32 v15, -v31, v33, v34
	v_fmac_f32_e32 v13, v30, v33
	v_fma_f32 v16, -v25, v33, v7
	v_fmac_f32_e32 v14, v24, v33
	s_andn2_b64 exec, exec, s[0:1]
	s_cbranch_execnz .LBB157_13
; %bb.14:
	s_or_b64 exec, exec, s[0:1]
.LBB157_15:
	s_or_b64 exec, exec, s[6:7]
.LBB157_16:
	v_mov_b32_dpp v6, v15 row_shr:1 row_mask:0xf bank_mask:0xf
	v_mov_b32_dpp v8, v13 row_shr:1 row_mask:0xf bank_mask:0xf
	;; [unrolled: 1-line block ×4, first 2 shown]
	v_add_f32_e32 v6, v15, v6
	v_add_f32_e32 v8, v13, v8
	;; [unrolled: 1-line block ×4, first 2 shown]
	v_mov_b32_dpp v7, v6 row_shr:2 row_mask:0xf bank_mask:0xf
	v_mov_b32_dpp v9, v8 row_shr:2 row_mask:0xf bank_mask:0xf
	;; [unrolled: 1-line block ×4, first 2 shown]
	v_cmp_eq_u32_e32 vcc, 3, v0
	s_and_b64 exec, exec, vcc
	s_cbranch_execz .LBB157_21
; %bb.17:
	s_load_dwordx2 s[2:3], s[4:5], 0x38
	v_cmp_eq_f32_e32 vcc, 0, v3
	v_cmp_eq_f32_e64 s[0:1], 0, v4
	v_add_f32_e32 v7, v6, v7
	v_add_f32_e32 v8, v8, v9
	;; [unrolled: 1-line block ×4, first 2 shown]
	s_and_b64 s[0:1], vcc, s[0:1]
	s_and_saveexec_b64 s[4:5], s[0:1]
	s_xor_b64 s[0:1], exec, s[4:5]
	s_cbranch_execz .LBB157_19
; %bb.18:
	v_mul_f32_e64 v3, v8, -v2
	v_mul_f32_e32 v4, v1, v8
	v_fmac_f32_e32 v3, v1, v7
	v_fmac_f32_e32 v4, v2, v7
	v_lshlrev_b32_e32 v7, 1, v5
	v_ashrrev_i32_e32 v8, 31, v7
	v_lshlrev_b64 v[7:8], 3, v[7:8]
	s_waitcnt lgkmcnt(0)
	v_mov_b32_e32 v5, s3
	v_add_co_u32_e32 v7, vcc, s2, v7
	v_addc_co_u32_e32 v8, vcc, v5, v8, vcc
	v_mul_f32_e64 v5, v6, -v2
	v_mul_f32_e32 v6, v1, v6
	v_fmac_f32_e32 v5, v1, v0
	v_fmac_f32_e32 v6, v2, v0
	global_store_dwordx4 v[7:8], v[3:6], off
                                        ; implicit-def: $vgpr5
                                        ; implicit-def: $vgpr1_vgpr2
                                        ; implicit-def: $vgpr8
                                        ; implicit-def: $vgpr7
                                        ; implicit-def: $vgpr3_vgpr4
                                        ; implicit-def: $vgpr6
                                        ; implicit-def: $vgpr0
.LBB157_19:
	s_andn2_saveexec_b64 s[0:1], s[0:1]
	s_cbranch_execz .LBB157_21
; %bb.20:
	v_lshlrev_b32_e32 v9, 1, v5
	v_ashrrev_i32_e32 v10, 31, v9
	v_lshlrev_b64 v[9:10], 3, v[9:10]
	s_waitcnt lgkmcnt(0)
	v_mov_b32_e32 v5, s3
	v_add_co_u32_e32 v17, vcc, s2, v9
	v_addc_co_u32_e32 v18, vcc, v5, v10, vcc
	global_load_dwordx4 v[9:12], v[17:18], off
	v_mul_f32_e64 v5, v8, -v2
	v_mul_f32_e32 v14, v1, v8
	v_mul_f32_e64 v8, v6, -v2
	v_mul_f32_e32 v16, v1, v6
	v_fmac_f32_e32 v5, v1, v7
	v_fmac_f32_e32 v14, v2, v7
	;; [unrolled: 1-line block ×4, first 2 shown]
	s_waitcnt vmcnt(0)
	v_fmac_f32_e32 v5, v3, v9
	v_fmac_f32_e32 v14, v4, v9
	v_fmac_f32_e32 v8, v3, v11
	v_fmac_f32_e32 v16, v4, v11
	v_fma_f32 v13, -v4, v10, v5
	v_fmac_f32_e32 v14, v3, v10
	v_fma_f32 v15, -v4, v12, v8
	v_fmac_f32_e32 v16, v3, v12
	global_store_dwordx4 v[17:18], v[13:16], off
.LBB157_21:
	s_endpgm
	.section	.rodata,"a",@progbits
	.p2align	6, 0x0
	.amdhsa_kernel _ZN9rocsparseL19gebsrmvn_2xn_kernelILj128ELj3ELj4E21rocsparse_complex_numIfEEEvi20rocsparse_direction_NS_24const_host_device_scalarIT2_EEPKiS8_PKS5_SA_S6_PS5_21rocsparse_index_base_b
		.amdhsa_group_segment_fixed_size 0
		.amdhsa_private_segment_fixed_size 0
		.amdhsa_kernarg_size 72
		.amdhsa_user_sgpr_count 6
		.amdhsa_user_sgpr_private_segment_buffer 1
		.amdhsa_user_sgpr_dispatch_ptr 0
		.amdhsa_user_sgpr_queue_ptr 0
		.amdhsa_user_sgpr_kernarg_segment_ptr 1
		.amdhsa_user_sgpr_dispatch_id 0
		.amdhsa_user_sgpr_flat_scratch_init 0
		.amdhsa_user_sgpr_private_segment_size 0
		.amdhsa_uses_dynamic_stack 0
		.amdhsa_system_sgpr_private_segment_wavefront_offset 0
		.amdhsa_system_sgpr_workgroup_id_x 1
		.amdhsa_system_sgpr_workgroup_id_y 0
		.amdhsa_system_sgpr_workgroup_id_z 0
		.amdhsa_system_sgpr_workgroup_info 0
		.amdhsa_system_vgpr_workitem_id 0
		.amdhsa_next_free_vgpr 38
		.amdhsa_next_free_sgpr 16
		.amdhsa_reserve_vcc 1
		.amdhsa_reserve_flat_scratch 0
		.amdhsa_float_round_mode_32 0
		.amdhsa_float_round_mode_16_64 0
		.amdhsa_float_denorm_mode_32 3
		.amdhsa_float_denorm_mode_16_64 3
		.amdhsa_dx10_clamp 1
		.amdhsa_ieee_mode 1
		.amdhsa_fp16_overflow 0
		.amdhsa_exception_fp_ieee_invalid_op 0
		.amdhsa_exception_fp_denorm_src 0
		.amdhsa_exception_fp_ieee_div_zero 0
		.amdhsa_exception_fp_ieee_overflow 0
		.amdhsa_exception_fp_ieee_underflow 0
		.amdhsa_exception_fp_ieee_inexact 0
		.amdhsa_exception_int_div_zero 0
	.end_amdhsa_kernel
	.section	.text._ZN9rocsparseL19gebsrmvn_2xn_kernelILj128ELj3ELj4E21rocsparse_complex_numIfEEEvi20rocsparse_direction_NS_24const_host_device_scalarIT2_EEPKiS8_PKS5_SA_S6_PS5_21rocsparse_index_base_b,"axG",@progbits,_ZN9rocsparseL19gebsrmvn_2xn_kernelILj128ELj3ELj4E21rocsparse_complex_numIfEEEvi20rocsparse_direction_NS_24const_host_device_scalarIT2_EEPKiS8_PKS5_SA_S6_PS5_21rocsparse_index_base_b,comdat
.Lfunc_end157:
	.size	_ZN9rocsparseL19gebsrmvn_2xn_kernelILj128ELj3ELj4E21rocsparse_complex_numIfEEEvi20rocsparse_direction_NS_24const_host_device_scalarIT2_EEPKiS8_PKS5_SA_S6_PS5_21rocsparse_index_base_b, .Lfunc_end157-_ZN9rocsparseL19gebsrmvn_2xn_kernelILj128ELj3ELj4E21rocsparse_complex_numIfEEEvi20rocsparse_direction_NS_24const_host_device_scalarIT2_EEPKiS8_PKS5_SA_S6_PS5_21rocsparse_index_base_b
                                        ; -- End function
	.set _ZN9rocsparseL19gebsrmvn_2xn_kernelILj128ELj3ELj4E21rocsparse_complex_numIfEEEvi20rocsparse_direction_NS_24const_host_device_scalarIT2_EEPKiS8_PKS5_SA_S6_PS5_21rocsparse_index_base_b.num_vgpr, 38
	.set _ZN9rocsparseL19gebsrmvn_2xn_kernelILj128ELj3ELj4E21rocsparse_complex_numIfEEEvi20rocsparse_direction_NS_24const_host_device_scalarIT2_EEPKiS8_PKS5_SA_S6_PS5_21rocsparse_index_base_b.num_agpr, 0
	.set _ZN9rocsparseL19gebsrmvn_2xn_kernelILj128ELj3ELj4E21rocsparse_complex_numIfEEEvi20rocsparse_direction_NS_24const_host_device_scalarIT2_EEPKiS8_PKS5_SA_S6_PS5_21rocsparse_index_base_b.numbered_sgpr, 16
	.set _ZN9rocsparseL19gebsrmvn_2xn_kernelILj128ELj3ELj4E21rocsparse_complex_numIfEEEvi20rocsparse_direction_NS_24const_host_device_scalarIT2_EEPKiS8_PKS5_SA_S6_PS5_21rocsparse_index_base_b.num_named_barrier, 0
	.set _ZN9rocsparseL19gebsrmvn_2xn_kernelILj128ELj3ELj4E21rocsparse_complex_numIfEEEvi20rocsparse_direction_NS_24const_host_device_scalarIT2_EEPKiS8_PKS5_SA_S6_PS5_21rocsparse_index_base_b.private_seg_size, 0
	.set _ZN9rocsparseL19gebsrmvn_2xn_kernelILj128ELj3ELj4E21rocsparse_complex_numIfEEEvi20rocsparse_direction_NS_24const_host_device_scalarIT2_EEPKiS8_PKS5_SA_S6_PS5_21rocsparse_index_base_b.uses_vcc, 1
	.set _ZN9rocsparseL19gebsrmvn_2xn_kernelILj128ELj3ELj4E21rocsparse_complex_numIfEEEvi20rocsparse_direction_NS_24const_host_device_scalarIT2_EEPKiS8_PKS5_SA_S6_PS5_21rocsparse_index_base_b.uses_flat_scratch, 0
	.set _ZN9rocsparseL19gebsrmvn_2xn_kernelILj128ELj3ELj4E21rocsparse_complex_numIfEEEvi20rocsparse_direction_NS_24const_host_device_scalarIT2_EEPKiS8_PKS5_SA_S6_PS5_21rocsparse_index_base_b.has_dyn_sized_stack, 0
	.set _ZN9rocsparseL19gebsrmvn_2xn_kernelILj128ELj3ELj4E21rocsparse_complex_numIfEEEvi20rocsparse_direction_NS_24const_host_device_scalarIT2_EEPKiS8_PKS5_SA_S6_PS5_21rocsparse_index_base_b.has_recursion, 0
	.set _ZN9rocsparseL19gebsrmvn_2xn_kernelILj128ELj3ELj4E21rocsparse_complex_numIfEEEvi20rocsparse_direction_NS_24const_host_device_scalarIT2_EEPKiS8_PKS5_SA_S6_PS5_21rocsparse_index_base_b.has_indirect_call, 0
	.section	.AMDGPU.csdata,"",@progbits
; Kernel info:
; codeLenInByte = 1620
; TotalNumSgprs: 20
; NumVgprs: 38
; ScratchSize: 0
; MemoryBound: 0
; FloatMode: 240
; IeeeMode: 1
; LDSByteSize: 0 bytes/workgroup (compile time only)
; SGPRBlocks: 2
; VGPRBlocks: 9
; NumSGPRsForWavesPerEU: 20
; NumVGPRsForWavesPerEU: 38
; Occupancy: 6
; WaveLimiterHint : 1
; COMPUTE_PGM_RSRC2:SCRATCH_EN: 0
; COMPUTE_PGM_RSRC2:USER_SGPR: 6
; COMPUTE_PGM_RSRC2:TRAP_HANDLER: 0
; COMPUTE_PGM_RSRC2:TGID_X_EN: 1
; COMPUTE_PGM_RSRC2:TGID_Y_EN: 0
; COMPUTE_PGM_RSRC2:TGID_Z_EN: 0
; COMPUTE_PGM_RSRC2:TIDIG_COMP_CNT: 0
	.section	.text._ZN9rocsparseL19gebsrmvn_2xn_kernelILj128ELj3ELj8E21rocsparse_complex_numIfEEEvi20rocsparse_direction_NS_24const_host_device_scalarIT2_EEPKiS8_PKS5_SA_S6_PS5_21rocsparse_index_base_b,"axG",@progbits,_ZN9rocsparseL19gebsrmvn_2xn_kernelILj128ELj3ELj8E21rocsparse_complex_numIfEEEvi20rocsparse_direction_NS_24const_host_device_scalarIT2_EEPKiS8_PKS5_SA_S6_PS5_21rocsparse_index_base_b,comdat
	.globl	_ZN9rocsparseL19gebsrmvn_2xn_kernelILj128ELj3ELj8E21rocsparse_complex_numIfEEEvi20rocsparse_direction_NS_24const_host_device_scalarIT2_EEPKiS8_PKS5_SA_S6_PS5_21rocsparse_index_base_b ; -- Begin function _ZN9rocsparseL19gebsrmvn_2xn_kernelILj128ELj3ELj8E21rocsparse_complex_numIfEEEvi20rocsparse_direction_NS_24const_host_device_scalarIT2_EEPKiS8_PKS5_SA_S6_PS5_21rocsparse_index_base_b
	.p2align	8
	.type	_ZN9rocsparseL19gebsrmvn_2xn_kernelILj128ELj3ELj8E21rocsparse_complex_numIfEEEvi20rocsparse_direction_NS_24const_host_device_scalarIT2_EEPKiS8_PKS5_SA_S6_PS5_21rocsparse_index_base_b,@function
_ZN9rocsparseL19gebsrmvn_2xn_kernelILj128ELj3ELj8E21rocsparse_complex_numIfEEEvi20rocsparse_direction_NS_24const_host_device_scalarIT2_EEPKiS8_PKS5_SA_S6_PS5_21rocsparse_index_base_b: ; @_ZN9rocsparseL19gebsrmvn_2xn_kernelILj128ELj3ELj8E21rocsparse_complex_numIfEEEvi20rocsparse_direction_NS_24const_host_device_scalarIT2_EEPKiS8_PKS5_SA_S6_PS5_21rocsparse_index_base_b
; %bb.0:
	s_load_dwordx2 s[0:1], s[4:5], 0x8
	s_load_dwordx2 s[8:9], s[4:5], 0x30
	;; [unrolled: 1-line block ×3, first 2 shown]
	s_add_u32 s7, s4, 8
	s_addc_u32 s10, s5, 0
	s_add_u32 s11, s4, 48
	s_addc_u32 s12, s5, 0
	s_waitcnt lgkmcnt(0)
	s_bitcmp1_b32 s3, 0
	s_cselect_b32 s1, s10, s1
	s_cselect_b32 s0, s7, s0
	v_mov_b32_e32 v1, s0
	v_mov_b32_e32 v2, s1
	flat_load_dwordx2 v[1:2], v[1:2]
	s_cselect_b32 s0, s12, s9
	s_cselect_b32 s1, s11, s8
	v_mov_b32_e32 v3, s1
	v_mov_b32_e32 v4, s0
	flat_load_dwordx2 v[3:4], v[3:4]
	s_waitcnt vmcnt(0) lgkmcnt(0)
	v_cmp_eq_f32_e32 vcc, 0, v1
	v_cmp_eq_f32_e64 s[0:1], 0, v2
	s_and_b64 s[10:11], vcc, s[0:1]
	s_mov_b64 s[0:1], -1
	s_and_saveexec_b64 s[8:9], s[10:11]
; %bb.1:
	v_cmp_neq_f32_e32 vcc, 1.0, v3
	v_cmp_neq_f32_e64 s[0:1], 0, v4
	s_or_b64 s[0:1], vcc, s[0:1]
	s_orn2_b64 s[0:1], s[0:1], exec
; %bb.2:
	s_or_b64 exec, exec, s[8:9]
	s_and_saveexec_b64 s[8:9], s[0:1]
	s_cbranch_execz .LBB158_21
; %bb.3:
	s_load_dwordx2 s[0:1], s[4:5], 0x0
	v_lshrrev_b32_e32 v5, 3, v0
	v_lshl_or_b32 v5, s6, 4, v5
	s_waitcnt lgkmcnt(0)
	v_cmp_gt_i32_e32 vcc, s0, v5
	s_and_b64 exec, exec, vcc
	s_cbranch_execz .LBB158_21
; %bb.4:
	s_load_dwordx8 s[8:15], s[4:5], 0x10
	v_ashrrev_i32_e32 v6, 31, v5
	v_lshlrev_b64 v[6:7], 2, v[5:6]
	v_and_b32_e32 v0, 7, v0
	s_cmp_lg_u32 s1, 0
	s_waitcnt lgkmcnt(0)
	v_mov_b32_e32 v8, s9
	v_add_co_u32_e32 v6, vcc, s8, v6
	v_addc_co_u32_e32 v7, vcc, v8, v7, vcc
	global_load_dwordx2 v[6:7], v[6:7], off
	s_waitcnt vmcnt(0)
	v_subrev_u32_e32 v6, s2, v6
	v_subrev_u32_e32 v12, s2, v7
	v_add_u32_e32 v6, v6, v0
	v_cmp_lt_i32_e64 s[0:1], v6, v12
	s_cbranch_scc0 .LBB158_10
; %bb.5:
	v_mov_b32_e32 v13, 0
	v_mov_b32_e32 v15, 0
	;; [unrolled: 1-line block ×4, first 2 shown]
	s_and_saveexec_b64 s[6:7], s[0:1]
	s_cbranch_execz .LBB158_9
; %bb.6:
	v_mul_lo_u32 v7, v6, 6
	v_mov_b32_e32 v8, 0
	s_mov_b64 s[8:9], 0
	v_mov_b32_e32 v11, s11
	v_mov_b32_e32 v17, s13
	;; [unrolled: 1-line block ×8, first 2 shown]
.LBB158_7:                              ; =>This Inner Loop Header: Depth=1
	v_lshlrev_b64 v[19:20], 3, v[7:8]
	v_ashrrev_i32_e32 v10, 31, v9
	v_lshlrev_b64 v[25:26], 2, v[9:10]
	v_add_co_u32_e32 v32, vcc, s12, v19
	v_addc_co_u32_e32 v33, vcc, v17, v20, vcc
	v_add_co_u32_e32 v19, vcc, s10, v25
	v_addc_co_u32_e32 v20, vcc, v11, v26, vcc
	global_load_dword v10, v[19:20], off
	v_add_u32_e32 v21, 2, v7
	v_mov_b32_e32 v22, v8
	v_lshlrev_b64 v[21:22], 3, v[21:22]
	v_add_u32_e32 v23, 4, v7
	v_mov_b32_e32 v24, v8
	v_lshlrev_b64 v[23:24], 3, v[23:24]
	v_add_co_u32_e32 v34, vcc, s12, v21
	v_mov_b32_e32 v28, v8
	v_addc_co_u32_e32 v35, vcc, v17, v22, vcc
	v_add_co_u32_e32 v36, vcc, s12, v23
	v_addc_co_u32_e32 v37, vcc, v17, v24, vcc
	v_mov_b32_e32 v29, v8
	v_mov_b32_e32 v31, v8
	v_add_u32_e32 v9, 8, v9
	v_add_u32_e32 v7, 48, v7
	s_waitcnt vmcnt(0)
	v_subrev_u32_e32 v10, s2, v10
	v_lshl_add_u32 v27, v10, 1, v10
	v_lshlrev_b64 v[19:20], 3, v[27:28]
	v_add_u32_e32 v28, 1, v27
	v_add_co_u32_e32 v23, vcc, s14, v19
	v_addc_co_u32_e32 v24, vcc, v18, v20, vcc
	global_load_dwordx4 v[19:22], v[32:33], off
	global_load_dwordx2 v[25:26], v[23:24], off
	v_add_u32_e32 v30, 2, v27
	s_waitcnt vmcnt(0)
	v_fmac_f32_e32 v15, v19, v25
	v_fmac_f32_e32 v16, v21, v25
	v_fma_f32 v10, -v20, v26, v15
	v_fma_f32 v33, -v22, v26, v16
	v_lshlrev_b64 v[15:16], 3, v[28:29]
	v_lshlrev_b64 v[27:28], 3, v[30:31]
	v_add_co_u32_e32 v15, vcc, s14, v15
	v_addc_co_u32_e32 v16, vcc, v18, v16, vcc
	v_fmac_f32_e32 v13, v20, v25
	v_fmac_f32_e32 v14, v22, v25
	v_add_co_u32_e32 v27, vcc, s14, v27
	v_fmac_f32_e32 v13, v19, v26
	v_fmac_f32_e32 v14, v21, v26
	global_load_dwordx4 v[19:22], v[34:35], off
	global_load_dwordx4 v[23:26], v[36:37], off
	v_addc_co_u32_e32 v28, vcc, v18, v28, vcc
	global_load_dwordx2 v[29:30], v[15:16], off
	global_load_dwordx2 v[31:32], v[27:28], off
	v_cmp_ge_i32_e32 vcc, v9, v12
	s_or_b64 s[8:9], vcc, s[8:9]
	s_waitcnt vmcnt(1)
	v_fmac_f32_e32 v10, v19, v29
	v_fmac_f32_e32 v13, v20, v29
	;; [unrolled: 1-line block ×4, first 2 shown]
	v_fma_f32 v10, -v20, v30, v10
	v_fmac_f32_e32 v13, v19, v30
	v_fma_f32 v16, -v22, v30, v33
	v_fmac_f32_e32 v14, v21, v30
	s_waitcnt vmcnt(0)
	v_fmac_f32_e32 v10, v23, v31
	v_fmac_f32_e32 v13, v24, v31
	;; [unrolled: 1-line block ×4, first 2 shown]
	v_fma_f32 v15, -v24, v32, v10
	v_fmac_f32_e32 v13, v23, v32
	v_fma_f32 v16, -v26, v32, v16
	v_fmac_f32_e32 v14, v25, v32
	s_andn2_b64 exec, exec, s[8:9]
	s_cbranch_execnz .LBB158_7
; %bb.8:
	s_or_b64 exec, exec, s[8:9]
.LBB158_9:
	s_or_b64 exec, exec, s[6:7]
	s_cbranch_execz .LBB158_11
	s_branch .LBB158_16
.LBB158_10:
                                        ; implicit-def: $vgpr13
                                        ; implicit-def: $vgpr15
                                        ; implicit-def: $vgpr16
                                        ; implicit-def: $vgpr14
.LBB158_11:
	v_mov_b32_e32 v13, 0
	v_mov_b32_e32 v15, 0
	;; [unrolled: 1-line block ×4, first 2 shown]
	s_and_saveexec_b64 s[6:7], s[0:1]
	s_cbranch_execz .LBB158_15
; %bb.12:
	v_mad_u64_u32 v[8:9], s[0:1], v6, 6, 5
	v_mov_b32_e32 v11, 0
	s_mov_b64 s[0:1], 0
	v_mov_b32_e32 v17, s11
	v_mov_b32_e32 v18, s13
	;; [unrolled: 1-line block ×7, first 2 shown]
.LBB158_13:                             ; =>This Inner Loop Header: Depth=1
	v_ashrrev_i32_e32 v7, 31, v6
	v_lshlrev_b64 v[22:23], 2, v[6:7]
	v_add_u32_e32 v10, -5, v8
	v_add_co_u32_e32 v22, vcc, s10, v22
	v_addc_co_u32_e32 v23, vcc, v17, v23, vcc
	global_load_dword v7, v[22:23], off
	v_lshlrev_b64 v[24:25], 3, v[10:11]
	v_add_u32_e32 v20, -2, v8
	v_mov_b32_e32 v21, v11
	v_lshlrev_b64 v[20:21], 3, v[20:21]
	v_add_co_u32_e32 v24, vcc, s12, v24
	v_mov_b32_e32 v9, v11
	v_addc_co_u32_e32 v25, vcc, v18, v25, vcc
	v_lshlrev_b64 v[9:10], 3, v[8:9]
	v_add_co_u32_e32 v20, vcc, s12, v20
	v_addc_co_u32_e32 v21, vcc, v18, v21, vcc
	v_add_co_u32_e32 v26, vcc, s12, v9
	v_addc_co_u32_e32 v27, vcc, v18, v10, vcc
	v_mov_b32_e32 v10, v11
	v_add_u32_e32 v6, 8, v6
	s_waitcnt vmcnt(0)
	v_subrev_u32_e32 v7, s2, v7
	v_lshl_add_u32 v9, v7, 1, v7
	v_lshlrev_b64 v[22:23], 3, v[9:10]
	v_add_u32_e32 v10, 1, v9
	v_add_co_u32_e32 v22, vcc, s14, v22
	v_addc_co_u32_e32 v23, vcc, v19, v23, vcc
	global_load_dwordx2 v[30:31], v[20:21], off
	global_load_dwordx2 v[32:33], v[22:23], off
	v_lshlrev_b64 v[28:29], 3, v[10:11]
	global_load_dwordx4 v[20:23], v[24:25], off
	v_add_co_u32_e32 v28, vcc, s14, v28
	v_addc_co_u32_e32 v29, vcc, v19, v29, vcc
	v_add_u32_e32 v10, -1, v8
	s_waitcnt vmcnt(1)
	v_fmac_f32_e32 v16, v30, v32
	v_fma_f32 v7, -v31, v33, v16
	s_waitcnt vmcnt(0)
	v_fmac_f32_e32 v15, v20, v32
	v_fmac_f32_e32 v13, v21, v32
	v_fma_f32 v21, -v21, v33, v15
	global_load_dwordx2 v[15:16], v[28:29], off
	v_fmac_f32_e32 v13, v20, v33
	v_fmac_f32_e32 v14, v31, v32
	;; [unrolled: 1-line block ×3, first 2 shown]
	s_waitcnt vmcnt(0)
	v_fmac_f32_e32 v21, v22, v15
	v_fma_f32 v34, -v23, v16, v21
	v_lshlrev_b64 v[20:21], 3, v[10:11]
	v_fmac_f32_e32 v13, v23, v15
	v_add_u32_e32 v10, -3, v8
	v_fmac_f32_e32 v13, v22, v16
	v_lshlrev_b64 v[22:23], 3, v[10:11]
	v_add_co_u32_e32 v20, vcc, s12, v20
	v_add_u32_e32 v10, 2, v9
	v_addc_co_u32_e32 v21, vcc, v18, v21, vcc
	v_add_co_u32_e32 v22, vcc, s12, v22
	v_lshlrev_b64 v[9:10], 3, v[10:11]
	v_addc_co_u32_e32 v23, vcc, v18, v23, vcc
	v_add_co_u32_e32 v9, vcc, s14, v9
	v_addc_co_u32_e32 v10, vcc, v19, v10, vcc
	global_load_dwordx2 v[24:25], v[26:27], off
	global_load_dwordx2 v[28:29], v[20:21], off
	;; [unrolled: 1-line block ×4, first 2 shown]
	v_cmp_ge_i32_e32 vcc, v6, v12
	s_or_b64 s[0:1], vcc, s[0:1]
	v_add_u32_e32 v8, 48, v8
	s_waitcnt vmcnt(2)
	v_fmac_f32_e32 v7, v28, v15
	v_fmac_f32_e32 v14, v29, v15
	v_fma_f32 v7, -v29, v16, v7
	v_fmac_f32_e32 v14, v28, v16
	s_waitcnt vmcnt(0)
	v_fmac_f32_e32 v34, v30, v32
	v_fmac_f32_e32 v13, v31, v32
	;; [unrolled: 1-line block ×4, first 2 shown]
	v_fma_f32 v15, -v31, v33, v34
	v_fmac_f32_e32 v13, v30, v33
	v_fma_f32 v16, -v25, v33, v7
	v_fmac_f32_e32 v14, v24, v33
	s_andn2_b64 exec, exec, s[0:1]
	s_cbranch_execnz .LBB158_13
; %bb.14:
	s_or_b64 exec, exec, s[0:1]
.LBB158_15:
	s_or_b64 exec, exec, s[6:7]
.LBB158_16:
	v_mov_b32_dpp v6, v15 row_shr:1 row_mask:0xf bank_mask:0xf
	v_mov_b32_dpp v8, v13 row_shr:1 row_mask:0xf bank_mask:0xf
	;; [unrolled: 1-line block ×4, first 2 shown]
	v_add_f32_e32 v6, v15, v6
	v_add_f32_e32 v8, v13, v8
	;; [unrolled: 1-line block ×4, first 2 shown]
	v_mov_b32_dpp v7, v6 row_shr:2 row_mask:0xf bank_mask:0xf
	v_mov_b32_dpp v9, v8 row_shr:2 row_mask:0xf bank_mask:0xf
	;; [unrolled: 1-line block ×4, first 2 shown]
	v_add_f32_e32 v6, v6, v7
	v_add_f32_e32 v8, v8, v9
	v_add_f32_e32 v10, v10, v11
	v_add_f32_e32 v12, v12, v13
	v_mov_b32_dpp v7, v6 row_shr:4 row_mask:0xf bank_mask:0xe
	v_mov_b32_dpp v9, v8 row_shr:4 row_mask:0xf bank_mask:0xe
	;; [unrolled: 1-line block ×4, first 2 shown]
	v_cmp_eq_u32_e32 vcc, 7, v0
	s_and_b64 exec, exec, vcc
	s_cbranch_execz .LBB158_21
; %bb.17:
	s_load_dwordx2 s[2:3], s[4:5], 0x38
	v_cmp_eq_f32_e32 vcc, 0, v3
	v_cmp_eq_f32_e64 s[0:1], 0, v4
	v_add_f32_e32 v7, v6, v7
	v_add_f32_e32 v8, v8, v9
	v_add_f32_e32 v0, v10, v11
	v_add_f32_e32 v6, v12, v13
	s_and_b64 s[0:1], vcc, s[0:1]
	s_and_saveexec_b64 s[4:5], s[0:1]
	s_xor_b64 s[0:1], exec, s[4:5]
	s_cbranch_execz .LBB158_19
; %bb.18:
	v_mul_f32_e64 v3, v8, -v2
	v_mul_f32_e32 v4, v1, v8
	v_fmac_f32_e32 v3, v1, v7
	v_fmac_f32_e32 v4, v2, v7
	v_lshlrev_b32_e32 v7, 1, v5
	v_ashrrev_i32_e32 v8, 31, v7
	v_lshlrev_b64 v[7:8], 3, v[7:8]
	s_waitcnt lgkmcnt(0)
	v_mov_b32_e32 v5, s3
	v_add_co_u32_e32 v7, vcc, s2, v7
	v_addc_co_u32_e32 v8, vcc, v5, v8, vcc
	v_mul_f32_e64 v5, v6, -v2
	v_mul_f32_e32 v6, v1, v6
	v_fmac_f32_e32 v5, v1, v0
	v_fmac_f32_e32 v6, v2, v0
	global_store_dwordx4 v[7:8], v[3:6], off
                                        ; implicit-def: $vgpr5
                                        ; implicit-def: $vgpr1_vgpr2
                                        ; implicit-def: $vgpr8
                                        ; implicit-def: $vgpr7
                                        ; implicit-def: $vgpr3_vgpr4
                                        ; implicit-def: $vgpr6
                                        ; implicit-def: $vgpr0
.LBB158_19:
	s_andn2_saveexec_b64 s[0:1], s[0:1]
	s_cbranch_execz .LBB158_21
; %bb.20:
	v_lshlrev_b32_e32 v9, 1, v5
	v_ashrrev_i32_e32 v10, 31, v9
	v_lshlrev_b64 v[9:10], 3, v[9:10]
	s_waitcnt lgkmcnt(0)
	v_mov_b32_e32 v5, s3
	v_add_co_u32_e32 v17, vcc, s2, v9
	v_addc_co_u32_e32 v18, vcc, v5, v10, vcc
	global_load_dwordx4 v[9:12], v[17:18], off
	v_mul_f32_e64 v5, v8, -v2
	v_mul_f32_e32 v14, v1, v8
	v_mul_f32_e64 v8, v6, -v2
	v_mul_f32_e32 v16, v1, v6
	v_fmac_f32_e32 v5, v1, v7
	v_fmac_f32_e32 v14, v2, v7
	;; [unrolled: 1-line block ×4, first 2 shown]
	s_waitcnt vmcnt(0)
	v_fmac_f32_e32 v5, v3, v9
	v_fmac_f32_e32 v14, v4, v9
	;; [unrolled: 1-line block ×4, first 2 shown]
	v_fma_f32 v13, -v4, v10, v5
	v_fmac_f32_e32 v14, v3, v10
	v_fma_f32 v15, -v4, v12, v8
	v_fmac_f32_e32 v16, v3, v12
	global_store_dwordx4 v[17:18], v[13:16], off
.LBB158_21:
	s_endpgm
	.section	.rodata,"a",@progbits
	.p2align	6, 0x0
	.amdhsa_kernel _ZN9rocsparseL19gebsrmvn_2xn_kernelILj128ELj3ELj8E21rocsparse_complex_numIfEEEvi20rocsparse_direction_NS_24const_host_device_scalarIT2_EEPKiS8_PKS5_SA_S6_PS5_21rocsparse_index_base_b
		.amdhsa_group_segment_fixed_size 0
		.amdhsa_private_segment_fixed_size 0
		.amdhsa_kernarg_size 72
		.amdhsa_user_sgpr_count 6
		.amdhsa_user_sgpr_private_segment_buffer 1
		.amdhsa_user_sgpr_dispatch_ptr 0
		.amdhsa_user_sgpr_queue_ptr 0
		.amdhsa_user_sgpr_kernarg_segment_ptr 1
		.amdhsa_user_sgpr_dispatch_id 0
		.amdhsa_user_sgpr_flat_scratch_init 0
		.amdhsa_user_sgpr_private_segment_size 0
		.amdhsa_uses_dynamic_stack 0
		.amdhsa_system_sgpr_private_segment_wavefront_offset 0
		.amdhsa_system_sgpr_workgroup_id_x 1
		.amdhsa_system_sgpr_workgroup_id_y 0
		.amdhsa_system_sgpr_workgroup_id_z 0
		.amdhsa_system_sgpr_workgroup_info 0
		.amdhsa_system_vgpr_workitem_id 0
		.amdhsa_next_free_vgpr 38
		.amdhsa_next_free_sgpr 16
		.amdhsa_reserve_vcc 1
		.amdhsa_reserve_flat_scratch 0
		.amdhsa_float_round_mode_32 0
		.amdhsa_float_round_mode_16_64 0
		.amdhsa_float_denorm_mode_32 3
		.amdhsa_float_denorm_mode_16_64 3
		.amdhsa_dx10_clamp 1
		.amdhsa_ieee_mode 1
		.amdhsa_fp16_overflow 0
		.amdhsa_exception_fp_ieee_invalid_op 0
		.amdhsa_exception_fp_denorm_src 0
		.amdhsa_exception_fp_ieee_div_zero 0
		.amdhsa_exception_fp_ieee_overflow 0
		.amdhsa_exception_fp_ieee_underflow 0
		.amdhsa_exception_fp_ieee_inexact 0
		.amdhsa_exception_int_div_zero 0
	.end_amdhsa_kernel
	.section	.text._ZN9rocsparseL19gebsrmvn_2xn_kernelILj128ELj3ELj8E21rocsparse_complex_numIfEEEvi20rocsparse_direction_NS_24const_host_device_scalarIT2_EEPKiS8_PKS5_SA_S6_PS5_21rocsparse_index_base_b,"axG",@progbits,_ZN9rocsparseL19gebsrmvn_2xn_kernelILj128ELj3ELj8E21rocsparse_complex_numIfEEEvi20rocsparse_direction_NS_24const_host_device_scalarIT2_EEPKiS8_PKS5_SA_S6_PS5_21rocsparse_index_base_b,comdat
.Lfunc_end158:
	.size	_ZN9rocsparseL19gebsrmvn_2xn_kernelILj128ELj3ELj8E21rocsparse_complex_numIfEEEvi20rocsparse_direction_NS_24const_host_device_scalarIT2_EEPKiS8_PKS5_SA_S6_PS5_21rocsparse_index_base_b, .Lfunc_end158-_ZN9rocsparseL19gebsrmvn_2xn_kernelILj128ELj3ELj8E21rocsparse_complex_numIfEEEvi20rocsparse_direction_NS_24const_host_device_scalarIT2_EEPKiS8_PKS5_SA_S6_PS5_21rocsparse_index_base_b
                                        ; -- End function
	.set _ZN9rocsparseL19gebsrmvn_2xn_kernelILj128ELj3ELj8E21rocsparse_complex_numIfEEEvi20rocsparse_direction_NS_24const_host_device_scalarIT2_EEPKiS8_PKS5_SA_S6_PS5_21rocsparse_index_base_b.num_vgpr, 38
	.set _ZN9rocsparseL19gebsrmvn_2xn_kernelILj128ELj3ELj8E21rocsparse_complex_numIfEEEvi20rocsparse_direction_NS_24const_host_device_scalarIT2_EEPKiS8_PKS5_SA_S6_PS5_21rocsparse_index_base_b.num_agpr, 0
	.set _ZN9rocsparseL19gebsrmvn_2xn_kernelILj128ELj3ELj8E21rocsparse_complex_numIfEEEvi20rocsparse_direction_NS_24const_host_device_scalarIT2_EEPKiS8_PKS5_SA_S6_PS5_21rocsparse_index_base_b.numbered_sgpr, 16
	.set _ZN9rocsparseL19gebsrmvn_2xn_kernelILj128ELj3ELj8E21rocsparse_complex_numIfEEEvi20rocsparse_direction_NS_24const_host_device_scalarIT2_EEPKiS8_PKS5_SA_S6_PS5_21rocsparse_index_base_b.num_named_barrier, 0
	.set _ZN9rocsparseL19gebsrmvn_2xn_kernelILj128ELj3ELj8E21rocsparse_complex_numIfEEEvi20rocsparse_direction_NS_24const_host_device_scalarIT2_EEPKiS8_PKS5_SA_S6_PS5_21rocsparse_index_base_b.private_seg_size, 0
	.set _ZN9rocsparseL19gebsrmvn_2xn_kernelILj128ELj3ELj8E21rocsparse_complex_numIfEEEvi20rocsparse_direction_NS_24const_host_device_scalarIT2_EEPKiS8_PKS5_SA_S6_PS5_21rocsparse_index_base_b.uses_vcc, 1
	.set _ZN9rocsparseL19gebsrmvn_2xn_kernelILj128ELj3ELj8E21rocsparse_complex_numIfEEEvi20rocsparse_direction_NS_24const_host_device_scalarIT2_EEPKiS8_PKS5_SA_S6_PS5_21rocsparse_index_base_b.uses_flat_scratch, 0
	.set _ZN9rocsparseL19gebsrmvn_2xn_kernelILj128ELj3ELj8E21rocsparse_complex_numIfEEEvi20rocsparse_direction_NS_24const_host_device_scalarIT2_EEPKiS8_PKS5_SA_S6_PS5_21rocsparse_index_base_b.has_dyn_sized_stack, 0
	.set _ZN9rocsparseL19gebsrmvn_2xn_kernelILj128ELj3ELj8E21rocsparse_complex_numIfEEEvi20rocsparse_direction_NS_24const_host_device_scalarIT2_EEPKiS8_PKS5_SA_S6_PS5_21rocsparse_index_base_b.has_recursion, 0
	.set _ZN9rocsparseL19gebsrmvn_2xn_kernelILj128ELj3ELj8E21rocsparse_complex_numIfEEEvi20rocsparse_direction_NS_24const_host_device_scalarIT2_EEPKiS8_PKS5_SA_S6_PS5_21rocsparse_index_base_b.has_indirect_call, 0
	.section	.AMDGPU.csdata,"",@progbits
; Kernel info:
; codeLenInByte = 1668
; TotalNumSgprs: 20
; NumVgprs: 38
; ScratchSize: 0
; MemoryBound: 0
; FloatMode: 240
; IeeeMode: 1
; LDSByteSize: 0 bytes/workgroup (compile time only)
; SGPRBlocks: 2
; VGPRBlocks: 9
; NumSGPRsForWavesPerEU: 20
; NumVGPRsForWavesPerEU: 38
; Occupancy: 6
; WaveLimiterHint : 1
; COMPUTE_PGM_RSRC2:SCRATCH_EN: 0
; COMPUTE_PGM_RSRC2:USER_SGPR: 6
; COMPUTE_PGM_RSRC2:TRAP_HANDLER: 0
; COMPUTE_PGM_RSRC2:TGID_X_EN: 1
; COMPUTE_PGM_RSRC2:TGID_Y_EN: 0
; COMPUTE_PGM_RSRC2:TGID_Z_EN: 0
; COMPUTE_PGM_RSRC2:TIDIG_COMP_CNT: 0
	.section	.text._ZN9rocsparseL19gebsrmvn_2xn_kernelILj128ELj3ELj16E21rocsparse_complex_numIfEEEvi20rocsparse_direction_NS_24const_host_device_scalarIT2_EEPKiS8_PKS5_SA_S6_PS5_21rocsparse_index_base_b,"axG",@progbits,_ZN9rocsparseL19gebsrmvn_2xn_kernelILj128ELj3ELj16E21rocsparse_complex_numIfEEEvi20rocsparse_direction_NS_24const_host_device_scalarIT2_EEPKiS8_PKS5_SA_S6_PS5_21rocsparse_index_base_b,comdat
	.globl	_ZN9rocsparseL19gebsrmvn_2xn_kernelILj128ELj3ELj16E21rocsparse_complex_numIfEEEvi20rocsparse_direction_NS_24const_host_device_scalarIT2_EEPKiS8_PKS5_SA_S6_PS5_21rocsparse_index_base_b ; -- Begin function _ZN9rocsparseL19gebsrmvn_2xn_kernelILj128ELj3ELj16E21rocsparse_complex_numIfEEEvi20rocsparse_direction_NS_24const_host_device_scalarIT2_EEPKiS8_PKS5_SA_S6_PS5_21rocsparse_index_base_b
	.p2align	8
	.type	_ZN9rocsparseL19gebsrmvn_2xn_kernelILj128ELj3ELj16E21rocsparse_complex_numIfEEEvi20rocsparse_direction_NS_24const_host_device_scalarIT2_EEPKiS8_PKS5_SA_S6_PS5_21rocsparse_index_base_b,@function
_ZN9rocsparseL19gebsrmvn_2xn_kernelILj128ELj3ELj16E21rocsparse_complex_numIfEEEvi20rocsparse_direction_NS_24const_host_device_scalarIT2_EEPKiS8_PKS5_SA_S6_PS5_21rocsparse_index_base_b: ; @_ZN9rocsparseL19gebsrmvn_2xn_kernelILj128ELj3ELj16E21rocsparse_complex_numIfEEEvi20rocsparse_direction_NS_24const_host_device_scalarIT2_EEPKiS8_PKS5_SA_S6_PS5_21rocsparse_index_base_b
; %bb.0:
	s_load_dwordx2 s[0:1], s[4:5], 0x8
	s_load_dwordx2 s[8:9], s[4:5], 0x30
	;; [unrolled: 1-line block ×3, first 2 shown]
	s_add_u32 s7, s4, 8
	s_addc_u32 s10, s5, 0
	s_add_u32 s11, s4, 48
	s_addc_u32 s12, s5, 0
	s_waitcnt lgkmcnt(0)
	s_bitcmp1_b32 s3, 0
	s_cselect_b32 s1, s10, s1
	s_cselect_b32 s0, s7, s0
	v_mov_b32_e32 v1, s0
	v_mov_b32_e32 v2, s1
	flat_load_dwordx2 v[1:2], v[1:2]
	s_cselect_b32 s0, s12, s9
	s_cselect_b32 s1, s11, s8
	v_mov_b32_e32 v3, s1
	v_mov_b32_e32 v4, s0
	flat_load_dwordx2 v[3:4], v[3:4]
	s_waitcnt vmcnt(0) lgkmcnt(0)
	v_cmp_eq_f32_e32 vcc, 0, v1
	v_cmp_eq_f32_e64 s[0:1], 0, v2
	s_and_b64 s[10:11], vcc, s[0:1]
	s_mov_b64 s[0:1], -1
	s_and_saveexec_b64 s[8:9], s[10:11]
; %bb.1:
	v_cmp_neq_f32_e32 vcc, 1.0, v3
	v_cmp_neq_f32_e64 s[0:1], 0, v4
	s_or_b64 s[0:1], vcc, s[0:1]
	s_orn2_b64 s[0:1], s[0:1], exec
; %bb.2:
	s_or_b64 exec, exec, s[8:9]
	s_and_saveexec_b64 s[8:9], s[0:1]
	s_cbranch_execz .LBB159_21
; %bb.3:
	s_load_dwordx2 s[0:1], s[4:5], 0x0
	v_lshrrev_b32_e32 v5, 4, v0
	v_lshl_or_b32 v5, s6, 3, v5
	s_waitcnt lgkmcnt(0)
	v_cmp_gt_i32_e32 vcc, s0, v5
	s_and_b64 exec, exec, vcc
	s_cbranch_execz .LBB159_21
; %bb.4:
	s_load_dwordx8 s[8:15], s[4:5], 0x10
	v_ashrrev_i32_e32 v6, 31, v5
	v_lshlrev_b64 v[6:7], 2, v[5:6]
	v_and_b32_e32 v0, 15, v0
	s_cmp_lg_u32 s1, 0
	s_waitcnt lgkmcnt(0)
	v_mov_b32_e32 v8, s9
	v_add_co_u32_e32 v6, vcc, s8, v6
	v_addc_co_u32_e32 v7, vcc, v8, v7, vcc
	global_load_dwordx2 v[6:7], v[6:7], off
	s_waitcnt vmcnt(0)
	v_subrev_u32_e32 v6, s2, v6
	v_subrev_u32_e32 v13, s2, v7
	v_add_u32_e32 v6, v6, v0
	v_cmp_lt_i32_e64 s[0:1], v6, v13
	s_cbranch_scc0 .LBB159_10
; %bb.5:
	v_mov_b32_e32 v12, 0
	v_mov_b32_e32 v16, 0
	;; [unrolled: 1-line block ×4, first 2 shown]
	s_and_saveexec_b64 s[6:7], s[0:1]
	s_cbranch_execz .LBB159_9
; %bb.6:
	v_mul_lo_u32 v7, v6, 6
	v_mov_b32_e32 v8, 0
	s_mov_b64 s[8:9], 0
	v_mov_b32_e32 v11, s11
	v_mov_b32_e32 v17, s13
	;; [unrolled: 1-line block ×8, first 2 shown]
.LBB159_7:                              ; =>This Inner Loop Header: Depth=1
	v_lshlrev_b64 v[19:20], 3, v[7:8]
	v_ashrrev_i32_e32 v10, 31, v9
	v_lshlrev_b64 v[25:26], 2, v[9:10]
	v_add_co_u32_e32 v32, vcc, s12, v19
	v_addc_co_u32_e32 v33, vcc, v17, v20, vcc
	v_add_co_u32_e32 v19, vcc, s10, v25
	v_addc_co_u32_e32 v20, vcc, v11, v26, vcc
	global_load_dword v10, v[19:20], off
	v_add_u32_e32 v21, 2, v7
	v_mov_b32_e32 v22, v8
	v_lshlrev_b64 v[21:22], 3, v[21:22]
	v_add_u32_e32 v23, 4, v7
	v_mov_b32_e32 v24, v8
	v_lshlrev_b64 v[23:24], 3, v[23:24]
	v_add_co_u32_e32 v34, vcc, s12, v21
	v_mov_b32_e32 v28, v8
	v_addc_co_u32_e32 v35, vcc, v17, v22, vcc
	v_add_co_u32_e32 v36, vcc, s12, v23
	v_addc_co_u32_e32 v37, vcc, v17, v24, vcc
	v_mov_b32_e32 v29, v8
	v_mov_b32_e32 v31, v8
	v_add_u32_e32 v9, 16, v9
	v_add_u32_e32 v7, 0x60, v7
	s_waitcnt vmcnt(0)
	v_subrev_u32_e32 v10, s2, v10
	v_lshl_add_u32 v27, v10, 1, v10
	v_lshlrev_b64 v[19:20], 3, v[27:28]
	v_add_u32_e32 v28, 1, v27
	v_add_co_u32_e32 v23, vcc, s14, v19
	v_addc_co_u32_e32 v24, vcc, v18, v20, vcc
	global_load_dwordx4 v[19:22], v[32:33], off
	global_load_dwordx2 v[25:26], v[23:24], off
	v_add_u32_e32 v30, 2, v27
	s_waitcnt vmcnt(0)
	v_fmac_f32_e32 v16, v19, v25
	v_fmac_f32_e32 v15, v21, v25
	v_fma_f32 v10, -v20, v26, v16
	v_fma_f32 v33, -v22, v26, v15
	v_lshlrev_b64 v[15:16], 3, v[28:29]
	v_lshlrev_b64 v[27:28], 3, v[30:31]
	v_add_co_u32_e32 v15, vcc, s14, v15
	v_addc_co_u32_e32 v16, vcc, v18, v16, vcc
	v_fmac_f32_e32 v12, v20, v25
	v_fmac_f32_e32 v14, v22, v25
	v_add_co_u32_e32 v27, vcc, s14, v27
	v_fmac_f32_e32 v12, v19, v26
	v_fmac_f32_e32 v14, v21, v26
	global_load_dwordx4 v[19:22], v[34:35], off
	global_load_dwordx4 v[23:26], v[36:37], off
	v_addc_co_u32_e32 v28, vcc, v18, v28, vcc
	global_load_dwordx2 v[29:30], v[15:16], off
	global_load_dwordx2 v[31:32], v[27:28], off
	v_cmp_ge_i32_e32 vcc, v9, v13
	s_or_b64 s[8:9], vcc, s[8:9]
	s_waitcnt vmcnt(1)
	v_fmac_f32_e32 v10, v19, v29
	v_fmac_f32_e32 v12, v20, v29
	;; [unrolled: 1-line block ×4, first 2 shown]
	v_fma_f32 v10, -v20, v30, v10
	v_fmac_f32_e32 v12, v19, v30
	v_fma_f32 v15, -v22, v30, v33
	v_fmac_f32_e32 v14, v21, v30
	s_waitcnt vmcnt(0)
	v_fmac_f32_e32 v10, v23, v31
	v_fmac_f32_e32 v12, v24, v31
	;; [unrolled: 1-line block ×4, first 2 shown]
	v_fma_f32 v16, -v24, v32, v10
	v_fmac_f32_e32 v12, v23, v32
	v_fma_f32 v15, -v26, v32, v15
	v_fmac_f32_e32 v14, v25, v32
	s_andn2_b64 exec, exec, s[8:9]
	s_cbranch_execnz .LBB159_7
; %bb.8:
	s_or_b64 exec, exec, s[8:9]
.LBB159_9:
	s_or_b64 exec, exec, s[6:7]
	s_cbranch_execz .LBB159_11
	s_branch .LBB159_16
.LBB159_10:
                                        ; implicit-def: $vgpr12
                                        ; implicit-def: $vgpr16
                                        ; implicit-def: $vgpr15
                                        ; implicit-def: $vgpr14
.LBB159_11:
	v_mov_b32_e32 v12, 0
	v_mov_b32_e32 v16, 0
	;; [unrolled: 1-line block ×4, first 2 shown]
	s_and_saveexec_b64 s[6:7], s[0:1]
	s_cbranch_execz .LBB159_15
; %bb.12:
	v_mad_u64_u32 v[8:9], s[0:1], v6, 6, 5
	v_mov_b32_e32 v11, 0
	s_mov_b64 s[0:1], 0
	v_mov_b32_e32 v17, s11
	v_mov_b32_e32 v18, s13
	;; [unrolled: 1-line block ×7, first 2 shown]
.LBB159_13:                             ; =>This Inner Loop Header: Depth=1
	v_ashrrev_i32_e32 v7, 31, v6
	v_lshlrev_b64 v[22:23], 2, v[6:7]
	v_add_u32_e32 v10, -5, v8
	v_add_co_u32_e32 v22, vcc, s10, v22
	v_addc_co_u32_e32 v23, vcc, v17, v23, vcc
	global_load_dword v7, v[22:23], off
	v_lshlrev_b64 v[24:25], 3, v[10:11]
	v_add_u32_e32 v20, -2, v8
	v_mov_b32_e32 v21, v11
	v_lshlrev_b64 v[20:21], 3, v[20:21]
	v_add_co_u32_e32 v24, vcc, s12, v24
	v_mov_b32_e32 v9, v11
	v_addc_co_u32_e32 v25, vcc, v18, v25, vcc
	v_lshlrev_b64 v[9:10], 3, v[8:9]
	v_add_co_u32_e32 v20, vcc, s12, v20
	v_addc_co_u32_e32 v21, vcc, v18, v21, vcc
	v_add_co_u32_e32 v26, vcc, s12, v9
	v_addc_co_u32_e32 v27, vcc, v18, v10, vcc
	v_mov_b32_e32 v10, v11
	v_add_u32_e32 v6, 16, v6
	s_waitcnt vmcnt(0)
	v_subrev_u32_e32 v7, s2, v7
	v_lshl_add_u32 v9, v7, 1, v7
	v_lshlrev_b64 v[22:23], 3, v[9:10]
	v_add_u32_e32 v10, 1, v9
	v_add_co_u32_e32 v22, vcc, s14, v22
	v_addc_co_u32_e32 v23, vcc, v19, v23, vcc
	global_load_dwordx2 v[30:31], v[20:21], off
	global_load_dwordx2 v[32:33], v[22:23], off
	v_lshlrev_b64 v[28:29], 3, v[10:11]
	global_load_dwordx4 v[20:23], v[24:25], off
	v_add_co_u32_e32 v28, vcc, s14, v28
	v_addc_co_u32_e32 v29, vcc, v19, v29, vcc
	v_add_u32_e32 v10, -1, v8
	s_waitcnt vmcnt(1)
	v_fmac_f32_e32 v15, v30, v32
	v_fma_f32 v7, -v31, v33, v15
	s_waitcnt vmcnt(0)
	v_fmac_f32_e32 v16, v20, v32
	v_fmac_f32_e32 v12, v21, v32
	v_fma_f32 v21, -v21, v33, v16
	global_load_dwordx2 v[15:16], v[28:29], off
	v_fmac_f32_e32 v12, v20, v33
	v_fmac_f32_e32 v14, v31, v32
	;; [unrolled: 1-line block ×3, first 2 shown]
	s_waitcnt vmcnt(0)
	v_fmac_f32_e32 v21, v22, v15
	v_fma_f32 v34, -v23, v16, v21
	v_lshlrev_b64 v[20:21], 3, v[10:11]
	v_fmac_f32_e32 v12, v23, v15
	v_add_u32_e32 v10, -3, v8
	v_fmac_f32_e32 v12, v22, v16
	v_lshlrev_b64 v[22:23], 3, v[10:11]
	v_add_co_u32_e32 v20, vcc, s12, v20
	v_add_u32_e32 v10, 2, v9
	v_addc_co_u32_e32 v21, vcc, v18, v21, vcc
	v_add_co_u32_e32 v22, vcc, s12, v22
	v_lshlrev_b64 v[9:10], 3, v[10:11]
	v_addc_co_u32_e32 v23, vcc, v18, v23, vcc
	v_add_co_u32_e32 v9, vcc, s14, v9
	v_addc_co_u32_e32 v10, vcc, v19, v10, vcc
	global_load_dwordx2 v[24:25], v[26:27], off
	global_load_dwordx2 v[28:29], v[20:21], off
	;; [unrolled: 1-line block ×4, first 2 shown]
	v_cmp_ge_i32_e32 vcc, v6, v13
	s_or_b64 s[0:1], vcc, s[0:1]
	v_add_u32_e32 v8, 0x60, v8
	s_waitcnt vmcnt(2)
	v_fmac_f32_e32 v7, v28, v15
	v_fmac_f32_e32 v14, v29, v15
	v_fma_f32 v7, -v29, v16, v7
	v_fmac_f32_e32 v14, v28, v16
	s_waitcnt vmcnt(0)
	v_fmac_f32_e32 v34, v30, v32
	v_fmac_f32_e32 v12, v31, v32
	;; [unrolled: 1-line block ×4, first 2 shown]
	v_fma_f32 v16, -v31, v33, v34
	v_fmac_f32_e32 v12, v30, v33
	v_fma_f32 v15, -v25, v33, v7
	v_fmac_f32_e32 v14, v24, v33
	s_andn2_b64 exec, exec, s[0:1]
	s_cbranch_execnz .LBB159_13
; %bb.14:
	s_or_b64 exec, exec, s[0:1]
.LBB159_15:
	s_or_b64 exec, exec, s[6:7]
.LBB159_16:
	v_mov_b32_dpp v8, v12 row_shr:1 row_mask:0xf bank_mask:0xf
	v_mov_b32_dpp v6, v16 row_shr:1 row_mask:0xf bank_mask:0xf
	v_add_f32_e32 v8, v12, v8
	v_mov_b32_dpp v10, v15 row_shr:1 row_mask:0xf bank_mask:0xf
	v_mov_b32_dpp v12, v14 row_shr:1 row_mask:0xf bank_mask:0xf
	v_add_f32_e32 v6, v16, v6
	v_add_f32_e32 v10, v15, v10
	;; [unrolled: 1-line block ×3, first 2 shown]
	v_mov_b32_dpp v7, v6 row_shr:2 row_mask:0xf bank_mask:0xf
	v_mov_b32_dpp v9, v8 row_shr:2 row_mask:0xf bank_mask:0xf
	;; [unrolled: 1-line block ×4, first 2 shown]
	v_add_f32_e32 v6, v6, v7
	v_add_f32_e32 v8, v8, v9
	;; [unrolled: 1-line block ×4, first 2 shown]
	v_mov_b32_dpp v7, v6 row_shr:4 row_mask:0xf bank_mask:0xe
	v_mov_b32_dpp v9, v8 row_shr:4 row_mask:0xf bank_mask:0xe
	;; [unrolled: 1-line block ×4, first 2 shown]
	v_add_f32_e32 v6, v6, v7
	v_add_f32_e32 v8, v8, v9
	;; [unrolled: 1-line block ×4, first 2 shown]
	v_mov_b32_dpp v7, v6 row_shr:8 row_mask:0xf bank_mask:0xc
	v_mov_b32_dpp v9, v8 row_shr:8 row_mask:0xf bank_mask:0xc
	;; [unrolled: 1-line block ×4, first 2 shown]
	v_cmp_eq_u32_e32 vcc, 15, v0
	s_and_b64 exec, exec, vcc
	s_cbranch_execz .LBB159_21
; %bb.17:
	s_load_dwordx2 s[2:3], s[4:5], 0x38
	v_cmp_eq_f32_e32 vcc, 0, v3
	v_cmp_eq_f32_e64 s[0:1], 0, v4
	v_add_f32_e32 v7, v6, v7
	v_add_f32_e32 v8, v8, v9
	;; [unrolled: 1-line block ×4, first 2 shown]
	s_and_b64 s[0:1], vcc, s[0:1]
	s_and_saveexec_b64 s[4:5], s[0:1]
	s_xor_b64 s[0:1], exec, s[4:5]
	s_cbranch_execz .LBB159_19
; %bb.18:
	v_mul_f32_e64 v3, v8, -v2
	v_mul_f32_e32 v4, v1, v8
	v_fmac_f32_e32 v3, v1, v7
	v_fmac_f32_e32 v4, v2, v7
	v_lshlrev_b32_e32 v7, 1, v5
	v_ashrrev_i32_e32 v8, 31, v7
	v_lshlrev_b64 v[7:8], 3, v[7:8]
	s_waitcnt lgkmcnt(0)
	v_mov_b32_e32 v5, s3
	v_add_co_u32_e32 v7, vcc, s2, v7
	v_addc_co_u32_e32 v8, vcc, v5, v8, vcc
	v_mul_f32_e64 v5, v6, -v2
	v_mul_f32_e32 v6, v1, v6
	v_fmac_f32_e32 v5, v1, v0
	v_fmac_f32_e32 v6, v2, v0
	global_store_dwordx4 v[7:8], v[3:6], off
                                        ; implicit-def: $vgpr5
                                        ; implicit-def: $vgpr1_vgpr2
                                        ; implicit-def: $vgpr8
                                        ; implicit-def: $vgpr7
                                        ; implicit-def: $vgpr3_vgpr4
                                        ; implicit-def: $vgpr6
                                        ; implicit-def: $vgpr0
.LBB159_19:
	s_andn2_saveexec_b64 s[0:1], s[0:1]
	s_cbranch_execz .LBB159_21
; %bb.20:
	v_lshlrev_b32_e32 v9, 1, v5
	v_ashrrev_i32_e32 v10, 31, v9
	v_lshlrev_b64 v[9:10], 3, v[9:10]
	s_waitcnt lgkmcnt(0)
	v_mov_b32_e32 v5, s3
	v_add_co_u32_e32 v17, vcc, s2, v9
	v_addc_co_u32_e32 v18, vcc, v5, v10, vcc
	global_load_dwordx4 v[9:12], v[17:18], off
	v_mul_f32_e64 v5, v8, -v2
	v_mul_f32_e32 v14, v1, v8
	v_mul_f32_e64 v8, v6, -v2
	v_mul_f32_e32 v16, v1, v6
	v_fmac_f32_e32 v5, v1, v7
	v_fmac_f32_e32 v14, v2, v7
	;; [unrolled: 1-line block ×4, first 2 shown]
	s_waitcnt vmcnt(0)
	v_fmac_f32_e32 v5, v3, v9
	v_fmac_f32_e32 v14, v4, v9
	;; [unrolled: 1-line block ×4, first 2 shown]
	v_fma_f32 v13, -v4, v10, v5
	v_fmac_f32_e32 v14, v3, v10
	v_fma_f32 v15, -v4, v12, v8
	v_fmac_f32_e32 v16, v3, v12
	global_store_dwordx4 v[17:18], v[13:16], off
.LBB159_21:
	s_endpgm
	.section	.rodata,"a",@progbits
	.p2align	6, 0x0
	.amdhsa_kernel _ZN9rocsparseL19gebsrmvn_2xn_kernelILj128ELj3ELj16E21rocsparse_complex_numIfEEEvi20rocsparse_direction_NS_24const_host_device_scalarIT2_EEPKiS8_PKS5_SA_S6_PS5_21rocsparse_index_base_b
		.amdhsa_group_segment_fixed_size 0
		.amdhsa_private_segment_fixed_size 0
		.amdhsa_kernarg_size 72
		.amdhsa_user_sgpr_count 6
		.amdhsa_user_sgpr_private_segment_buffer 1
		.amdhsa_user_sgpr_dispatch_ptr 0
		.amdhsa_user_sgpr_queue_ptr 0
		.amdhsa_user_sgpr_kernarg_segment_ptr 1
		.amdhsa_user_sgpr_dispatch_id 0
		.amdhsa_user_sgpr_flat_scratch_init 0
		.amdhsa_user_sgpr_private_segment_size 0
		.amdhsa_uses_dynamic_stack 0
		.amdhsa_system_sgpr_private_segment_wavefront_offset 0
		.amdhsa_system_sgpr_workgroup_id_x 1
		.amdhsa_system_sgpr_workgroup_id_y 0
		.amdhsa_system_sgpr_workgroup_id_z 0
		.amdhsa_system_sgpr_workgroup_info 0
		.amdhsa_system_vgpr_workitem_id 0
		.amdhsa_next_free_vgpr 38
		.amdhsa_next_free_sgpr 16
		.amdhsa_reserve_vcc 1
		.amdhsa_reserve_flat_scratch 0
		.amdhsa_float_round_mode_32 0
		.amdhsa_float_round_mode_16_64 0
		.amdhsa_float_denorm_mode_32 3
		.amdhsa_float_denorm_mode_16_64 3
		.amdhsa_dx10_clamp 1
		.amdhsa_ieee_mode 1
		.amdhsa_fp16_overflow 0
		.amdhsa_exception_fp_ieee_invalid_op 0
		.amdhsa_exception_fp_denorm_src 0
		.amdhsa_exception_fp_ieee_div_zero 0
		.amdhsa_exception_fp_ieee_overflow 0
		.amdhsa_exception_fp_ieee_underflow 0
		.amdhsa_exception_fp_ieee_inexact 0
		.amdhsa_exception_int_div_zero 0
	.end_amdhsa_kernel
	.section	.text._ZN9rocsparseL19gebsrmvn_2xn_kernelILj128ELj3ELj16E21rocsparse_complex_numIfEEEvi20rocsparse_direction_NS_24const_host_device_scalarIT2_EEPKiS8_PKS5_SA_S6_PS5_21rocsparse_index_base_b,"axG",@progbits,_ZN9rocsparseL19gebsrmvn_2xn_kernelILj128ELj3ELj16E21rocsparse_complex_numIfEEEvi20rocsparse_direction_NS_24const_host_device_scalarIT2_EEPKiS8_PKS5_SA_S6_PS5_21rocsparse_index_base_b,comdat
.Lfunc_end159:
	.size	_ZN9rocsparseL19gebsrmvn_2xn_kernelILj128ELj3ELj16E21rocsparse_complex_numIfEEEvi20rocsparse_direction_NS_24const_host_device_scalarIT2_EEPKiS8_PKS5_SA_S6_PS5_21rocsparse_index_base_b, .Lfunc_end159-_ZN9rocsparseL19gebsrmvn_2xn_kernelILj128ELj3ELj16E21rocsparse_complex_numIfEEEvi20rocsparse_direction_NS_24const_host_device_scalarIT2_EEPKiS8_PKS5_SA_S6_PS5_21rocsparse_index_base_b
                                        ; -- End function
	.set _ZN9rocsparseL19gebsrmvn_2xn_kernelILj128ELj3ELj16E21rocsparse_complex_numIfEEEvi20rocsparse_direction_NS_24const_host_device_scalarIT2_EEPKiS8_PKS5_SA_S6_PS5_21rocsparse_index_base_b.num_vgpr, 38
	.set _ZN9rocsparseL19gebsrmvn_2xn_kernelILj128ELj3ELj16E21rocsparse_complex_numIfEEEvi20rocsparse_direction_NS_24const_host_device_scalarIT2_EEPKiS8_PKS5_SA_S6_PS5_21rocsparse_index_base_b.num_agpr, 0
	.set _ZN9rocsparseL19gebsrmvn_2xn_kernelILj128ELj3ELj16E21rocsparse_complex_numIfEEEvi20rocsparse_direction_NS_24const_host_device_scalarIT2_EEPKiS8_PKS5_SA_S6_PS5_21rocsparse_index_base_b.numbered_sgpr, 16
	.set _ZN9rocsparseL19gebsrmvn_2xn_kernelILj128ELj3ELj16E21rocsparse_complex_numIfEEEvi20rocsparse_direction_NS_24const_host_device_scalarIT2_EEPKiS8_PKS5_SA_S6_PS5_21rocsparse_index_base_b.num_named_barrier, 0
	.set _ZN9rocsparseL19gebsrmvn_2xn_kernelILj128ELj3ELj16E21rocsparse_complex_numIfEEEvi20rocsparse_direction_NS_24const_host_device_scalarIT2_EEPKiS8_PKS5_SA_S6_PS5_21rocsparse_index_base_b.private_seg_size, 0
	.set _ZN9rocsparseL19gebsrmvn_2xn_kernelILj128ELj3ELj16E21rocsparse_complex_numIfEEEvi20rocsparse_direction_NS_24const_host_device_scalarIT2_EEPKiS8_PKS5_SA_S6_PS5_21rocsparse_index_base_b.uses_vcc, 1
	.set _ZN9rocsparseL19gebsrmvn_2xn_kernelILj128ELj3ELj16E21rocsparse_complex_numIfEEEvi20rocsparse_direction_NS_24const_host_device_scalarIT2_EEPKiS8_PKS5_SA_S6_PS5_21rocsparse_index_base_b.uses_flat_scratch, 0
	.set _ZN9rocsparseL19gebsrmvn_2xn_kernelILj128ELj3ELj16E21rocsparse_complex_numIfEEEvi20rocsparse_direction_NS_24const_host_device_scalarIT2_EEPKiS8_PKS5_SA_S6_PS5_21rocsparse_index_base_b.has_dyn_sized_stack, 0
	.set _ZN9rocsparseL19gebsrmvn_2xn_kernelILj128ELj3ELj16E21rocsparse_complex_numIfEEEvi20rocsparse_direction_NS_24const_host_device_scalarIT2_EEPKiS8_PKS5_SA_S6_PS5_21rocsparse_index_base_b.has_recursion, 0
	.set _ZN9rocsparseL19gebsrmvn_2xn_kernelILj128ELj3ELj16E21rocsparse_complex_numIfEEEvi20rocsparse_direction_NS_24const_host_device_scalarIT2_EEPKiS8_PKS5_SA_S6_PS5_21rocsparse_index_base_b.has_indirect_call, 0
	.section	.AMDGPU.csdata,"",@progbits
; Kernel info:
; codeLenInByte = 1724
; TotalNumSgprs: 20
; NumVgprs: 38
; ScratchSize: 0
; MemoryBound: 0
; FloatMode: 240
; IeeeMode: 1
; LDSByteSize: 0 bytes/workgroup (compile time only)
; SGPRBlocks: 2
; VGPRBlocks: 9
; NumSGPRsForWavesPerEU: 20
; NumVGPRsForWavesPerEU: 38
; Occupancy: 6
; WaveLimiterHint : 1
; COMPUTE_PGM_RSRC2:SCRATCH_EN: 0
; COMPUTE_PGM_RSRC2:USER_SGPR: 6
; COMPUTE_PGM_RSRC2:TRAP_HANDLER: 0
; COMPUTE_PGM_RSRC2:TGID_X_EN: 1
; COMPUTE_PGM_RSRC2:TGID_Y_EN: 0
; COMPUTE_PGM_RSRC2:TGID_Z_EN: 0
; COMPUTE_PGM_RSRC2:TIDIG_COMP_CNT: 0
	.section	.text._ZN9rocsparseL19gebsrmvn_2xn_kernelILj128ELj3ELj32E21rocsparse_complex_numIfEEEvi20rocsparse_direction_NS_24const_host_device_scalarIT2_EEPKiS8_PKS5_SA_S6_PS5_21rocsparse_index_base_b,"axG",@progbits,_ZN9rocsparseL19gebsrmvn_2xn_kernelILj128ELj3ELj32E21rocsparse_complex_numIfEEEvi20rocsparse_direction_NS_24const_host_device_scalarIT2_EEPKiS8_PKS5_SA_S6_PS5_21rocsparse_index_base_b,comdat
	.globl	_ZN9rocsparseL19gebsrmvn_2xn_kernelILj128ELj3ELj32E21rocsparse_complex_numIfEEEvi20rocsparse_direction_NS_24const_host_device_scalarIT2_EEPKiS8_PKS5_SA_S6_PS5_21rocsparse_index_base_b ; -- Begin function _ZN9rocsparseL19gebsrmvn_2xn_kernelILj128ELj3ELj32E21rocsparse_complex_numIfEEEvi20rocsparse_direction_NS_24const_host_device_scalarIT2_EEPKiS8_PKS5_SA_S6_PS5_21rocsparse_index_base_b
	.p2align	8
	.type	_ZN9rocsparseL19gebsrmvn_2xn_kernelILj128ELj3ELj32E21rocsparse_complex_numIfEEEvi20rocsparse_direction_NS_24const_host_device_scalarIT2_EEPKiS8_PKS5_SA_S6_PS5_21rocsparse_index_base_b,@function
_ZN9rocsparseL19gebsrmvn_2xn_kernelILj128ELj3ELj32E21rocsparse_complex_numIfEEEvi20rocsparse_direction_NS_24const_host_device_scalarIT2_EEPKiS8_PKS5_SA_S6_PS5_21rocsparse_index_base_b: ; @_ZN9rocsparseL19gebsrmvn_2xn_kernelILj128ELj3ELj32E21rocsparse_complex_numIfEEEvi20rocsparse_direction_NS_24const_host_device_scalarIT2_EEPKiS8_PKS5_SA_S6_PS5_21rocsparse_index_base_b
; %bb.0:
	s_load_dwordx2 s[0:1], s[4:5], 0x8
	s_load_dwordx2 s[8:9], s[4:5], 0x30
	;; [unrolled: 1-line block ×3, first 2 shown]
	s_add_u32 s7, s4, 8
	s_addc_u32 s10, s5, 0
	s_add_u32 s11, s4, 48
	s_addc_u32 s12, s5, 0
	s_waitcnt lgkmcnt(0)
	s_bitcmp1_b32 s3, 0
	s_cselect_b32 s1, s10, s1
	s_cselect_b32 s0, s7, s0
	v_mov_b32_e32 v1, s0
	v_mov_b32_e32 v2, s1
	flat_load_dwordx2 v[1:2], v[1:2]
	s_cselect_b32 s0, s12, s9
	s_cselect_b32 s1, s11, s8
	v_mov_b32_e32 v3, s1
	v_mov_b32_e32 v4, s0
	flat_load_dwordx2 v[3:4], v[3:4]
	s_waitcnt vmcnt(0) lgkmcnt(0)
	v_cmp_eq_f32_e32 vcc, 0, v1
	v_cmp_eq_f32_e64 s[0:1], 0, v2
	s_and_b64 s[10:11], vcc, s[0:1]
	s_mov_b64 s[0:1], -1
	s_and_saveexec_b64 s[8:9], s[10:11]
; %bb.1:
	v_cmp_neq_f32_e32 vcc, 1.0, v3
	v_cmp_neq_f32_e64 s[0:1], 0, v4
	s_or_b64 s[0:1], vcc, s[0:1]
	s_orn2_b64 s[0:1], s[0:1], exec
; %bb.2:
	s_or_b64 exec, exec, s[8:9]
	s_and_saveexec_b64 s[8:9], s[0:1]
	s_cbranch_execz .LBB160_21
; %bb.3:
	s_load_dwordx2 s[0:1], s[4:5], 0x0
	v_lshrrev_b32_e32 v5, 5, v0
	v_lshl_or_b32 v5, s6, 2, v5
	s_waitcnt lgkmcnt(0)
	v_cmp_gt_i32_e32 vcc, s0, v5
	s_and_b64 exec, exec, vcc
	s_cbranch_execz .LBB160_21
; %bb.4:
	s_load_dwordx8 s[8:15], s[4:5], 0x10
	v_ashrrev_i32_e32 v6, 31, v5
	v_lshlrev_b64 v[6:7], 2, v[5:6]
	v_and_b32_e32 v0, 31, v0
	s_cmp_lg_u32 s1, 0
	s_waitcnt lgkmcnt(0)
	v_mov_b32_e32 v8, s9
	v_add_co_u32_e32 v6, vcc, s8, v6
	v_addc_co_u32_e32 v7, vcc, v8, v7, vcc
	global_load_dwordx2 v[6:7], v[6:7], off
	s_waitcnt vmcnt(0)
	v_subrev_u32_e32 v6, s2, v6
	v_subrev_u32_e32 v14, s2, v7
	v_add_u32_e32 v6, v6, v0
	v_cmp_lt_i32_e64 s[0:1], v6, v14
	s_cbranch_scc0 .LBB160_10
; %bb.5:
	v_mov_b32_e32 v13, 0
	v_mov_b32_e32 v16, 0
	;; [unrolled: 1-line block ×4, first 2 shown]
	s_and_saveexec_b64 s[6:7], s[0:1]
	s_cbranch_execz .LBB160_9
; %bb.6:
	v_mul_lo_u32 v7, v6, 6
	v_mov_b32_e32 v8, 0
	s_mov_b64 s[8:9], 0
	v_mov_b32_e32 v11, s11
	v_mov_b32_e32 v17, s13
	;; [unrolled: 1-line block ×8, first 2 shown]
.LBB160_7:                              ; =>This Inner Loop Header: Depth=1
	v_lshlrev_b64 v[19:20], 3, v[7:8]
	v_ashrrev_i32_e32 v10, 31, v9
	v_lshlrev_b64 v[25:26], 2, v[9:10]
	v_add_co_u32_e32 v32, vcc, s12, v19
	v_addc_co_u32_e32 v33, vcc, v17, v20, vcc
	v_add_co_u32_e32 v19, vcc, s10, v25
	v_addc_co_u32_e32 v20, vcc, v11, v26, vcc
	global_load_dword v10, v[19:20], off
	v_add_u32_e32 v21, 2, v7
	v_mov_b32_e32 v22, v8
	v_lshlrev_b64 v[21:22], 3, v[21:22]
	v_add_u32_e32 v23, 4, v7
	v_mov_b32_e32 v24, v8
	v_lshlrev_b64 v[23:24], 3, v[23:24]
	v_add_co_u32_e32 v34, vcc, s12, v21
	v_mov_b32_e32 v28, v8
	v_addc_co_u32_e32 v35, vcc, v17, v22, vcc
	v_add_co_u32_e32 v36, vcc, s12, v23
	v_addc_co_u32_e32 v37, vcc, v17, v24, vcc
	v_mov_b32_e32 v29, v8
	v_mov_b32_e32 v31, v8
	v_add_u32_e32 v9, 32, v9
	v_add_u32_e32 v7, 0xc0, v7
	s_waitcnt vmcnt(0)
	v_subrev_u32_e32 v10, s2, v10
	v_lshl_add_u32 v27, v10, 1, v10
	v_lshlrev_b64 v[19:20], 3, v[27:28]
	v_add_u32_e32 v28, 1, v27
	v_add_co_u32_e32 v23, vcc, s14, v19
	v_addc_co_u32_e32 v24, vcc, v18, v20, vcc
	global_load_dwordx4 v[19:22], v[32:33], off
	global_load_dwordx2 v[25:26], v[23:24], off
	v_add_u32_e32 v30, 2, v27
	s_waitcnt vmcnt(0)
	v_fmac_f32_e32 v16, v19, v25
	v_fmac_f32_e32 v15, v21, v25
	v_fma_f32 v10, -v20, v26, v16
	v_fma_f32 v33, -v22, v26, v15
	v_lshlrev_b64 v[15:16], 3, v[28:29]
	v_lshlrev_b64 v[27:28], 3, v[30:31]
	v_add_co_u32_e32 v15, vcc, s14, v15
	v_addc_co_u32_e32 v16, vcc, v18, v16, vcc
	v_fmac_f32_e32 v13, v20, v25
	v_fmac_f32_e32 v12, v22, v25
	v_add_co_u32_e32 v27, vcc, s14, v27
	v_fmac_f32_e32 v13, v19, v26
	v_fmac_f32_e32 v12, v21, v26
	global_load_dwordx4 v[19:22], v[34:35], off
	global_load_dwordx4 v[23:26], v[36:37], off
	v_addc_co_u32_e32 v28, vcc, v18, v28, vcc
	global_load_dwordx2 v[29:30], v[15:16], off
	global_load_dwordx2 v[31:32], v[27:28], off
	v_cmp_ge_i32_e32 vcc, v9, v14
	s_or_b64 s[8:9], vcc, s[8:9]
	s_waitcnt vmcnt(1)
	v_fmac_f32_e32 v10, v19, v29
	v_fmac_f32_e32 v13, v20, v29
	v_fmac_f32_e32 v33, v21, v29
	v_fmac_f32_e32 v12, v22, v29
	v_fma_f32 v10, -v20, v30, v10
	v_fmac_f32_e32 v13, v19, v30
	v_fma_f32 v15, -v22, v30, v33
	v_fmac_f32_e32 v12, v21, v30
	s_waitcnt vmcnt(0)
	v_fmac_f32_e32 v10, v23, v31
	v_fmac_f32_e32 v13, v24, v31
	v_fmac_f32_e32 v15, v25, v31
	v_fmac_f32_e32 v12, v26, v31
	v_fma_f32 v16, -v24, v32, v10
	v_fmac_f32_e32 v13, v23, v32
	v_fma_f32 v15, -v26, v32, v15
	v_fmac_f32_e32 v12, v25, v32
	s_andn2_b64 exec, exec, s[8:9]
	s_cbranch_execnz .LBB160_7
; %bb.8:
	s_or_b64 exec, exec, s[8:9]
.LBB160_9:
	s_or_b64 exec, exec, s[6:7]
	s_cbranch_execz .LBB160_11
	s_branch .LBB160_16
.LBB160_10:
                                        ; implicit-def: $vgpr13
                                        ; implicit-def: $vgpr16
                                        ; implicit-def: $vgpr15
                                        ; implicit-def: $vgpr12
.LBB160_11:
	v_mov_b32_e32 v13, 0
	v_mov_b32_e32 v16, 0
	;; [unrolled: 1-line block ×4, first 2 shown]
	s_and_saveexec_b64 s[6:7], s[0:1]
	s_cbranch_execz .LBB160_15
; %bb.12:
	v_mad_u64_u32 v[8:9], s[0:1], v6, 6, 5
	v_mov_b32_e32 v11, 0
	s_mov_b64 s[0:1], 0
	v_mov_b32_e32 v17, s11
	v_mov_b32_e32 v18, s13
	;; [unrolled: 1-line block ×7, first 2 shown]
.LBB160_13:                             ; =>This Inner Loop Header: Depth=1
	v_ashrrev_i32_e32 v7, 31, v6
	v_lshlrev_b64 v[22:23], 2, v[6:7]
	v_add_u32_e32 v10, -5, v8
	v_add_co_u32_e32 v22, vcc, s10, v22
	v_addc_co_u32_e32 v23, vcc, v17, v23, vcc
	global_load_dword v7, v[22:23], off
	v_lshlrev_b64 v[24:25], 3, v[10:11]
	v_add_u32_e32 v20, -2, v8
	v_mov_b32_e32 v21, v11
	v_lshlrev_b64 v[20:21], 3, v[20:21]
	v_add_co_u32_e32 v24, vcc, s12, v24
	v_mov_b32_e32 v9, v11
	v_addc_co_u32_e32 v25, vcc, v18, v25, vcc
	v_lshlrev_b64 v[9:10], 3, v[8:9]
	v_add_co_u32_e32 v20, vcc, s12, v20
	v_addc_co_u32_e32 v21, vcc, v18, v21, vcc
	v_add_co_u32_e32 v26, vcc, s12, v9
	v_addc_co_u32_e32 v27, vcc, v18, v10, vcc
	v_mov_b32_e32 v10, v11
	v_add_u32_e32 v6, 32, v6
	s_waitcnt vmcnt(0)
	v_subrev_u32_e32 v7, s2, v7
	v_lshl_add_u32 v9, v7, 1, v7
	v_lshlrev_b64 v[22:23], 3, v[9:10]
	v_add_u32_e32 v10, 1, v9
	v_add_co_u32_e32 v22, vcc, s14, v22
	v_addc_co_u32_e32 v23, vcc, v19, v23, vcc
	global_load_dwordx2 v[30:31], v[20:21], off
	global_load_dwordx2 v[32:33], v[22:23], off
	v_lshlrev_b64 v[28:29], 3, v[10:11]
	global_load_dwordx4 v[20:23], v[24:25], off
	v_add_co_u32_e32 v28, vcc, s14, v28
	v_addc_co_u32_e32 v29, vcc, v19, v29, vcc
	v_add_u32_e32 v10, -1, v8
	s_waitcnt vmcnt(1)
	v_fmac_f32_e32 v15, v30, v32
	v_fma_f32 v7, -v31, v33, v15
	s_waitcnt vmcnt(0)
	v_fmac_f32_e32 v16, v20, v32
	v_fmac_f32_e32 v13, v21, v32
	v_fma_f32 v21, -v21, v33, v16
	global_load_dwordx2 v[15:16], v[28:29], off
	v_fmac_f32_e32 v13, v20, v33
	v_fmac_f32_e32 v12, v31, v32
	;; [unrolled: 1-line block ×3, first 2 shown]
	s_waitcnt vmcnt(0)
	v_fmac_f32_e32 v21, v22, v15
	v_fma_f32 v34, -v23, v16, v21
	v_lshlrev_b64 v[20:21], 3, v[10:11]
	v_fmac_f32_e32 v13, v23, v15
	v_add_u32_e32 v10, -3, v8
	v_fmac_f32_e32 v13, v22, v16
	v_lshlrev_b64 v[22:23], 3, v[10:11]
	v_add_co_u32_e32 v20, vcc, s12, v20
	v_add_u32_e32 v10, 2, v9
	v_addc_co_u32_e32 v21, vcc, v18, v21, vcc
	v_add_co_u32_e32 v22, vcc, s12, v22
	v_lshlrev_b64 v[9:10], 3, v[10:11]
	v_addc_co_u32_e32 v23, vcc, v18, v23, vcc
	v_add_co_u32_e32 v9, vcc, s14, v9
	v_addc_co_u32_e32 v10, vcc, v19, v10, vcc
	global_load_dwordx2 v[24:25], v[26:27], off
	global_load_dwordx2 v[28:29], v[20:21], off
	global_load_dwordx2 v[30:31], v[22:23], off
	global_load_dwordx2 v[32:33], v[9:10], off
	v_cmp_ge_i32_e32 vcc, v6, v14
	s_or_b64 s[0:1], vcc, s[0:1]
	v_add_u32_e32 v8, 0xc0, v8
	s_waitcnt vmcnt(2)
	v_fmac_f32_e32 v7, v28, v15
	v_fmac_f32_e32 v12, v29, v15
	v_fma_f32 v7, -v29, v16, v7
	v_fmac_f32_e32 v12, v28, v16
	s_waitcnt vmcnt(0)
	v_fmac_f32_e32 v34, v30, v32
	v_fmac_f32_e32 v13, v31, v32
	;; [unrolled: 1-line block ×4, first 2 shown]
	v_fma_f32 v16, -v31, v33, v34
	v_fmac_f32_e32 v13, v30, v33
	v_fma_f32 v15, -v25, v33, v7
	v_fmac_f32_e32 v12, v24, v33
	s_andn2_b64 exec, exec, s[0:1]
	s_cbranch_execnz .LBB160_13
; %bb.14:
	s_or_b64 exec, exec, s[0:1]
.LBB160_15:
	s_or_b64 exec, exec, s[6:7]
.LBB160_16:
	v_mov_b32_dpp v8, v13 row_shr:1 row_mask:0xf bank_mask:0xf
	v_mov_b32_dpp v6, v16 row_shr:1 row_mask:0xf bank_mask:0xf
	v_add_f32_e32 v8, v13, v8
	v_mov_b32_dpp v10, v15 row_shr:1 row_mask:0xf bank_mask:0xf
	v_mov_b32_dpp v13, v12 row_shr:1 row_mask:0xf bank_mask:0xf
	v_add_f32_e32 v6, v16, v6
	v_add_f32_e32 v10, v15, v10
	v_add_f32_e32 v12, v12, v13
	v_mov_b32_dpp v7, v6 row_shr:2 row_mask:0xf bank_mask:0xf
	v_mov_b32_dpp v9, v8 row_shr:2 row_mask:0xf bank_mask:0xf
	v_mov_b32_dpp v11, v10 row_shr:2 row_mask:0xf bank_mask:0xf
	v_mov_b32_dpp v13, v12 row_shr:2 row_mask:0xf bank_mask:0xf
	v_add_f32_e32 v6, v6, v7
	v_add_f32_e32 v8, v8, v9
	v_add_f32_e32 v10, v10, v11
	v_add_f32_e32 v12, v12, v13
	v_mov_b32_dpp v7, v6 row_shr:4 row_mask:0xf bank_mask:0xe
	v_mov_b32_dpp v9, v8 row_shr:4 row_mask:0xf bank_mask:0xe
	v_mov_b32_dpp v11, v10 row_shr:4 row_mask:0xf bank_mask:0xe
	v_mov_b32_dpp v13, v12 row_shr:4 row_mask:0xf bank_mask:0xe
	v_add_f32_e32 v6, v6, v7
	;; [unrolled: 8-line block ×3, first 2 shown]
	v_add_f32_e32 v8, v8, v9
	v_add_f32_e32 v10, v10, v11
	;; [unrolled: 1-line block ×3, first 2 shown]
	v_mov_b32_dpp v7, v6 row_bcast:15 row_mask:0xa bank_mask:0xf
	v_mov_b32_dpp v9, v8 row_bcast:15 row_mask:0xa bank_mask:0xf
	v_mov_b32_dpp v11, v10 row_bcast:15 row_mask:0xa bank_mask:0xf
	v_mov_b32_dpp v13, v12 row_bcast:15 row_mask:0xa bank_mask:0xf
	v_cmp_eq_u32_e32 vcc, 31, v0
	s_and_b64 exec, exec, vcc
	s_cbranch_execz .LBB160_21
; %bb.17:
	s_load_dwordx2 s[2:3], s[4:5], 0x38
	v_cmp_eq_f32_e32 vcc, 0, v3
	v_cmp_eq_f32_e64 s[0:1], 0, v4
	v_add_f32_e32 v7, v6, v7
	v_add_f32_e32 v8, v8, v9
	;; [unrolled: 1-line block ×4, first 2 shown]
	s_and_b64 s[0:1], vcc, s[0:1]
	s_and_saveexec_b64 s[4:5], s[0:1]
	s_xor_b64 s[0:1], exec, s[4:5]
	s_cbranch_execz .LBB160_19
; %bb.18:
	v_mul_f32_e64 v3, v8, -v2
	v_mul_f32_e32 v4, v1, v8
	v_fmac_f32_e32 v3, v1, v7
	v_fmac_f32_e32 v4, v2, v7
	v_lshlrev_b32_e32 v7, 1, v5
	v_ashrrev_i32_e32 v8, 31, v7
	v_lshlrev_b64 v[7:8], 3, v[7:8]
	s_waitcnt lgkmcnt(0)
	v_mov_b32_e32 v5, s3
	v_add_co_u32_e32 v7, vcc, s2, v7
	v_addc_co_u32_e32 v8, vcc, v5, v8, vcc
	v_mul_f32_e64 v5, v6, -v2
	v_mul_f32_e32 v6, v1, v6
	v_fmac_f32_e32 v5, v1, v0
	v_fmac_f32_e32 v6, v2, v0
	global_store_dwordx4 v[7:8], v[3:6], off
                                        ; implicit-def: $vgpr5
                                        ; implicit-def: $vgpr1_vgpr2
                                        ; implicit-def: $vgpr8
                                        ; implicit-def: $vgpr7
                                        ; implicit-def: $vgpr3_vgpr4
                                        ; implicit-def: $vgpr6
                                        ; implicit-def: $vgpr0
.LBB160_19:
	s_andn2_saveexec_b64 s[0:1], s[0:1]
	s_cbranch_execz .LBB160_21
; %bb.20:
	v_lshlrev_b32_e32 v9, 1, v5
	v_ashrrev_i32_e32 v10, 31, v9
	v_lshlrev_b64 v[9:10], 3, v[9:10]
	s_waitcnt lgkmcnt(0)
	v_mov_b32_e32 v5, s3
	v_add_co_u32_e32 v17, vcc, s2, v9
	v_addc_co_u32_e32 v18, vcc, v5, v10, vcc
	global_load_dwordx4 v[9:12], v[17:18], off
	v_mul_f32_e64 v5, v8, -v2
	v_mul_f32_e32 v14, v1, v8
	v_mul_f32_e64 v8, v6, -v2
	v_mul_f32_e32 v16, v1, v6
	v_fmac_f32_e32 v5, v1, v7
	v_fmac_f32_e32 v14, v2, v7
	;; [unrolled: 1-line block ×4, first 2 shown]
	s_waitcnt vmcnt(0)
	v_fmac_f32_e32 v5, v3, v9
	v_fmac_f32_e32 v14, v4, v9
	;; [unrolled: 1-line block ×4, first 2 shown]
	v_fma_f32 v13, -v4, v10, v5
	v_fmac_f32_e32 v14, v3, v10
	v_fma_f32 v15, -v4, v12, v8
	v_fmac_f32_e32 v16, v3, v12
	global_store_dwordx4 v[17:18], v[13:16], off
.LBB160_21:
	s_endpgm
	.section	.rodata,"a",@progbits
	.p2align	6, 0x0
	.amdhsa_kernel _ZN9rocsparseL19gebsrmvn_2xn_kernelILj128ELj3ELj32E21rocsparse_complex_numIfEEEvi20rocsparse_direction_NS_24const_host_device_scalarIT2_EEPKiS8_PKS5_SA_S6_PS5_21rocsparse_index_base_b
		.amdhsa_group_segment_fixed_size 0
		.amdhsa_private_segment_fixed_size 0
		.amdhsa_kernarg_size 72
		.amdhsa_user_sgpr_count 6
		.amdhsa_user_sgpr_private_segment_buffer 1
		.amdhsa_user_sgpr_dispatch_ptr 0
		.amdhsa_user_sgpr_queue_ptr 0
		.amdhsa_user_sgpr_kernarg_segment_ptr 1
		.amdhsa_user_sgpr_dispatch_id 0
		.amdhsa_user_sgpr_flat_scratch_init 0
		.amdhsa_user_sgpr_private_segment_size 0
		.amdhsa_uses_dynamic_stack 0
		.amdhsa_system_sgpr_private_segment_wavefront_offset 0
		.amdhsa_system_sgpr_workgroup_id_x 1
		.amdhsa_system_sgpr_workgroup_id_y 0
		.amdhsa_system_sgpr_workgroup_id_z 0
		.amdhsa_system_sgpr_workgroup_info 0
		.amdhsa_system_vgpr_workitem_id 0
		.amdhsa_next_free_vgpr 38
		.amdhsa_next_free_sgpr 16
		.amdhsa_reserve_vcc 1
		.amdhsa_reserve_flat_scratch 0
		.amdhsa_float_round_mode_32 0
		.amdhsa_float_round_mode_16_64 0
		.amdhsa_float_denorm_mode_32 3
		.amdhsa_float_denorm_mode_16_64 3
		.amdhsa_dx10_clamp 1
		.amdhsa_ieee_mode 1
		.amdhsa_fp16_overflow 0
		.amdhsa_exception_fp_ieee_invalid_op 0
		.amdhsa_exception_fp_denorm_src 0
		.amdhsa_exception_fp_ieee_div_zero 0
		.amdhsa_exception_fp_ieee_overflow 0
		.amdhsa_exception_fp_ieee_underflow 0
		.amdhsa_exception_fp_ieee_inexact 0
		.amdhsa_exception_int_div_zero 0
	.end_amdhsa_kernel
	.section	.text._ZN9rocsparseL19gebsrmvn_2xn_kernelILj128ELj3ELj32E21rocsparse_complex_numIfEEEvi20rocsparse_direction_NS_24const_host_device_scalarIT2_EEPKiS8_PKS5_SA_S6_PS5_21rocsparse_index_base_b,"axG",@progbits,_ZN9rocsparseL19gebsrmvn_2xn_kernelILj128ELj3ELj32E21rocsparse_complex_numIfEEEvi20rocsparse_direction_NS_24const_host_device_scalarIT2_EEPKiS8_PKS5_SA_S6_PS5_21rocsparse_index_base_b,comdat
.Lfunc_end160:
	.size	_ZN9rocsparseL19gebsrmvn_2xn_kernelILj128ELj3ELj32E21rocsparse_complex_numIfEEEvi20rocsparse_direction_NS_24const_host_device_scalarIT2_EEPKiS8_PKS5_SA_S6_PS5_21rocsparse_index_base_b, .Lfunc_end160-_ZN9rocsparseL19gebsrmvn_2xn_kernelILj128ELj3ELj32E21rocsparse_complex_numIfEEEvi20rocsparse_direction_NS_24const_host_device_scalarIT2_EEPKiS8_PKS5_SA_S6_PS5_21rocsparse_index_base_b
                                        ; -- End function
	.set _ZN9rocsparseL19gebsrmvn_2xn_kernelILj128ELj3ELj32E21rocsparse_complex_numIfEEEvi20rocsparse_direction_NS_24const_host_device_scalarIT2_EEPKiS8_PKS5_SA_S6_PS5_21rocsparse_index_base_b.num_vgpr, 38
	.set _ZN9rocsparseL19gebsrmvn_2xn_kernelILj128ELj3ELj32E21rocsparse_complex_numIfEEEvi20rocsparse_direction_NS_24const_host_device_scalarIT2_EEPKiS8_PKS5_SA_S6_PS5_21rocsparse_index_base_b.num_agpr, 0
	.set _ZN9rocsparseL19gebsrmvn_2xn_kernelILj128ELj3ELj32E21rocsparse_complex_numIfEEEvi20rocsparse_direction_NS_24const_host_device_scalarIT2_EEPKiS8_PKS5_SA_S6_PS5_21rocsparse_index_base_b.numbered_sgpr, 16
	.set _ZN9rocsparseL19gebsrmvn_2xn_kernelILj128ELj3ELj32E21rocsparse_complex_numIfEEEvi20rocsparse_direction_NS_24const_host_device_scalarIT2_EEPKiS8_PKS5_SA_S6_PS5_21rocsparse_index_base_b.num_named_barrier, 0
	.set _ZN9rocsparseL19gebsrmvn_2xn_kernelILj128ELj3ELj32E21rocsparse_complex_numIfEEEvi20rocsparse_direction_NS_24const_host_device_scalarIT2_EEPKiS8_PKS5_SA_S6_PS5_21rocsparse_index_base_b.private_seg_size, 0
	.set _ZN9rocsparseL19gebsrmvn_2xn_kernelILj128ELj3ELj32E21rocsparse_complex_numIfEEEvi20rocsparse_direction_NS_24const_host_device_scalarIT2_EEPKiS8_PKS5_SA_S6_PS5_21rocsparse_index_base_b.uses_vcc, 1
	.set _ZN9rocsparseL19gebsrmvn_2xn_kernelILj128ELj3ELj32E21rocsparse_complex_numIfEEEvi20rocsparse_direction_NS_24const_host_device_scalarIT2_EEPKiS8_PKS5_SA_S6_PS5_21rocsparse_index_base_b.uses_flat_scratch, 0
	.set _ZN9rocsparseL19gebsrmvn_2xn_kernelILj128ELj3ELj32E21rocsparse_complex_numIfEEEvi20rocsparse_direction_NS_24const_host_device_scalarIT2_EEPKiS8_PKS5_SA_S6_PS5_21rocsparse_index_base_b.has_dyn_sized_stack, 0
	.set _ZN9rocsparseL19gebsrmvn_2xn_kernelILj128ELj3ELj32E21rocsparse_complex_numIfEEEvi20rocsparse_direction_NS_24const_host_device_scalarIT2_EEPKiS8_PKS5_SA_S6_PS5_21rocsparse_index_base_b.has_recursion, 0
	.set _ZN9rocsparseL19gebsrmvn_2xn_kernelILj128ELj3ELj32E21rocsparse_complex_numIfEEEvi20rocsparse_direction_NS_24const_host_device_scalarIT2_EEPKiS8_PKS5_SA_S6_PS5_21rocsparse_index_base_b.has_indirect_call, 0
	.section	.AMDGPU.csdata,"",@progbits
; Kernel info:
; codeLenInByte = 1772
; TotalNumSgprs: 20
; NumVgprs: 38
; ScratchSize: 0
; MemoryBound: 0
; FloatMode: 240
; IeeeMode: 1
; LDSByteSize: 0 bytes/workgroup (compile time only)
; SGPRBlocks: 2
; VGPRBlocks: 9
; NumSGPRsForWavesPerEU: 20
; NumVGPRsForWavesPerEU: 38
; Occupancy: 6
; WaveLimiterHint : 1
; COMPUTE_PGM_RSRC2:SCRATCH_EN: 0
; COMPUTE_PGM_RSRC2:USER_SGPR: 6
; COMPUTE_PGM_RSRC2:TRAP_HANDLER: 0
; COMPUTE_PGM_RSRC2:TGID_X_EN: 1
; COMPUTE_PGM_RSRC2:TGID_Y_EN: 0
; COMPUTE_PGM_RSRC2:TGID_Z_EN: 0
; COMPUTE_PGM_RSRC2:TIDIG_COMP_CNT: 0
	.section	.text._ZN9rocsparseL19gebsrmvn_2xn_kernelILj128ELj3ELj64E21rocsparse_complex_numIfEEEvi20rocsparse_direction_NS_24const_host_device_scalarIT2_EEPKiS8_PKS5_SA_S6_PS5_21rocsparse_index_base_b,"axG",@progbits,_ZN9rocsparseL19gebsrmvn_2xn_kernelILj128ELj3ELj64E21rocsparse_complex_numIfEEEvi20rocsparse_direction_NS_24const_host_device_scalarIT2_EEPKiS8_PKS5_SA_S6_PS5_21rocsparse_index_base_b,comdat
	.globl	_ZN9rocsparseL19gebsrmvn_2xn_kernelILj128ELj3ELj64E21rocsparse_complex_numIfEEEvi20rocsparse_direction_NS_24const_host_device_scalarIT2_EEPKiS8_PKS5_SA_S6_PS5_21rocsparse_index_base_b ; -- Begin function _ZN9rocsparseL19gebsrmvn_2xn_kernelILj128ELj3ELj64E21rocsparse_complex_numIfEEEvi20rocsparse_direction_NS_24const_host_device_scalarIT2_EEPKiS8_PKS5_SA_S6_PS5_21rocsparse_index_base_b
	.p2align	8
	.type	_ZN9rocsparseL19gebsrmvn_2xn_kernelILj128ELj3ELj64E21rocsparse_complex_numIfEEEvi20rocsparse_direction_NS_24const_host_device_scalarIT2_EEPKiS8_PKS5_SA_S6_PS5_21rocsparse_index_base_b,@function
_ZN9rocsparseL19gebsrmvn_2xn_kernelILj128ELj3ELj64E21rocsparse_complex_numIfEEEvi20rocsparse_direction_NS_24const_host_device_scalarIT2_EEPKiS8_PKS5_SA_S6_PS5_21rocsparse_index_base_b: ; @_ZN9rocsparseL19gebsrmvn_2xn_kernelILj128ELj3ELj64E21rocsparse_complex_numIfEEEvi20rocsparse_direction_NS_24const_host_device_scalarIT2_EEPKiS8_PKS5_SA_S6_PS5_21rocsparse_index_base_b
; %bb.0:
	s_load_dwordx2 s[0:1], s[4:5], 0x8
	s_load_dwordx2 s[8:9], s[4:5], 0x30
	;; [unrolled: 1-line block ×3, first 2 shown]
	s_add_u32 s7, s4, 8
	s_addc_u32 s10, s5, 0
	s_add_u32 s11, s4, 48
	s_addc_u32 s12, s5, 0
	s_waitcnt lgkmcnt(0)
	s_bitcmp1_b32 s3, 0
	s_cselect_b32 s1, s10, s1
	s_cselect_b32 s0, s7, s0
	v_mov_b32_e32 v1, s0
	v_mov_b32_e32 v2, s1
	flat_load_dwordx2 v[1:2], v[1:2]
	s_cselect_b32 s0, s12, s9
	s_cselect_b32 s1, s11, s8
	v_mov_b32_e32 v3, s1
	v_mov_b32_e32 v4, s0
	flat_load_dwordx2 v[3:4], v[3:4]
	s_waitcnt vmcnt(0) lgkmcnt(0)
	v_cmp_eq_f32_e32 vcc, 0, v1
	v_cmp_eq_f32_e64 s[0:1], 0, v2
	s_and_b64 s[10:11], vcc, s[0:1]
	s_mov_b64 s[0:1], -1
	s_and_saveexec_b64 s[8:9], s[10:11]
; %bb.1:
	v_cmp_neq_f32_e32 vcc, 1.0, v3
	v_cmp_neq_f32_e64 s[0:1], 0, v4
	s_or_b64 s[0:1], vcc, s[0:1]
	s_orn2_b64 s[0:1], s[0:1], exec
; %bb.2:
	s_or_b64 exec, exec, s[8:9]
	s_and_saveexec_b64 s[8:9], s[0:1]
	s_cbranch_execz .LBB161_21
; %bb.3:
	s_load_dwordx2 s[0:1], s[4:5], 0x0
	v_lshrrev_b32_e32 v5, 6, v0
	v_lshl_or_b32 v5, s6, 1, v5
	s_waitcnt lgkmcnt(0)
	v_cmp_gt_i32_e32 vcc, s0, v5
	s_and_b64 exec, exec, vcc
	s_cbranch_execz .LBB161_21
; %bb.4:
	s_load_dwordx8 s[8:15], s[4:5], 0x10
	v_ashrrev_i32_e32 v6, 31, v5
	v_lshlrev_b64 v[6:7], 2, v[5:6]
	v_and_b32_e32 v0, 63, v0
	s_cmp_lg_u32 s1, 0
	s_waitcnt lgkmcnt(0)
	v_mov_b32_e32 v8, s9
	v_add_co_u32_e32 v6, vcc, s8, v6
	v_addc_co_u32_e32 v7, vcc, v8, v7, vcc
	global_load_dwordx2 v[6:7], v[6:7], off
	s_waitcnt vmcnt(0)
	v_subrev_u32_e32 v6, s2, v6
	v_subrev_u32_e32 v14, s2, v7
	v_add_u32_e32 v6, v6, v0
	v_cmp_lt_i32_e64 s[0:1], v6, v14
	s_cbranch_scc0 .LBB161_10
; %bb.5:
	v_mov_b32_e32 v13, 0
	v_mov_b32_e32 v16, 0
	;; [unrolled: 1-line block ×4, first 2 shown]
	s_and_saveexec_b64 s[6:7], s[0:1]
	s_cbranch_execz .LBB161_9
; %bb.6:
	v_mul_lo_u32 v7, v6, 6
	v_mov_b32_e32 v8, 0
	s_mov_b64 s[8:9], 0
	v_mov_b32_e32 v11, s11
	v_mov_b32_e32 v17, s13
	;; [unrolled: 1-line block ×8, first 2 shown]
.LBB161_7:                              ; =>This Inner Loop Header: Depth=1
	v_lshlrev_b64 v[19:20], 3, v[7:8]
	v_ashrrev_i32_e32 v10, 31, v9
	v_lshlrev_b64 v[25:26], 2, v[9:10]
	v_add_co_u32_e32 v32, vcc, s12, v19
	v_addc_co_u32_e32 v33, vcc, v17, v20, vcc
	v_add_co_u32_e32 v19, vcc, s10, v25
	v_addc_co_u32_e32 v20, vcc, v11, v26, vcc
	global_load_dword v10, v[19:20], off
	v_add_u32_e32 v21, 2, v7
	v_mov_b32_e32 v22, v8
	v_lshlrev_b64 v[21:22], 3, v[21:22]
	v_add_u32_e32 v23, 4, v7
	v_mov_b32_e32 v24, v8
	v_lshlrev_b64 v[23:24], 3, v[23:24]
	v_add_co_u32_e32 v34, vcc, s12, v21
	v_mov_b32_e32 v28, v8
	v_addc_co_u32_e32 v35, vcc, v17, v22, vcc
	v_add_co_u32_e32 v36, vcc, s12, v23
	v_addc_co_u32_e32 v37, vcc, v17, v24, vcc
	v_mov_b32_e32 v29, v8
	v_mov_b32_e32 v31, v8
	v_add_u32_e32 v9, 64, v9
	v_add_u32_e32 v7, 0x180, v7
	s_waitcnt vmcnt(0)
	v_subrev_u32_e32 v10, s2, v10
	v_lshl_add_u32 v27, v10, 1, v10
	v_lshlrev_b64 v[19:20], 3, v[27:28]
	v_add_u32_e32 v28, 1, v27
	v_add_co_u32_e32 v23, vcc, s14, v19
	v_addc_co_u32_e32 v24, vcc, v18, v20, vcc
	global_load_dwordx4 v[19:22], v[32:33], off
	global_load_dwordx2 v[25:26], v[23:24], off
	v_add_u32_e32 v30, 2, v27
	s_waitcnt vmcnt(0)
	v_fmac_f32_e32 v16, v19, v25
	v_fmac_f32_e32 v15, v21, v25
	v_fma_f32 v10, -v20, v26, v16
	v_fma_f32 v33, -v22, v26, v15
	v_lshlrev_b64 v[15:16], 3, v[28:29]
	v_lshlrev_b64 v[27:28], 3, v[30:31]
	v_add_co_u32_e32 v15, vcc, s14, v15
	v_addc_co_u32_e32 v16, vcc, v18, v16, vcc
	v_fmac_f32_e32 v13, v20, v25
	v_fmac_f32_e32 v12, v22, v25
	v_add_co_u32_e32 v27, vcc, s14, v27
	v_fmac_f32_e32 v13, v19, v26
	v_fmac_f32_e32 v12, v21, v26
	global_load_dwordx4 v[19:22], v[34:35], off
	global_load_dwordx4 v[23:26], v[36:37], off
	v_addc_co_u32_e32 v28, vcc, v18, v28, vcc
	global_load_dwordx2 v[29:30], v[15:16], off
	global_load_dwordx2 v[31:32], v[27:28], off
	v_cmp_ge_i32_e32 vcc, v9, v14
	s_or_b64 s[8:9], vcc, s[8:9]
	s_waitcnt vmcnt(1)
	v_fmac_f32_e32 v10, v19, v29
	v_fmac_f32_e32 v13, v20, v29
	v_fmac_f32_e32 v33, v21, v29
	v_fmac_f32_e32 v12, v22, v29
	v_fma_f32 v10, -v20, v30, v10
	v_fmac_f32_e32 v13, v19, v30
	v_fma_f32 v15, -v22, v30, v33
	v_fmac_f32_e32 v12, v21, v30
	s_waitcnt vmcnt(0)
	v_fmac_f32_e32 v10, v23, v31
	v_fmac_f32_e32 v13, v24, v31
	;; [unrolled: 1-line block ×4, first 2 shown]
	v_fma_f32 v16, -v24, v32, v10
	v_fmac_f32_e32 v13, v23, v32
	v_fma_f32 v15, -v26, v32, v15
	v_fmac_f32_e32 v12, v25, v32
	s_andn2_b64 exec, exec, s[8:9]
	s_cbranch_execnz .LBB161_7
; %bb.8:
	s_or_b64 exec, exec, s[8:9]
.LBB161_9:
	s_or_b64 exec, exec, s[6:7]
	s_cbranch_execz .LBB161_11
	s_branch .LBB161_16
.LBB161_10:
                                        ; implicit-def: $vgpr13
                                        ; implicit-def: $vgpr16
                                        ; implicit-def: $vgpr15
                                        ; implicit-def: $vgpr12
.LBB161_11:
	v_mov_b32_e32 v13, 0
	v_mov_b32_e32 v16, 0
	;; [unrolled: 1-line block ×4, first 2 shown]
	s_and_saveexec_b64 s[6:7], s[0:1]
	s_cbranch_execz .LBB161_15
; %bb.12:
	v_mad_u64_u32 v[8:9], s[0:1], v6, 6, 5
	v_mov_b32_e32 v11, 0
	s_mov_b64 s[0:1], 0
	v_mov_b32_e32 v17, s11
	v_mov_b32_e32 v18, s13
	;; [unrolled: 1-line block ×7, first 2 shown]
.LBB161_13:                             ; =>This Inner Loop Header: Depth=1
	v_ashrrev_i32_e32 v7, 31, v6
	v_lshlrev_b64 v[22:23], 2, v[6:7]
	v_add_u32_e32 v10, -5, v8
	v_add_co_u32_e32 v22, vcc, s10, v22
	v_addc_co_u32_e32 v23, vcc, v17, v23, vcc
	global_load_dword v7, v[22:23], off
	v_lshlrev_b64 v[24:25], 3, v[10:11]
	v_add_u32_e32 v20, -2, v8
	v_mov_b32_e32 v21, v11
	v_lshlrev_b64 v[20:21], 3, v[20:21]
	v_add_co_u32_e32 v24, vcc, s12, v24
	v_mov_b32_e32 v9, v11
	v_addc_co_u32_e32 v25, vcc, v18, v25, vcc
	v_lshlrev_b64 v[9:10], 3, v[8:9]
	v_add_co_u32_e32 v20, vcc, s12, v20
	v_addc_co_u32_e32 v21, vcc, v18, v21, vcc
	v_add_co_u32_e32 v26, vcc, s12, v9
	v_addc_co_u32_e32 v27, vcc, v18, v10, vcc
	v_mov_b32_e32 v10, v11
	v_add_u32_e32 v6, 64, v6
	s_waitcnt vmcnt(0)
	v_subrev_u32_e32 v7, s2, v7
	v_lshl_add_u32 v9, v7, 1, v7
	v_lshlrev_b64 v[22:23], 3, v[9:10]
	v_add_u32_e32 v10, 1, v9
	v_add_co_u32_e32 v22, vcc, s14, v22
	v_addc_co_u32_e32 v23, vcc, v19, v23, vcc
	global_load_dwordx2 v[30:31], v[20:21], off
	global_load_dwordx2 v[32:33], v[22:23], off
	v_lshlrev_b64 v[28:29], 3, v[10:11]
	global_load_dwordx4 v[20:23], v[24:25], off
	v_add_co_u32_e32 v28, vcc, s14, v28
	v_addc_co_u32_e32 v29, vcc, v19, v29, vcc
	v_add_u32_e32 v10, -1, v8
	s_waitcnt vmcnt(1)
	v_fmac_f32_e32 v15, v30, v32
	v_fma_f32 v7, -v31, v33, v15
	s_waitcnt vmcnt(0)
	v_fmac_f32_e32 v16, v20, v32
	v_fmac_f32_e32 v13, v21, v32
	v_fma_f32 v21, -v21, v33, v16
	global_load_dwordx2 v[15:16], v[28:29], off
	v_fmac_f32_e32 v13, v20, v33
	v_fmac_f32_e32 v12, v31, v32
	;; [unrolled: 1-line block ×3, first 2 shown]
	s_waitcnt vmcnt(0)
	v_fmac_f32_e32 v21, v22, v15
	v_fma_f32 v34, -v23, v16, v21
	v_lshlrev_b64 v[20:21], 3, v[10:11]
	v_fmac_f32_e32 v13, v23, v15
	v_add_u32_e32 v10, -3, v8
	v_fmac_f32_e32 v13, v22, v16
	v_lshlrev_b64 v[22:23], 3, v[10:11]
	v_add_co_u32_e32 v20, vcc, s12, v20
	v_add_u32_e32 v10, 2, v9
	v_addc_co_u32_e32 v21, vcc, v18, v21, vcc
	v_add_co_u32_e32 v22, vcc, s12, v22
	v_lshlrev_b64 v[9:10], 3, v[10:11]
	v_addc_co_u32_e32 v23, vcc, v18, v23, vcc
	v_add_co_u32_e32 v9, vcc, s14, v9
	v_addc_co_u32_e32 v10, vcc, v19, v10, vcc
	global_load_dwordx2 v[24:25], v[26:27], off
	global_load_dwordx2 v[28:29], v[20:21], off
	;; [unrolled: 1-line block ×4, first 2 shown]
	v_cmp_ge_i32_e32 vcc, v6, v14
	s_or_b64 s[0:1], vcc, s[0:1]
	v_add_u32_e32 v8, 0x180, v8
	s_waitcnt vmcnt(2)
	v_fmac_f32_e32 v7, v28, v15
	v_fmac_f32_e32 v12, v29, v15
	v_fma_f32 v7, -v29, v16, v7
	v_fmac_f32_e32 v12, v28, v16
	s_waitcnt vmcnt(0)
	v_fmac_f32_e32 v34, v30, v32
	v_fmac_f32_e32 v13, v31, v32
	;; [unrolled: 1-line block ×4, first 2 shown]
	v_fma_f32 v16, -v31, v33, v34
	v_fmac_f32_e32 v13, v30, v33
	v_fma_f32 v15, -v25, v33, v7
	v_fmac_f32_e32 v12, v24, v33
	s_andn2_b64 exec, exec, s[0:1]
	s_cbranch_execnz .LBB161_13
; %bb.14:
	s_or_b64 exec, exec, s[0:1]
.LBB161_15:
	s_or_b64 exec, exec, s[6:7]
.LBB161_16:
	v_mov_b32_dpp v8, v13 row_shr:1 row_mask:0xf bank_mask:0xf
	v_mov_b32_dpp v6, v16 row_shr:1 row_mask:0xf bank_mask:0xf
	v_add_f32_e32 v8, v13, v8
	v_mov_b32_dpp v10, v15 row_shr:1 row_mask:0xf bank_mask:0xf
	v_mov_b32_dpp v13, v12 row_shr:1 row_mask:0xf bank_mask:0xf
	v_add_f32_e32 v6, v16, v6
	v_add_f32_e32 v10, v15, v10
	v_add_f32_e32 v12, v12, v13
	v_mov_b32_dpp v7, v6 row_shr:2 row_mask:0xf bank_mask:0xf
	v_mov_b32_dpp v9, v8 row_shr:2 row_mask:0xf bank_mask:0xf
	v_mov_b32_dpp v11, v10 row_shr:2 row_mask:0xf bank_mask:0xf
	v_mov_b32_dpp v13, v12 row_shr:2 row_mask:0xf bank_mask:0xf
	v_add_f32_e32 v6, v6, v7
	v_add_f32_e32 v8, v8, v9
	v_add_f32_e32 v10, v10, v11
	v_add_f32_e32 v12, v12, v13
	v_mov_b32_dpp v7, v6 row_shr:4 row_mask:0xf bank_mask:0xe
	v_mov_b32_dpp v9, v8 row_shr:4 row_mask:0xf bank_mask:0xe
	v_mov_b32_dpp v11, v10 row_shr:4 row_mask:0xf bank_mask:0xe
	v_mov_b32_dpp v13, v12 row_shr:4 row_mask:0xf bank_mask:0xe
	v_add_f32_e32 v6, v6, v7
	;; [unrolled: 8-line block ×3, first 2 shown]
	v_add_f32_e32 v8, v8, v9
	v_add_f32_e32 v10, v10, v11
	;; [unrolled: 1-line block ×3, first 2 shown]
	v_mov_b32_dpp v7, v6 row_bcast:15 row_mask:0xa bank_mask:0xf
	v_mov_b32_dpp v9, v8 row_bcast:15 row_mask:0xa bank_mask:0xf
	;; [unrolled: 1-line block ×4, first 2 shown]
	v_add_f32_e32 v6, v6, v7
	v_add_f32_e32 v8, v8, v9
	;; [unrolled: 1-line block ×4, first 2 shown]
	v_mov_b32_dpp v7, v6 row_bcast:31 row_mask:0xc bank_mask:0xf
	v_mov_b32_dpp v9, v8 row_bcast:31 row_mask:0xc bank_mask:0xf
	;; [unrolled: 1-line block ×4, first 2 shown]
	v_cmp_eq_u32_e32 vcc, 63, v0
	s_and_b64 exec, exec, vcc
	s_cbranch_execz .LBB161_21
; %bb.17:
	s_load_dwordx2 s[2:3], s[4:5], 0x38
	v_cmp_eq_f32_e32 vcc, 0, v3
	v_cmp_eq_f32_e64 s[0:1], 0, v4
	v_add_f32_e32 v7, v6, v7
	v_add_f32_e32 v8, v8, v9
	;; [unrolled: 1-line block ×4, first 2 shown]
	s_and_b64 s[0:1], vcc, s[0:1]
	s_and_saveexec_b64 s[4:5], s[0:1]
	s_xor_b64 s[0:1], exec, s[4:5]
	s_cbranch_execz .LBB161_19
; %bb.18:
	v_mul_f32_e64 v3, v8, -v2
	v_mul_f32_e32 v4, v1, v8
	v_fmac_f32_e32 v3, v1, v7
	v_fmac_f32_e32 v4, v2, v7
	v_lshlrev_b32_e32 v7, 1, v5
	v_ashrrev_i32_e32 v8, 31, v7
	v_lshlrev_b64 v[7:8], 3, v[7:8]
	s_waitcnt lgkmcnt(0)
	v_mov_b32_e32 v5, s3
	v_add_co_u32_e32 v7, vcc, s2, v7
	v_addc_co_u32_e32 v8, vcc, v5, v8, vcc
	v_mul_f32_e64 v5, v6, -v2
	v_mul_f32_e32 v6, v1, v6
	v_fmac_f32_e32 v5, v1, v0
	v_fmac_f32_e32 v6, v2, v0
	global_store_dwordx4 v[7:8], v[3:6], off
                                        ; implicit-def: $vgpr5
                                        ; implicit-def: $vgpr1_vgpr2
                                        ; implicit-def: $vgpr8
                                        ; implicit-def: $vgpr7
                                        ; implicit-def: $vgpr3_vgpr4
                                        ; implicit-def: $vgpr6
                                        ; implicit-def: $vgpr0
.LBB161_19:
	s_andn2_saveexec_b64 s[0:1], s[0:1]
	s_cbranch_execz .LBB161_21
; %bb.20:
	v_lshlrev_b32_e32 v9, 1, v5
	v_ashrrev_i32_e32 v10, 31, v9
	v_lshlrev_b64 v[9:10], 3, v[9:10]
	s_waitcnt lgkmcnt(0)
	v_mov_b32_e32 v5, s3
	v_add_co_u32_e32 v17, vcc, s2, v9
	v_addc_co_u32_e32 v18, vcc, v5, v10, vcc
	global_load_dwordx4 v[9:12], v[17:18], off
	v_mul_f32_e64 v5, v8, -v2
	v_mul_f32_e32 v14, v1, v8
	v_mul_f32_e64 v8, v6, -v2
	v_mul_f32_e32 v16, v1, v6
	v_fmac_f32_e32 v5, v1, v7
	v_fmac_f32_e32 v14, v2, v7
	;; [unrolled: 1-line block ×4, first 2 shown]
	s_waitcnt vmcnt(0)
	v_fmac_f32_e32 v5, v3, v9
	v_fmac_f32_e32 v14, v4, v9
	;; [unrolled: 1-line block ×4, first 2 shown]
	v_fma_f32 v13, -v4, v10, v5
	v_fmac_f32_e32 v14, v3, v10
	v_fma_f32 v15, -v4, v12, v8
	v_fmac_f32_e32 v16, v3, v12
	global_store_dwordx4 v[17:18], v[13:16], off
.LBB161_21:
	s_endpgm
	.section	.rodata,"a",@progbits
	.p2align	6, 0x0
	.amdhsa_kernel _ZN9rocsparseL19gebsrmvn_2xn_kernelILj128ELj3ELj64E21rocsparse_complex_numIfEEEvi20rocsparse_direction_NS_24const_host_device_scalarIT2_EEPKiS8_PKS5_SA_S6_PS5_21rocsparse_index_base_b
		.amdhsa_group_segment_fixed_size 0
		.amdhsa_private_segment_fixed_size 0
		.amdhsa_kernarg_size 72
		.amdhsa_user_sgpr_count 6
		.amdhsa_user_sgpr_private_segment_buffer 1
		.amdhsa_user_sgpr_dispatch_ptr 0
		.amdhsa_user_sgpr_queue_ptr 0
		.amdhsa_user_sgpr_kernarg_segment_ptr 1
		.amdhsa_user_sgpr_dispatch_id 0
		.amdhsa_user_sgpr_flat_scratch_init 0
		.amdhsa_user_sgpr_private_segment_size 0
		.amdhsa_uses_dynamic_stack 0
		.amdhsa_system_sgpr_private_segment_wavefront_offset 0
		.amdhsa_system_sgpr_workgroup_id_x 1
		.amdhsa_system_sgpr_workgroup_id_y 0
		.amdhsa_system_sgpr_workgroup_id_z 0
		.amdhsa_system_sgpr_workgroup_info 0
		.amdhsa_system_vgpr_workitem_id 0
		.amdhsa_next_free_vgpr 38
		.amdhsa_next_free_sgpr 16
		.amdhsa_reserve_vcc 1
		.amdhsa_reserve_flat_scratch 0
		.amdhsa_float_round_mode_32 0
		.amdhsa_float_round_mode_16_64 0
		.amdhsa_float_denorm_mode_32 3
		.amdhsa_float_denorm_mode_16_64 3
		.amdhsa_dx10_clamp 1
		.amdhsa_ieee_mode 1
		.amdhsa_fp16_overflow 0
		.amdhsa_exception_fp_ieee_invalid_op 0
		.amdhsa_exception_fp_denorm_src 0
		.amdhsa_exception_fp_ieee_div_zero 0
		.amdhsa_exception_fp_ieee_overflow 0
		.amdhsa_exception_fp_ieee_underflow 0
		.amdhsa_exception_fp_ieee_inexact 0
		.amdhsa_exception_int_div_zero 0
	.end_amdhsa_kernel
	.section	.text._ZN9rocsparseL19gebsrmvn_2xn_kernelILj128ELj3ELj64E21rocsparse_complex_numIfEEEvi20rocsparse_direction_NS_24const_host_device_scalarIT2_EEPKiS8_PKS5_SA_S6_PS5_21rocsparse_index_base_b,"axG",@progbits,_ZN9rocsparseL19gebsrmvn_2xn_kernelILj128ELj3ELj64E21rocsparse_complex_numIfEEEvi20rocsparse_direction_NS_24const_host_device_scalarIT2_EEPKiS8_PKS5_SA_S6_PS5_21rocsparse_index_base_b,comdat
.Lfunc_end161:
	.size	_ZN9rocsparseL19gebsrmvn_2xn_kernelILj128ELj3ELj64E21rocsparse_complex_numIfEEEvi20rocsparse_direction_NS_24const_host_device_scalarIT2_EEPKiS8_PKS5_SA_S6_PS5_21rocsparse_index_base_b, .Lfunc_end161-_ZN9rocsparseL19gebsrmvn_2xn_kernelILj128ELj3ELj64E21rocsparse_complex_numIfEEEvi20rocsparse_direction_NS_24const_host_device_scalarIT2_EEPKiS8_PKS5_SA_S6_PS5_21rocsparse_index_base_b
                                        ; -- End function
	.set _ZN9rocsparseL19gebsrmvn_2xn_kernelILj128ELj3ELj64E21rocsparse_complex_numIfEEEvi20rocsparse_direction_NS_24const_host_device_scalarIT2_EEPKiS8_PKS5_SA_S6_PS5_21rocsparse_index_base_b.num_vgpr, 38
	.set _ZN9rocsparseL19gebsrmvn_2xn_kernelILj128ELj3ELj64E21rocsparse_complex_numIfEEEvi20rocsparse_direction_NS_24const_host_device_scalarIT2_EEPKiS8_PKS5_SA_S6_PS5_21rocsparse_index_base_b.num_agpr, 0
	.set _ZN9rocsparseL19gebsrmvn_2xn_kernelILj128ELj3ELj64E21rocsparse_complex_numIfEEEvi20rocsparse_direction_NS_24const_host_device_scalarIT2_EEPKiS8_PKS5_SA_S6_PS5_21rocsparse_index_base_b.numbered_sgpr, 16
	.set _ZN9rocsparseL19gebsrmvn_2xn_kernelILj128ELj3ELj64E21rocsparse_complex_numIfEEEvi20rocsparse_direction_NS_24const_host_device_scalarIT2_EEPKiS8_PKS5_SA_S6_PS5_21rocsparse_index_base_b.num_named_barrier, 0
	.set _ZN9rocsparseL19gebsrmvn_2xn_kernelILj128ELj3ELj64E21rocsparse_complex_numIfEEEvi20rocsparse_direction_NS_24const_host_device_scalarIT2_EEPKiS8_PKS5_SA_S6_PS5_21rocsparse_index_base_b.private_seg_size, 0
	.set _ZN9rocsparseL19gebsrmvn_2xn_kernelILj128ELj3ELj64E21rocsparse_complex_numIfEEEvi20rocsparse_direction_NS_24const_host_device_scalarIT2_EEPKiS8_PKS5_SA_S6_PS5_21rocsparse_index_base_b.uses_vcc, 1
	.set _ZN9rocsparseL19gebsrmvn_2xn_kernelILj128ELj3ELj64E21rocsparse_complex_numIfEEEvi20rocsparse_direction_NS_24const_host_device_scalarIT2_EEPKiS8_PKS5_SA_S6_PS5_21rocsparse_index_base_b.uses_flat_scratch, 0
	.set _ZN9rocsparseL19gebsrmvn_2xn_kernelILj128ELj3ELj64E21rocsparse_complex_numIfEEEvi20rocsparse_direction_NS_24const_host_device_scalarIT2_EEPKiS8_PKS5_SA_S6_PS5_21rocsparse_index_base_b.has_dyn_sized_stack, 0
	.set _ZN9rocsparseL19gebsrmvn_2xn_kernelILj128ELj3ELj64E21rocsparse_complex_numIfEEEvi20rocsparse_direction_NS_24const_host_device_scalarIT2_EEPKiS8_PKS5_SA_S6_PS5_21rocsparse_index_base_b.has_recursion, 0
	.set _ZN9rocsparseL19gebsrmvn_2xn_kernelILj128ELj3ELj64E21rocsparse_complex_numIfEEEvi20rocsparse_direction_NS_24const_host_device_scalarIT2_EEPKiS8_PKS5_SA_S6_PS5_21rocsparse_index_base_b.has_indirect_call, 0
	.section	.AMDGPU.csdata,"",@progbits
; Kernel info:
; codeLenInByte = 1820
; TotalNumSgprs: 20
; NumVgprs: 38
; ScratchSize: 0
; MemoryBound: 0
; FloatMode: 240
; IeeeMode: 1
; LDSByteSize: 0 bytes/workgroup (compile time only)
; SGPRBlocks: 2
; VGPRBlocks: 9
; NumSGPRsForWavesPerEU: 20
; NumVGPRsForWavesPerEU: 38
; Occupancy: 6
; WaveLimiterHint : 1
; COMPUTE_PGM_RSRC2:SCRATCH_EN: 0
; COMPUTE_PGM_RSRC2:USER_SGPR: 6
; COMPUTE_PGM_RSRC2:TRAP_HANDLER: 0
; COMPUTE_PGM_RSRC2:TGID_X_EN: 1
; COMPUTE_PGM_RSRC2:TGID_Y_EN: 0
; COMPUTE_PGM_RSRC2:TGID_Z_EN: 0
; COMPUTE_PGM_RSRC2:TIDIG_COMP_CNT: 0
	.section	.text._ZN9rocsparseL19gebsrmvn_2xn_kernelILj128ELj4ELj4E21rocsparse_complex_numIfEEEvi20rocsparse_direction_NS_24const_host_device_scalarIT2_EEPKiS8_PKS5_SA_S6_PS5_21rocsparse_index_base_b,"axG",@progbits,_ZN9rocsparseL19gebsrmvn_2xn_kernelILj128ELj4ELj4E21rocsparse_complex_numIfEEEvi20rocsparse_direction_NS_24const_host_device_scalarIT2_EEPKiS8_PKS5_SA_S6_PS5_21rocsparse_index_base_b,comdat
	.globl	_ZN9rocsparseL19gebsrmvn_2xn_kernelILj128ELj4ELj4E21rocsparse_complex_numIfEEEvi20rocsparse_direction_NS_24const_host_device_scalarIT2_EEPKiS8_PKS5_SA_S6_PS5_21rocsparse_index_base_b ; -- Begin function _ZN9rocsparseL19gebsrmvn_2xn_kernelILj128ELj4ELj4E21rocsparse_complex_numIfEEEvi20rocsparse_direction_NS_24const_host_device_scalarIT2_EEPKiS8_PKS5_SA_S6_PS5_21rocsparse_index_base_b
	.p2align	8
	.type	_ZN9rocsparseL19gebsrmvn_2xn_kernelILj128ELj4ELj4E21rocsparse_complex_numIfEEEvi20rocsparse_direction_NS_24const_host_device_scalarIT2_EEPKiS8_PKS5_SA_S6_PS5_21rocsparse_index_base_b,@function
_ZN9rocsparseL19gebsrmvn_2xn_kernelILj128ELj4ELj4E21rocsparse_complex_numIfEEEvi20rocsparse_direction_NS_24const_host_device_scalarIT2_EEPKiS8_PKS5_SA_S6_PS5_21rocsparse_index_base_b: ; @_ZN9rocsparseL19gebsrmvn_2xn_kernelILj128ELj4ELj4E21rocsparse_complex_numIfEEEvi20rocsparse_direction_NS_24const_host_device_scalarIT2_EEPKiS8_PKS5_SA_S6_PS5_21rocsparse_index_base_b
; %bb.0:
	s_load_dwordx2 s[0:1], s[4:5], 0x8
	s_load_dwordx2 s[8:9], s[4:5], 0x30
	;; [unrolled: 1-line block ×3, first 2 shown]
	s_add_u32 s7, s4, 8
	s_addc_u32 s10, s5, 0
	s_add_u32 s11, s4, 48
	s_addc_u32 s12, s5, 0
	s_waitcnt lgkmcnt(0)
	s_bitcmp1_b32 s3, 0
	s_cselect_b32 s1, s10, s1
	s_cselect_b32 s0, s7, s0
	v_mov_b32_e32 v1, s0
	v_mov_b32_e32 v2, s1
	flat_load_dwordx2 v[1:2], v[1:2]
	s_cselect_b32 s0, s12, s9
	s_cselect_b32 s1, s11, s8
	v_mov_b32_e32 v3, s1
	v_mov_b32_e32 v4, s0
	flat_load_dwordx2 v[3:4], v[3:4]
	s_waitcnt vmcnt(0) lgkmcnt(0)
	v_cmp_eq_f32_e32 vcc, 0, v1
	v_cmp_eq_f32_e64 s[0:1], 0, v2
	s_and_b64 s[10:11], vcc, s[0:1]
	s_mov_b64 s[0:1], -1
	s_and_saveexec_b64 s[8:9], s[10:11]
; %bb.1:
	v_cmp_neq_f32_e32 vcc, 1.0, v3
	v_cmp_neq_f32_e64 s[0:1], 0, v4
	s_or_b64 s[0:1], vcc, s[0:1]
	s_orn2_b64 s[0:1], s[0:1], exec
; %bb.2:
	s_or_b64 exec, exec, s[8:9]
	s_and_saveexec_b64 s[8:9], s[0:1]
	s_cbranch_execz .LBB162_21
; %bb.3:
	s_load_dwordx2 s[0:1], s[4:5], 0x0
	v_lshrrev_b32_e32 v5, 2, v0
	v_lshl_or_b32 v5, s6, 5, v5
	s_waitcnt lgkmcnt(0)
	v_cmp_gt_i32_e32 vcc, s0, v5
	s_and_b64 exec, exec, vcc
	s_cbranch_execz .LBB162_21
; %bb.4:
	s_load_dwordx8 s[8:15], s[4:5], 0x10
	v_ashrrev_i32_e32 v6, 31, v5
	v_lshlrev_b64 v[6:7], 2, v[5:6]
	v_and_b32_e32 v0, 3, v0
	s_cmp_lg_u32 s1, 0
	s_waitcnt lgkmcnt(0)
	v_mov_b32_e32 v8, s9
	v_add_co_u32_e32 v6, vcc, s8, v6
	v_addc_co_u32_e32 v7, vcc, v8, v7, vcc
	global_load_dwordx2 v[6:7], v[6:7], off
	s_waitcnt vmcnt(0)
	v_subrev_u32_e32 v6, s2, v6
	v_subrev_u32_e32 v11, s2, v7
	v_add_u32_e32 v6, v6, v0
	v_cmp_lt_i32_e64 s[0:1], v6, v11
	s_cbranch_scc0 .LBB162_10
; %bb.5:
	v_mov_b32_e32 v12, 0
	v_mov_b32_e32 v15, 0
	v_mov_b32_e32 v14, 0
	v_mov_b32_e32 v13, 0
	s_and_saveexec_b64 s[6:7], s[0:1]
	s_cbranch_execz .LBB162_9
; %bb.6:
	v_mov_b32_e32 v8, 0
	v_lshlrev_b32_e32 v7, 3, v6
	s_mov_b64 s[8:9], 0
	v_mov_b32_e32 v16, s11
	v_mov_b32_e32 v17, s13
	;; [unrolled: 1-line block ×8, first 2 shown]
.LBB162_7:                              ; =>This Inner Loop Header: Depth=1
	v_ashrrev_i32_e32 v10, 31, v9
	v_lshlrev_b64 v[19:20], 2, v[9:10]
	v_mov_b32_e32 v32, v8
	v_add_co_u32_e32 v19, vcc, s10, v19
	v_addc_co_u32_e32 v20, vcc, v16, v20, vcc
	global_load_dword v10, v[19:20], off
	v_lshlrev_b64 v[19:20], 3, v[7:8]
	v_add_u32_e32 v9, 4, v9
	v_add_co_u32_e32 v43, vcc, s12, v19
	v_addc_co_u32_e32 v44, vcc, v17, v20, vcc
	global_load_dwordx4 v[19:22], v[43:44], off
	global_load_dwordx4 v[23:26], v[43:44], off offset:16
	global_load_dwordx4 v[27:30], v[43:44], off offset:32
	v_add_u32_e32 v7, 32, v7
	s_waitcnt vmcnt(3)
	v_subrev_u32_e32 v10, s2, v10
	v_lshlrev_b32_e32 v31, 2, v10
	v_lshlrev_b64 v[31:32], 3, v[31:32]
	v_add_co_u32_e32 v45, vcc, s14, v31
	v_addc_co_u32_e32 v46, vcc, v18, v32, vcc
	global_load_dwordx4 v[31:34], v[45:46], off
	global_load_dwordx4 v[35:38], v[45:46], off offset:16
	global_load_dwordx4 v[39:42], v[43:44], off offset:48
	v_cmp_ge_i32_e32 vcc, v9, v11
	s_or_b64 s[8:9], vcc, s[8:9]
	s_waitcnt vmcnt(2)
	v_fmac_f32_e32 v15, v19, v31
	v_fmac_f32_e32 v12, v20, v31
	;; [unrolled: 1-line block ×4, first 2 shown]
	v_fma_f32 v10, -v20, v32, v15
	v_fmac_f32_e32 v12, v19, v32
	v_fma_f32 v14, -v22, v32, v14
	v_fmac_f32_e32 v13, v21, v32
	v_fmac_f32_e32 v10, v23, v33
	;; [unrolled: 1-line block ×5, first 2 shown]
	v_fma_f32 v10, -v24, v34, v10
	v_fmac_f32_e32 v12, v23, v34
	v_fma_f32 v14, -v26, v34, v14
	v_fmac_f32_e32 v13, v25, v34
	s_waitcnt vmcnt(1)
	v_fmac_f32_e32 v10, v27, v35
	v_fmac_f32_e32 v12, v28, v35
	;; [unrolled: 1-line block ×4, first 2 shown]
	v_fma_f32 v10, -v28, v36, v10
	v_fmac_f32_e32 v12, v27, v36
	v_fma_f32 v14, -v30, v36, v14
	v_fmac_f32_e32 v13, v29, v36
	s_waitcnt vmcnt(0)
	v_fmac_f32_e32 v10, v39, v37
	v_fmac_f32_e32 v12, v40, v37
	;; [unrolled: 1-line block ×4, first 2 shown]
	v_fma_f32 v15, -v40, v38, v10
	v_fmac_f32_e32 v12, v39, v38
	v_fma_f32 v14, -v42, v38, v14
	v_fmac_f32_e32 v13, v41, v38
	s_andn2_b64 exec, exec, s[8:9]
	s_cbranch_execnz .LBB162_7
; %bb.8:
	s_or_b64 exec, exec, s[8:9]
.LBB162_9:
	s_or_b64 exec, exec, s[6:7]
	s_cbranch_execz .LBB162_11
	s_branch .LBB162_16
.LBB162_10:
                                        ; implicit-def: $vgpr12
                                        ; implicit-def: $vgpr15
                                        ; implicit-def: $vgpr14
                                        ; implicit-def: $vgpr13
.LBB162_11:
	v_mov_b32_e32 v12, 0
	v_mov_b32_e32 v15, 0
	;; [unrolled: 1-line block ×4, first 2 shown]
	s_and_saveexec_b64 s[6:7], s[0:1]
	s_cbranch_execz .LBB162_15
; %bb.12:
	v_mov_b32_e32 v9, 0
	v_lshlrev_b32_e32 v8, 3, v6
	s_mov_b64 s[0:1], 0
	v_mov_b32_e32 v10, s11
	v_mov_b32_e32 v16, s13
	;; [unrolled: 1-line block ×7, first 2 shown]
.LBB162_13:                             ; =>This Inner Loop Header: Depth=1
	v_lshlrev_b64 v[18:19], 3, v[8:9]
	v_ashrrev_i32_e32 v7, 31, v6
	v_lshlrev_b64 v[20:21], 2, v[6:7]
	v_add_co_u32_e32 v38, vcc, s12, v18
	v_addc_co_u32_e32 v39, vcc, v16, v19, vcc
	v_add_co_u32_e32 v28, vcc, s10, v20
	v_addc_co_u32_e32 v29, vcc, v10, v21, vcc
	global_load_dwordx4 v[18:21], v[38:39], off
	global_load_dwordx4 v[22:25], v[38:39], off offset:16
	global_load_dword v7, v[28:29], off
	v_mov_b32_e32 v27, v9
	v_add_u32_e32 v6, 4, v6
	v_add_u32_e32 v8, 32, v8
	s_waitcnt vmcnt(0)
	v_subrev_u32_e32 v7, s2, v7
	v_lshlrev_b32_e32 v26, 2, v7
	v_lshlrev_b64 v[26:27], 3, v[26:27]
	v_add_co_u32_e32 v34, vcc, s14, v26
	v_addc_co_u32_e32 v35, vcc, v17, v27, vcc
	global_load_dwordx4 v[26:29], v[34:35], off
	global_load_dwordx4 v[30:33], v[34:35], off offset:16
	v_cmp_ge_i32_e32 vcc, v6, v11
	s_or_b64 s[0:1], vcc, s[0:1]
	s_waitcnt vmcnt(1)
	v_fmac_f32_e32 v15, v18, v26
	v_fmac_f32_e32 v12, v19, v26
	v_fma_f32 v7, -v19, v27, v15
	v_fmac_f32_e32 v12, v18, v27
	v_fmac_f32_e32 v7, v20, v28
	;; [unrolled: 1-line block ×3, first 2 shown]
	v_fma_f32 v7, -v21, v29, v7
	v_fmac_f32_e32 v12, v20, v29
	global_load_dwordx4 v[18:21], v[38:39], off offset:32
	global_load_dwordx4 v[34:37], v[38:39], off offset:48
	s_waitcnt vmcnt(2)
	v_fmac_f32_e32 v7, v22, v30
	v_fmac_f32_e32 v12, v23, v30
	v_fma_f32 v7, -v23, v31, v7
	v_fmac_f32_e32 v12, v22, v31
	v_fmac_f32_e32 v7, v24, v32
	v_fmac_f32_e32 v12, v25, v32
	v_fma_f32 v15, -v25, v33, v7
	v_fmac_f32_e32 v12, v24, v33
	s_waitcnt vmcnt(1)
	v_fmac_f32_e32 v14, v18, v26
	v_fmac_f32_e32 v13, v19, v26
	v_fma_f32 v14, -v19, v27, v14
	v_fmac_f32_e32 v13, v18, v27
	v_fmac_f32_e32 v14, v20, v28
	v_fmac_f32_e32 v13, v21, v28
	v_fma_f32 v14, -v21, v29, v14
	v_fmac_f32_e32 v13, v20, v29
	;; [unrolled: 9-line block ×3, first 2 shown]
	s_andn2_b64 exec, exec, s[0:1]
	s_cbranch_execnz .LBB162_13
; %bb.14:
	s_or_b64 exec, exec, s[0:1]
.LBB162_15:
	s_or_b64 exec, exec, s[6:7]
.LBB162_16:
	v_mov_b32_dpp v8, v12 row_shr:1 row_mask:0xf bank_mask:0xf
	v_mov_b32_dpp v6, v15 row_shr:1 row_mask:0xf bank_mask:0xf
	v_add_f32_e32 v8, v12, v8
	v_mov_b32_dpp v10, v14 row_shr:1 row_mask:0xf bank_mask:0xf
	v_mov_b32_dpp v12, v13 row_shr:1 row_mask:0xf bank_mask:0xf
	v_add_f32_e32 v6, v15, v6
	v_add_f32_e32 v10, v14, v10
	;; [unrolled: 1-line block ×3, first 2 shown]
	v_mov_b32_dpp v7, v6 row_shr:2 row_mask:0xf bank_mask:0xf
	v_mov_b32_dpp v9, v8 row_shr:2 row_mask:0xf bank_mask:0xf
	;; [unrolled: 1-line block ×4, first 2 shown]
	v_cmp_eq_u32_e32 vcc, 3, v0
	s_and_b64 exec, exec, vcc
	s_cbranch_execz .LBB162_21
; %bb.17:
	s_load_dwordx2 s[2:3], s[4:5], 0x38
	v_cmp_eq_f32_e32 vcc, 0, v3
	v_cmp_eq_f32_e64 s[0:1], 0, v4
	v_add_f32_e32 v7, v6, v7
	v_add_f32_e32 v8, v8, v9
	;; [unrolled: 1-line block ×4, first 2 shown]
	s_and_b64 s[0:1], vcc, s[0:1]
	s_and_saveexec_b64 s[4:5], s[0:1]
	s_xor_b64 s[0:1], exec, s[4:5]
	s_cbranch_execz .LBB162_19
; %bb.18:
	v_mul_f32_e64 v3, v8, -v2
	v_mul_f32_e32 v4, v1, v8
	v_fmac_f32_e32 v3, v1, v7
	v_fmac_f32_e32 v4, v2, v7
	v_lshlrev_b32_e32 v7, 1, v5
	v_ashrrev_i32_e32 v8, 31, v7
	v_lshlrev_b64 v[7:8], 3, v[7:8]
	s_waitcnt lgkmcnt(0)
	v_mov_b32_e32 v5, s3
	v_add_co_u32_e32 v7, vcc, s2, v7
	v_addc_co_u32_e32 v8, vcc, v5, v8, vcc
	v_mul_f32_e64 v5, v6, -v2
	v_mul_f32_e32 v6, v1, v6
	v_fmac_f32_e32 v5, v1, v0
	v_fmac_f32_e32 v6, v2, v0
	global_store_dwordx4 v[7:8], v[3:6], off
                                        ; implicit-def: $vgpr5
                                        ; implicit-def: $vgpr1_vgpr2
                                        ; implicit-def: $vgpr8
                                        ; implicit-def: $vgpr7
                                        ; implicit-def: $vgpr3_vgpr4
                                        ; implicit-def: $vgpr6
                                        ; implicit-def: $vgpr0
.LBB162_19:
	s_andn2_saveexec_b64 s[0:1], s[0:1]
	s_cbranch_execz .LBB162_21
; %bb.20:
	v_lshlrev_b32_e32 v9, 1, v5
	v_ashrrev_i32_e32 v10, 31, v9
	v_lshlrev_b64 v[9:10], 3, v[9:10]
	s_waitcnt lgkmcnt(0)
	v_mov_b32_e32 v5, s3
	v_add_co_u32_e32 v17, vcc, s2, v9
	v_addc_co_u32_e32 v18, vcc, v5, v10, vcc
	global_load_dwordx4 v[9:12], v[17:18], off
	v_mul_f32_e64 v5, v8, -v2
	v_mul_f32_e32 v14, v1, v8
	v_mul_f32_e64 v8, v6, -v2
	v_mul_f32_e32 v16, v1, v6
	v_fmac_f32_e32 v5, v1, v7
	v_fmac_f32_e32 v14, v2, v7
	v_fmac_f32_e32 v8, v1, v0
	v_fmac_f32_e32 v16, v2, v0
	s_waitcnt vmcnt(0)
	v_fmac_f32_e32 v5, v3, v9
	v_fmac_f32_e32 v14, v4, v9
	;; [unrolled: 1-line block ×4, first 2 shown]
	v_fma_f32 v13, -v4, v10, v5
	v_fmac_f32_e32 v14, v3, v10
	v_fma_f32 v15, -v4, v12, v8
	v_fmac_f32_e32 v16, v3, v12
	global_store_dwordx4 v[17:18], v[13:16], off
.LBB162_21:
	s_endpgm
	.section	.rodata,"a",@progbits
	.p2align	6, 0x0
	.amdhsa_kernel _ZN9rocsparseL19gebsrmvn_2xn_kernelILj128ELj4ELj4E21rocsparse_complex_numIfEEEvi20rocsparse_direction_NS_24const_host_device_scalarIT2_EEPKiS8_PKS5_SA_S6_PS5_21rocsparse_index_base_b
		.amdhsa_group_segment_fixed_size 0
		.amdhsa_private_segment_fixed_size 0
		.amdhsa_kernarg_size 72
		.amdhsa_user_sgpr_count 6
		.amdhsa_user_sgpr_private_segment_buffer 1
		.amdhsa_user_sgpr_dispatch_ptr 0
		.amdhsa_user_sgpr_queue_ptr 0
		.amdhsa_user_sgpr_kernarg_segment_ptr 1
		.amdhsa_user_sgpr_dispatch_id 0
		.amdhsa_user_sgpr_flat_scratch_init 0
		.amdhsa_user_sgpr_private_segment_size 0
		.amdhsa_uses_dynamic_stack 0
		.amdhsa_system_sgpr_private_segment_wavefront_offset 0
		.amdhsa_system_sgpr_workgroup_id_x 1
		.amdhsa_system_sgpr_workgroup_id_y 0
		.amdhsa_system_sgpr_workgroup_id_z 0
		.amdhsa_system_sgpr_workgroup_info 0
		.amdhsa_system_vgpr_workitem_id 0
		.amdhsa_next_free_vgpr 47
		.amdhsa_next_free_sgpr 16
		.amdhsa_reserve_vcc 1
		.amdhsa_reserve_flat_scratch 0
		.amdhsa_float_round_mode_32 0
		.amdhsa_float_round_mode_16_64 0
		.amdhsa_float_denorm_mode_32 3
		.amdhsa_float_denorm_mode_16_64 3
		.amdhsa_dx10_clamp 1
		.amdhsa_ieee_mode 1
		.amdhsa_fp16_overflow 0
		.amdhsa_exception_fp_ieee_invalid_op 0
		.amdhsa_exception_fp_denorm_src 0
		.amdhsa_exception_fp_ieee_div_zero 0
		.amdhsa_exception_fp_ieee_overflow 0
		.amdhsa_exception_fp_ieee_underflow 0
		.amdhsa_exception_fp_ieee_inexact 0
		.amdhsa_exception_int_div_zero 0
	.end_amdhsa_kernel
	.section	.text._ZN9rocsparseL19gebsrmvn_2xn_kernelILj128ELj4ELj4E21rocsparse_complex_numIfEEEvi20rocsparse_direction_NS_24const_host_device_scalarIT2_EEPKiS8_PKS5_SA_S6_PS5_21rocsparse_index_base_b,"axG",@progbits,_ZN9rocsparseL19gebsrmvn_2xn_kernelILj128ELj4ELj4E21rocsparse_complex_numIfEEEvi20rocsparse_direction_NS_24const_host_device_scalarIT2_EEPKiS8_PKS5_SA_S6_PS5_21rocsparse_index_base_b,comdat
.Lfunc_end162:
	.size	_ZN9rocsparseL19gebsrmvn_2xn_kernelILj128ELj4ELj4E21rocsparse_complex_numIfEEEvi20rocsparse_direction_NS_24const_host_device_scalarIT2_EEPKiS8_PKS5_SA_S6_PS5_21rocsparse_index_base_b, .Lfunc_end162-_ZN9rocsparseL19gebsrmvn_2xn_kernelILj128ELj4ELj4E21rocsparse_complex_numIfEEEvi20rocsparse_direction_NS_24const_host_device_scalarIT2_EEPKiS8_PKS5_SA_S6_PS5_21rocsparse_index_base_b
                                        ; -- End function
	.set _ZN9rocsparseL19gebsrmvn_2xn_kernelILj128ELj4ELj4E21rocsparse_complex_numIfEEEvi20rocsparse_direction_NS_24const_host_device_scalarIT2_EEPKiS8_PKS5_SA_S6_PS5_21rocsparse_index_base_b.num_vgpr, 47
	.set _ZN9rocsparseL19gebsrmvn_2xn_kernelILj128ELj4ELj4E21rocsparse_complex_numIfEEEvi20rocsparse_direction_NS_24const_host_device_scalarIT2_EEPKiS8_PKS5_SA_S6_PS5_21rocsparse_index_base_b.num_agpr, 0
	.set _ZN9rocsparseL19gebsrmvn_2xn_kernelILj128ELj4ELj4E21rocsparse_complex_numIfEEEvi20rocsparse_direction_NS_24const_host_device_scalarIT2_EEPKiS8_PKS5_SA_S6_PS5_21rocsparse_index_base_b.numbered_sgpr, 16
	.set _ZN9rocsparseL19gebsrmvn_2xn_kernelILj128ELj4ELj4E21rocsparse_complex_numIfEEEvi20rocsparse_direction_NS_24const_host_device_scalarIT2_EEPKiS8_PKS5_SA_S6_PS5_21rocsparse_index_base_b.num_named_barrier, 0
	.set _ZN9rocsparseL19gebsrmvn_2xn_kernelILj128ELj4ELj4E21rocsparse_complex_numIfEEEvi20rocsparse_direction_NS_24const_host_device_scalarIT2_EEPKiS8_PKS5_SA_S6_PS5_21rocsparse_index_base_b.private_seg_size, 0
	.set _ZN9rocsparseL19gebsrmvn_2xn_kernelILj128ELj4ELj4E21rocsparse_complex_numIfEEEvi20rocsparse_direction_NS_24const_host_device_scalarIT2_EEPKiS8_PKS5_SA_S6_PS5_21rocsparse_index_base_b.uses_vcc, 1
	.set _ZN9rocsparseL19gebsrmvn_2xn_kernelILj128ELj4ELj4E21rocsparse_complex_numIfEEEvi20rocsparse_direction_NS_24const_host_device_scalarIT2_EEPKiS8_PKS5_SA_S6_PS5_21rocsparse_index_base_b.uses_flat_scratch, 0
	.set _ZN9rocsparseL19gebsrmvn_2xn_kernelILj128ELj4ELj4E21rocsparse_complex_numIfEEEvi20rocsparse_direction_NS_24const_host_device_scalarIT2_EEPKiS8_PKS5_SA_S6_PS5_21rocsparse_index_base_b.has_dyn_sized_stack, 0
	.set _ZN9rocsparseL19gebsrmvn_2xn_kernelILj128ELj4ELj4E21rocsparse_complex_numIfEEEvi20rocsparse_direction_NS_24const_host_device_scalarIT2_EEPKiS8_PKS5_SA_S6_PS5_21rocsparse_index_base_b.has_recursion, 0
	.set _ZN9rocsparseL19gebsrmvn_2xn_kernelILj128ELj4ELj4E21rocsparse_complex_numIfEEEvi20rocsparse_direction_NS_24const_host_device_scalarIT2_EEPKiS8_PKS5_SA_S6_PS5_21rocsparse_index_base_b.has_indirect_call, 0
	.section	.AMDGPU.csdata,"",@progbits
; Kernel info:
; codeLenInByte = 1440
; TotalNumSgprs: 20
; NumVgprs: 47
; ScratchSize: 0
; MemoryBound: 0
; FloatMode: 240
; IeeeMode: 1
; LDSByteSize: 0 bytes/workgroup (compile time only)
; SGPRBlocks: 2
; VGPRBlocks: 11
; NumSGPRsForWavesPerEU: 20
; NumVGPRsForWavesPerEU: 47
; Occupancy: 5
; WaveLimiterHint : 1
; COMPUTE_PGM_RSRC2:SCRATCH_EN: 0
; COMPUTE_PGM_RSRC2:USER_SGPR: 6
; COMPUTE_PGM_RSRC2:TRAP_HANDLER: 0
; COMPUTE_PGM_RSRC2:TGID_X_EN: 1
; COMPUTE_PGM_RSRC2:TGID_Y_EN: 0
; COMPUTE_PGM_RSRC2:TGID_Z_EN: 0
; COMPUTE_PGM_RSRC2:TIDIG_COMP_CNT: 0
	.section	.text._ZN9rocsparseL19gebsrmvn_2xn_kernelILj128ELj4ELj8E21rocsparse_complex_numIfEEEvi20rocsparse_direction_NS_24const_host_device_scalarIT2_EEPKiS8_PKS5_SA_S6_PS5_21rocsparse_index_base_b,"axG",@progbits,_ZN9rocsparseL19gebsrmvn_2xn_kernelILj128ELj4ELj8E21rocsparse_complex_numIfEEEvi20rocsparse_direction_NS_24const_host_device_scalarIT2_EEPKiS8_PKS5_SA_S6_PS5_21rocsparse_index_base_b,comdat
	.globl	_ZN9rocsparseL19gebsrmvn_2xn_kernelILj128ELj4ELj8E21rocsparse_complex_numIfEEEvi20rocsparse_direction_NS_24const_host_device_scalarIT2_EEPKiS8_PKS5_SA_S6_PS5_21rocsparse_index_base_b ; -- Begin function _ZN9rocsparseL19gebsrmvn_2xn_kernelILj128ELj4ELj8E21rocsparse_complex_numIfEEEvi20rocsparse_direction_NS_24const_host_device_scalarIT2_EEPKiS8_PKS5_SA_S6_PS5_21rocsparse_index_base_b
	.p2align	8
	.type	_ZN9rocsparseL19gebsrmvn_2xn_kernelILj128ELj4ELj8E21rocsparse_complex_numIfEEEvi20rocsparse_direction_NS_24const_host_device_scalarIT2_EEPKiS8_PKS5_SA_S6_PS5_21rocsparse_index_base_b,@function
_ZN9rocsparseL19gebsrmvn_2xn_kernelILj128ELj4ELj8E21rocsparse_complex_numIfEEEvi20rocsparse_direction_NS_24const_host_device_scalarIT2_EEPKiS8_PKS5_SA_S6_PS5_21rocsparse_index_base_b: ; @_ZN9rocsparseL19gebsrmvn_2xn_kernelILj128ELj4ELj8E21rocsparse_complex_numIfEEEvi20rocsparse_direction_NS_24const_host_device_scalarIT2_EEPKiS8_PKS5_SA_S6_PS5_21rocsparse_index_base_b
; %bb.0:
	s_load_dwordx2 s[0:1], s[4:5], 0x8
	s_load_dwordx2 s[8:9], s[4:5], 0x30
	;; [unrolled: 1-line block ×3, first 2 shown]
	s_add_u32 s7, s4, 8
	s_addc_u32 s10, s5, 0
	s_add_u32 s11, s4, 48
	s_addc_u32 s12, s5, 0
	s_waitcnt lgkmcnt(0)
	s_bitcmp1_b32 s3, 0
	s_cselect_b32 s1, s10, s1
	s_cselect_b32 s0, s7, s0
	v_mov_b32_e32 v1, s0
	v_mov_b32_e32 v2, s1
	flat_load_dwordx2 v[1:2], v[1:2]
	s_cselect_b32 s0, s12, s9
	s_cselect_b32 s1, s11, s8
	v_mov_b32_e32 v3, s1
	v_mov_b32_e32 v4, s0
	flat_load_dwordx2 v[3:4], v[3:4]
	s_waitcnt vmcnt(0) lgkmcnt(0)
	v_cmp_eq_f32_e32 vcc, 0, v1
	v_cmp_eq_f32_e64 s[0:1], 0, v2
	s_and_b64 s[10:11], vcc, s[0:1]
	s_mov_b64 s[0:1], -1
	s_and_saveexec_b64 s[8:9], s[10:11]
; %bb.1:
	v_cmp_neq_f32_e32 vcc, 1.0, v3
	v_cmp_neq_f32_e64 s[0:1], 0, v4
	s_or_b64 s[0:1], vcc, s[0:1]
	s_orn2_b64 s[0:1], s[0:1], exec
; %bb.2:
	s_or_b64 exec, exec, s[8:9]
	s_and_saveexec_b64 s[8:9], s[0:1]
	s_cbranch_execz .LBB163_21
; %bb.3:
	s_load_dwordx2 s[0:1], s[4:5], 0x0
	v_lshrrev_b32_e32 v5, 3, v0
	v_lshl_or_b32 v5, s6, 4, v5
	s_waitcnt lgkmcnt(0)
	v_cmp_gt_i32_e32 vcc, s0, v5
	s_and_b64 exec, exec, vcc
	s_cbranch_execz .LBB163_21
; %bb.4:
	s_load_dwordx8 s[8:15], s[4:5], 0x10
	v_ashrrev_i32_e32 v6, 31, v5
	v_lshlrev_b64 v[6:7], 2, v[5:6]
	v_and_b32_e32 v0, 7, v0
	s_cmp_lg_u32 s1, 0
	s_waitcnt lgkmcnt(0)
	v_mov_b32_e32 v8, s9
	v_add_co_u32_e32 v6, vcc, s8, v6
	v_addc_co_u32_e32 v7, vcc, v8, v7, vcc
	global_load_dwordx2 v[6:7], v[6:7], off
	s_waitcnt vmcnt(0)
	v_subrev_u32_e32 v6, s2, v6
	v_subrev_u32_e32 v11, s2, v7
	v_add_u32_e32 v6, v6, v0
	v_cmp_lt_i32_e64 s[0:1], v6, v11
	s_cbranch_scc0 .LBB163_10
; %bb.5:
	v_mov_b32_e32 v12, 0
	v_mov_b32_e32 v15, 0
	;; [unrolled: 1-line block ×4, first 2 shown]
	s_and_saveexec_b64 s[6:7], s[0:1]
	s_cbranch_execz .LBB163_9
; %bb.6:
	v_mov_b32_e32 v8, 0
	v_lshlrev_b32_e32 v7, 3, v6
	s_mov_b64 s[8:9], 0
	v_mov_b32_e32 v16, s11
	v_mov_b32_e32 v17, s13
	;; [unrolled: 1-line block ×8, first 2 shown]
.LBB163_7:                              ; =>This Inner Loop Header: Depth=1
	v_ashrrev_i32_e32 v10, 31, v9
	v_lshlrev_b64 v[19:20], 2, v[9:10]
	v_mov_b32_e32 v32, v8
	v_add_co_u32_e32 v19, vcc, s10, v19
	v_addc_co_u32_e32 v20, vcc, v16, v20, vcc
	global_load_dword v10, v[19:20], off
	v_lshlrev_b64 v[19:20], 3, v[7:8]
	v_add_u32_e32 v9, 8, v9
	v_add_co_u32_e32 v43, vcc, s12, v19
	v_addc_co_u32_e32 v44, vcc, v17, v20, vcc
	global_load_dwordx4 v[19:22], v[43:44], off
	global_load_dwordx4 v[23:26], v[43:44], off offset:16
	global_load_dwordx4 v[27:30], v[43:44], off offset:32
	v_add_u32_e32 v7, 64, v7
	s_waitcnt vmcnt(3)
	v_subrev_u32_e32 v10, s2, v10
	v_lshlrev_b32_e32 v31, 2, v10
	v_lshlrev_b64 v[31:32], 3, v[31:32]
	v_add_co_u32_e32 v45, vcc, s14, v31
	v_addc_co_u32_e32 v46, vcc, v18, v32, vcc
	global_load_dwordx4 v[31:34], v[45:46], off
	global_load_dwordx4 v[35:38], v[45:46], off offset:16
	global_load_dwordx4 v[39:42], v[43:44], off offset:48
	v_cmp_ge_i32_e32 vcc, v9, v11
	s_or_b64 s[8:9], vcc, s[8:9]
	s_waitcnt vmcnt(2)
	v_fmac_f32_e32 v15, v19, v31
	v_fmac_f32_e32 v12, v20, v31
	;; [unrolled: 1-line block ×4, first 2 shown]
	v_fma_f32 v10, -v20, v32, v15
	v_fmac_f32_e32 v12, v19, v32
	v_fma_f32 v14, -v22, v32, v14
	v_fmac_f32_e32 v13, v21, v32
	v_fmac_f32_e32 v10, v23, v33
	;; [unrolled: 1-line block ×5, first 2 shown]
	v_fma_f32 v10, -v24, v34, v10
	v_fmac_f32_e32 v12, v23, v34
	v_fma_f32 v14, -v26, v34, v14
	v_fmac_f32_e32 v13, v25, v34
	s_waitcnt vmcnt(1)
	v_fmac_f32_e32 v10, v27, v35
	v_fmac_f32_e32 v12, v28, v35
	v_fmac_f32_e32 v14, v29, v35
	v_fmac_f32_e32 v13, v30, v35
	v_fma_f32 v10, -v28, v36, v10
	v_fmac_f32_e32 v12, v27, v36
	v_fma_f32 v14, -v30, v36, v14
	v_fmac_f32_e32 v13, v29, v36
	s_waitcnt vmcnt(0)
	v_fmac_f32_e32 v10, v39, v37
	v_fmac_f32_e32 v12, v40, v37
	;; [unrolled: 1-line block ×4, first 2 shown]
	v_fma_f32 v15, -v40, v38, v10
	v_fmac_f32_e32 v12, v39, v38
	v_fma_f32 v14, -v42, v38, v14
	v_fmac_f32_e32 v13, v41, v38
	s_andn2_b64 exec, exec, s[8:9]
	s_cbranch_execnz .LBB163_7
; %bb.8:
	s_or_b64 exec, exec, s[8:9]
.LBB163_9:
	s_or_b64 exec, exec, s[6:7]
	s_cbranch_execz .LBB163_11
	s_branch .LBB163_16
.LBB163_10:
                                        ; implicit-def: $vgpr12
                                        ; implicit-def: $vgpr15
                                        ; implicit-def: $vgpr14
                                        ; implicit-def: $vgpr13
.LBB163_11:
	v_mov_b32_e32 v12, 0
	v_mov_b32_e32 v15, 0
	;; [unrolled: 1-line block ×4, first 2 shown]
	s_and_saveexec_b64 s[6:7], s[0:1]
	s_cbranch_execz .LBB163_15
; %bb.12:
	v_mov_b32_e32 v9, 0
	v_lshlrev_b32_e32 v8, 3, v6
	s_mov_b64 s[0:1], 0
	v_mov_b32_e32 v10, s11
	v_mov_b32_e32 v16, s13
	;; [unrolled: 1-line block ×7, first 2 shown]
.LBB163_13:                             ; =>This Inner Loop Header: Depth=1
	v_lshlrev_b64 v[18:19], 3, v[8:9]
	v_ashrrev_i32_e32 v7, 31, v6
	v_lshlrev_b64 v[20:21], 2, v[6:7]
	v_add_co_u32_e32 v38, vcc, s12, v18
	v_addc_co_u32_e32 v39, vcc, v16, v19, vcc
	v_add_co_u32_e32 v28, vcc, s10, v20
	v_addc_co_u32_e32 v29, vcc, v10, v21, vcc
	global_load_dwordx4 v[18:21], v[38:39], off
	global_load_dwordx4 v[22:25], v[38:39], off offset:16
	global_load_dword v7, v[28:29], off
	v_mov_b32_e32 v27, v9
	v_add_u32_e32 v6, 8, v6
	v_add_u32_e32 v8, 64, v8
	s_waitcnt vmcnt(0)
	v_subrev_u32_e32 v7, s2, v7
	v_lshlrev_b32_e32 v26, 2, v7
	v_lshlrev_b64 v[26:27], 3, v[26:27]
	v_add_co_u32_e32 v34, vcc, s14, v26
	v_addc_co_u32_e32 v35, vcc, v17, v27, vcc
	global_load_dwordx4 v[26:29], v[34:35], off
	global_load_dwordx4 v[30:33], v[34:35], off offset:16
	v_cmp_ge_i32_e32 vcc, v6, v11
	s_or_b64 s[0:1], vcc, s[0:1]
	s_waitcnt vmcnt(1)
	v_fmac_f32_e32 v15, v18, v26
	v_fmac_f32_e32 v12, v19, v26
	v_fma_f32 v7, -v19, v27, v15
	v_fmac_f32_e32 v12, v18, v27
	v_fmac_f32_e32 v7, v20, v28
	;; [unrolled: 1-line block ×3, first 2 shown]
	v_fma_f32 v7, -v21, v29, v7
	v_fmac_f32_e32 v12, v20, v29
	global_load_dwordx4 v[18:21], v[38:39], off offset:32
	global_load_dwordx4 v[34:37], v[38:39], off offset:48
	s_waitcnt vmcnt(2)
	v_fmac_f32_e32 v7, v22, v30
	v_fmac_f32_e32 v12, v23, v30
	v_fma_f32 v7, -v23, v31, v7
	v_fmac_f32_e32 v12, v22, v31
	v_fmac_f32_e32 v7, v24, v32
	v_fmac_f32_e32 v12, v25, v32
	v_fma_f32 v15, -v25, v33, v7
	v_fmac_f32_e32 v12, v24, v33
	s_waitcnt vmcnt(1)
	v_fmac_f32_e32 v14, v18, v26
	v_fmac_f32_e32 v13, v19, v26
	v_fma_f32 v14, -v19, v27, v14
	v_fmac_f32_e32 v13, v18, v27
	v_fmac_f32_e32 v14, v20, v28
	v_fmac_f32_e32 v13, v21, v28
	v_fma_f32 v14, -v21, v29, v14
	v_fmac_f32_e32 v13, v20, v29
	;; [unrolled: 9-line block ×3, first 2 shown]
	s_andn2_b64 exec, exec, s[0:1]
	s_cbranch_execnz .LBB163_13
; %bb.14:
	s_or_b64 exec, exec, s[0:1]
.LBB163_15:
	s_or_b64 exec, exec, s[6:7]
.LBB163_16:
	v_mov_b32_dpp v8, v12 row_shr:1 row_mask:0xf bank_mask:0xf
	v_mov_b32_dpp v6, v15 row_shr:1 row_mask:0xf bank_mask:0xf
	v_add_f32_e32 v8, v12, v8
	v_mov_b32_dpp v10, v14 row_shr:1 row_mask:0xf bank_mask:0xf
	v_mov_b32_dpp v12, v13 row_shr:1 row_mask:0xf bank_mask:0xf
	v_add_f32_e32 v6, v15, v6
	v_add_f32_e32 v10, v14, v10
	;; [unrolled: 1-line block ×3, first 2 shown]
	v_mov_b32_dpp v7, v6 row_shr:2 row_mask:0xf bank_mask:0xf
	v_mov_b32_dpp v9, v8 row_shr:2 row_mask:0xf bank_mask:0xf
	v_mov_b32_dpp v11, v10 row_shr:2 row_mask:0xf bank_mask:0xf
	v_mov_b32_dpp v13, v12 row_shr:2 row_mask:0xf bank_mask:0xf
	v_add_f32_e32 v6, v6, v7
	v_add_f32_e32 v8, v8, v9
	;; [unrolled: 1-line block ×4, first 2 shown]
	v_mov_b32_dpp v7, v6 row_shr:4 row_mask:0xf bank_mask:0xe
	v_mov_b32_dpp v9, v8 row_shr:4 row_mask:0xf bank_mask:0xe
	;; [unrolled: 1-line block ×4, first 2 shown]
	v_cmp_eq_u32_e32 vcc, 7, v0
	s_and_b64 exec, exec, vcc
	s_cbranch_execz .LBB163_21
; %bb.17:
	s_load_dwordx2 s[2:3], s[4:5], 0x38
	v_cmp_eq_f32_e32 vcc, 0, v3
	v_cmp_eq_f32_e64 s[0:1], 0, v4
	v_add_f32_e32 v7, v6, v7
	v_add_f32_e32 v8, v8, v9
	;; [unrolled: 1-line block ×4, first 2 shown]
	s_and_b64 s[0:1], vcc, s[0:1]
	s_and_saveexec_b64 s[4:5], s[0:1]
	s_xor_b64 s[0:1], exec, s[4:5]
	s_cbranch_execz .LBB163_19
; %bb.18:
	v_mul_f32_e64 v3, v8, -v2
	v_mul_f32_e32 v4, v1, v8
	v_fmac_f32_e32 v3, v1, v7
	v_fmac_f32_e32 v4, v2, v7
	v_lshlrev_b32_e32 v7, 1, v5
	v_ashrrev_i32_e32 v8, 31, v7
	v_lshlrev_b64 v[7:8], 3, v[7:8]
	s_waitcnt lgkmcnt(0)
	v_mov_b32_e32 v5, s3
	v_add_co_u32_e32 v7, vcc, s2, v7
	v_addc_co_u32_e32 v8, vcc, v5, v8, vcc
	v_mul_f32_e64 v5, v6, -v2
	v_mul_f32_e32 v6, v1, v6
	v_fmac_f32_e32 v5, v1, v0
	v_fmac_f32_e32 v6, v2, v0
	global_store_dwordx4 v[7:8], v[3:6], off
                                        ; implicit-def: $vgpr5
                                        ; implicit-def: $vgpr1_vgpr2
                                        ; implicit-def: $vgpr8
                                        ; implicit-def: $vgpr7
                                        ; implicit-def: $vgpr3_vgpr4
                                        ; implicit-def: $vgpr6
                                        ; implicit-def: $vgpr0
.LBB163_19:
	s_andn2_saveexec_b64 s[0:1], s[0:1]
	s_cbranch_execz .LBB163_21
; %bb.20:
	v_lshlrev_b32_e32 v9, 1, v5
	v_ashrrev_i32_e32 v10, 31, v9
	v_lshlrev_b64 v[9:10], 3, v[9:10]
	s_waitcnt lgkmcnt(0)
	v_mov_b32_e32 v5, s3
	v_add_co_u32_e32 v17, vcc, s2, v9
	v_addc_co_u32_e32 v18, vcc, v5, v10, vcc
	global_load_dwordx4 v[9:12], v[17:18], off
	v_mul_f32_e64 v5, v8, -v2
	v_mul_f32_e32 v14, v1, v8
	v_mul_f32_e64 v8, v6, -v2
	v_mul_f32_e32 v16, v1, v6
	v_fmac_f32_e32 v5, v1, v7
	v_fmac_f32_e32 v14, v2, v7
	;; [unrolled: 1-line block ×4, first 2 shown]
	s_waitcnt vmcnt(0)
	v_fmac_f32_e32 v5, v3, v9
	v_fmac_f32_e32 v14, v4, v9
	;; [unrolled: 1-line block ×4, first 2 shown]
	v_fma_f32 v13, -v4, v10, v5
	v_fmac_f32_e32 v14, v3, v10
	v_fma_f32 v15, -v4, v12, v8
	v_fmac_f32_e32 v16, v3, v12
	global_store_dwordx4 v[17:18], v[13:16], off
.LBB163_21:
	s_endpgm
	.section	.rodata,"a",@progbits
	.p2align	6, 0x0
	.amdhsa_kernel _ZN9rocsparseL19gebsrmvn_2xn_kernelILj128ELj4ELj8E21rocsparse_complex_numIfEEEvi20rocsparse_direction_NS_24const_host_device_scalarIT2_EEPKiS8_PKS5_SA_S6_PS5_21rocsparse_index_base_b
		.amdhsa_group_segment_fixed_size 0
		.amdhsa_private_segment_fixed_size 0
		.amdhsa_kernarg_size 72
		.amdhsa_user_sgpr_count 6
		.amdhsa_user_sgpr_private_segment_buffer 1
		.amdhsa_user_sgpr_dispatch_ptr 0
		.amdhsa_user_sgpr_queue_ptr 0
		.amdhsa_user_sgpr_kernarg_segment_ptr 1
		.amdhsa_user_sgpr_dispatch_id 0
		.amdhsa_user_sgpr_flat_scratch_init 0
		.amdhsa_user_sgpr_private_segment_size 0
		.amdhsa_uses_dynamic_stack 0
		.amdhsa_system_sgpr_private_segment_wavefront_offset 0
		.amdhsa_system_sgpr_workgroup_id_x 1
		.amdhsa_system_sgpr_workgroup_id_y 0
		.amdhsa_system_sgpr_workgroup_id_z 0
		.amdhsa_system_sgpr_workgroup_info 0
		.amdhsa_system_vgpr_workitem_id 0
		.amdhsa_next_free_vgpr 47
		.amdhsa_next_free_sgpr 16
		.amdhsa_reserve_vcc 1
		.amdhsa_reserve_flat_scratch 0
		.amdhsa_float_round_mode_32 0
		.amdhsa_float_round_mode_16_64 0
		.amdhsa_float_denorm_mode_32 3
		.amdhsa_float_denorm_mode_16_64 3
		.amdhsa_dx10_clamp 1
		.amdhsa_ieee_mode 1
		.amdhsa_fp16_overflow 0
		.amdhsa_exception_fp_ieee_invalid_op 0
		.amdhsa_exception_fp_denorm_src 0
		.amdhsa_exception_fp_ieee_div_zero 0
		.amdhsa_exception_fp_ieee_overflow 0
		.amdhsa_exception_fp_ieee_underflow 0
		.amdhsa_exception_fp_ieee_inexact 0
		.amdhsa_exception_int_div_zero 0
	.end_amdhsa_kernel
	.section	.text._ZN9rocsparseL19gebsrmvn_2xn_kernelILj128ELj4ELj8E21rocsparse_complex_numIfEEEvi20rocsparse_direction_NS_24const_host_device_scalarIT2_EEPKiS8_PKS5_SA_S6_PS5_21rocsparse_index_base_b,"axG",@progbits,_ZN9rocsparseL19gebsrmvn_2xn_kernelILj128ELj4ELj8E21rocsparse_complex_numIfEEEvi20rocsparse_direction_NS_24const_host_device_scalarIT2_EEPKiS8_PKS5_SA_S6_PS5_21rocsparse_index_base_b,comdat
.Lfunc_end163:
	.size	_ZN9rocsparseL19gebsrmvn_2xn_kernelILj128ELj4ELj8E21rocsparse_complex_numIfEEEvi20rocsparse_direction_NS_24const_host_device_scalarIT2_EEPKiS8_PKS5_SA_S6_PS5_21rocsparse_index_base_b, .Lfunc_end163-_ZN9rocsparseL19gebsrmvn_2xn_kernelILj128ELj4ELj8E21rocsparse_complex_numIfEEEvi20rocsparse_direction_NS_24const_host_device_scalarIT2_EEPKiS8_PKS5_SA_S6_PS5_21rocsparse_index_base_b
                                        ; -- End function
	.set _ZN9rocsparseL19gebsrmvn_2xn_kernelILj128ELj4ELj8E21rocsparse_complex_numIfEEEvi20rocsparse_direction_NS_24const_host_device_scalarIT2_EEPKiS8_PKS5_SA_S6_PS5_21rocsparse_index_base_b.num_vgpr, 47
	.set _ZN9rocsparseL19gebsrmvn_2xn_kernelILj128ELj4ELj8E21rocsparse_complex_numIfEEEvi20rocsparse_direction_NS_24const_host_device_scalarIT2_EEPKiS8_PKS5_SA_S6_PS5_21rocsparse_index_base_b.num_agpr, 0
	.set _ZN9rocsparseL19gebsrmvn_2xn_kernelILj128ELj4ELj8E21rocsparse_complex_numIfEEEvi20rocsparse_direction_NS_24const_host_device_scalarIT2_EEPKiS8_PKS5_SA_S6_PS5_21rocsparse_index_base_b.numbered_sgpr, 16
	.set _ZN9rocsparseL19gebsrmvn_2xn_kernelILj128ELj4ELj8E21rocsparse_complex_numIfEEEvi20rocsparse_direction_NS_24const_host_device_scalarIT2_EEPKiS8_PKS5_SA_S6_PS5_21rocsparse_index_base_b.num_named_barrier, 0
	.set _ZN9rocsparseL19gebsrmvn_2xn_kernelILj128ELj4ELj8E21rocsparse_complex_numIfEEEvi20rocsparse_direction_NS_24const_host_device_scalarIT2_EEPKiS8_PKS5_SA_S6_PS5_21rocsparse_index_base_b.private_seg_size, 0
	.set _ZN9rocsparseL19gebsrmvn_2xn_kernelILj128ELj4ELj8E21rocsparse_complex_numIfEEEvi20rocsparse_direction_NS_24const_host_device_scalarIT2_EEPKiS8_PKS5_SA_S6_PS5_21rocsparse_index_base_b.uses_vcc, 1
	.set _ZN9rocsparseL19gebsrmvn_2xn_kernelILj128ELj4ELj8E21rocsparse_complex_numIfEEEvi20rocsparse_direction_NS_24const_host_device_scalarIT2_EEPKiS8_PKS5_SA_S6_PS5_21rocsparse_index_base_b.uses_flat_scratch, 0
	.set _ZN9rocsparseL19gebsrmvn_2xn_kernelILj128ELj4ELj8E21rocsparse_complex_numIfEEEvi20rocsparse_direction_NS_24const_host_device_scalarIT2_EEPKiS8_PKS5_SA_S6_PS5_21rocsparse_index_base_b.has_dyn_sized_stack, 0
	.set _ZN9rocsparseL19gebsrmvn_2xn_kernelILj128ELj4ELj8E21rocsparse_complex_numIfEEEvi20rocsparse_direction_NS_24const_host_device_scalarIT2_EEPKiS8_PKS5_SA_S6_PS5_21rocsparse_index_base_b.has_recursion, 0
	.set _ZN9rocsparseL19gebsrmvn_2xn_kernelILj128ELj4ELj8E21rocsparse_complex_numIfEEEvi20rocsparse_direction_NS_24const_host_device_scalarIT2_EEPKiS8_PKS5_SA_S6_PS5_21rocsparse_index_base_b.has_indirect_call, 0
	.section	.AMDGPU.csdata,"",@progbits
; Kernel info:
; codeLenInByte = 1488
; TotalNumSgprs: 20
; NumVgprs: 47
; ScratchSize: 0
; MemoryBound: 0
; FloatMode: 240
; IeeeMode: 1
; LDSByteSize: 0 bytes/workgroup (compile time only)
; SGPRBlocks: 2
; VGPRBlocks: 11
; NumSGPRsForWavesPerEU: 20
; NumVGPRsForWavesPerEU: 47
; Occupancy: 5
; WaveLimiterHint : 1
; COMPUTE_PGM_RSRC2:SCRATCH_EN: 0
; COMPUTE_PGM_RSRC2:USER_SGPR: 6
; COMPUTE_PGM_RSRC2:TRAP_HANDLER: 0
; COMPUTE_PGM_RSRC2:TGID_X_EN: 1
; COMPUTE_PGM_RSRC2:TGID_Y_EN: 0
; COMPUTE_PGM_RSRC2:TGID_Z_EN: 0
; COMPUTE_PGM_RSRC2:TIDIG_COMP_CNT: 0
	.section	.text._ZN9rocsparseL19gebsrmvn_2xn_kernelILj128ELj4ELj16E21rocsparse_complex_numIfEEEvi20rocsparse_direction_NS_24const_host_device_scalarIT2_EEPKiS8_PKS5_SA_S6_PS5_21rocsparse_index_base_b,"axG",@progbits,_ZN9rocsparseL19gebsrmvn_2xn_kernelILj128ELj4ELj16E21rocsparse_complex_numIfEEEvi20rocsparse_direction_NS_24const_host_device_scalarIT2_EEPKiS8_PKS5_SA_S6_PS5_21rocsparse_index_base_b,comdat
	.globl	_ZN9rocsparseL19gebsrmvn_2xn_kernelILj128ELj4ELj16E21rocsparse_complex_numIfEEEvi20rocsparse_direction_NS_24const_host_device_scalarIT2_EEPKiS8_PKS5_SA_S6_PS5_21rocsparse_index_base_b ; -- Begin function _ZN9rocsparseL19gebsrmvn_2xn_kernelILj128ELj4ELj16E21rocsparse_complex_numIfEEEvi20rocsparse_direction_NS_24const_host_device_scalarIT2_EEPKiS8_PKS5_SA_S6_PS5_21rocsparse_index_base_b
	.p2align	8
	.type	_ZN9rocsparseL19gebsrmvn_2xn_kernelILj128ELj4ELj16E21rocsparse_complex_numIfEEEvi20rocsparse_direction_NS_24const_host_device_scalarIT2_EEPKiS8_PKS5_SA_S6_PS5_21rocsparse_index_base_b,@function
_ZN9rocsparseL19gebsrmvn_2xn_kernelILj128ELj4ELj16E21rocsparse_complex_numIfEEEvi20rocsparse_direction_NS_24const_host_device_scalarIT2_EEPKiS8_PKS5_SA_S6_PS5_21rocsparse_index_base_b: ; @_ZN9rocsparseL19gebsrmvn_2xn_kernelILj128ELj4ELj16E21rocsparse_complex_numIfEEEvi20rocsparse_direction_NS_24const_host_device_scalarIT2_EEPKiS8_PKS5_SA_S6_PS5_21rocsparse_index_base_b
; %bb.0:
	s_load_dwordx2 s[0:1], s[4:5], 0x8
	s_load_dwordx2 s[8:9], s[4:5], 0x30
	;; [unrolled: 1-line block ×3, first 2 shown]
	s_add_u32 s7, s4, 8
	s_addc_u32 s10, s5, 0
	s_add_u32 s11, s4, 48
	s_addc_u32 s12, s5, 0
	s_waitcnt lgkmcnt(0)
	s_bitcmp1_b32 s3, 0
	s_cselect_b32 s1, s10, s1
	s_cselect_b32 s0, s7, s0
	v_mov_b32_e32 v1, s0
	v_mov_b32_e32 v2, s1
	flat_load_dwordx2 v[1:2], v[1:2]
	s_cselect_b32 s0, s12, s9
	s_cselect_b32 s1, s11, s8
	v_mov_b32_e32 v3, s1
	v_mov_b32_e32 v4, s0
	flat_load_dwordx2 v[3:4], v[3:4]
	s_waitcnt vmcnt(0) lgkmcnt(0)
	v_cmp_eq_f32_e32 vcc, 0, v1
	v_cmp_eq_f32_e64 s[0:1], 0, v2
	s_and_b64 s[10:11], vcc, s[0:1]
	s_mov_b64 s[0:1], -1
	s_and_saveexec_b64 s[8:9], s[10:11]
; %bb.1:
	v_cmp_neq_f32_e32 vcc, 1.0, v3
	v_cmp_neq_f32_e64 s[0:1], 0, v4
	s_or_b64 s[0:1], vcc, s[0:1]
	s_orn2_b64 s[0:1], s[0:1], exec
; %bb.2:
	s_or_b64 exec, exec, s[8:9]
	s_and_saveexec_b64 s[8:9], s[0:1]
	s_cbranch_execz .LBB164_21
; %bb.3:
	s_load_dwordx2 s[0:1], s[4:5], 0x0
	v_lshrrev_b32_e32 v5, 4, v0
	v_lshl_or_b32 v5, s6, 3, v5
	s_waitcnt lgkmcnt(0)
	v_cmp_gt_i32_e32 vcc, s0, v5
	s_and_b64 exec, exec, vcc
	s_cbranch_execz .LBB164_21
; %bb.4:
	s_load_dwordx8 s[8:15], s[4:5], 0x10
	v_ashrrev_i32_e32 v6, 31, v5
	v_lshlrev_b64 v[6:7], 2, v[5:6]
	v_and_b32_e32 v0, 15, v0
	s_cmp_lg_u32 s1, 0
	s_waitcnt lgkmcnt(0)
	v_mov_b32_e32 v8, s9
	v_add_co_u32_e32 v6, vcc, s8, v6
	v_addc_co_u32_e32 v7, vcc, v8, v7, vcc
	global_load_dwordx2 v[6:7], v[6:7], off
	s_waitcnt vmcnt(0)
	v_subrev_u32_e32 v6, s2, v6
	v_subrev_u32_e32 v12, s2, v7
	v_add_u32_e32 v6, v6, v0
	v_cmp_lt_i32_e64 s[0:1], v6, v12
	s_cbranch_scc0 .LBB164_10
; %bb.5:
	v_mov_b32_e32 v11, 0
	v_mov_b32_e32 v15, 0
	;; [unrolled: 1-line block ×4, first 2 shown]
	s_and_saveexec_b64 s[6:7], s[0:1]
	s_cbranch_execz .LBB164_9
; %bb.6:
	v_mov_b32_e32 v8, 0
	v_lshlrev_b32_e32 v7, 3, v6
	s_mov_b64 s[8:9], 0
	v_mov_b32_e32 v16, s11
	v_mov_b32_e32 v17, s13
	;; [unrolled: 1-line block ×8, first 2 shown]
.LBB164_7:                              ; =>This Inner Loop Header: Depth=1
	v_ashrrev_i32_e32 v10, 31, v9
	v_lshlrev_b64 v[19:20], 2, v[9:10]
	v_mov_b32_e32 v32, v8
	v_add_co_u32_e32 v19, vcc, s10, v19
	v_addc_co_u32_e32 v20, vcc, v16, v20, vcc
	global_load_dword v10, v[19:20], off
	v_lshlrev_b64 v[19:20], 3, v[7:8]
	v_add_u32_e32 v9, 16, v9
	v_add_co_u32_e32 v43, vcc, s12, v19
	v_addc_co_u32_e32 v44, vcc, v17, v20, vcc
	global_load_dwordx4 v[19:22], v[43:44], off
	global_load_dwordx4 v[23:26], v[43:44], off offset:16
	global_load_dwordx4 v[27:30], v[43:44], off offset:32
	v_add_u32_e32 v7, 0x80, v7
	s_waitcnt vmcnt(3)
	v_subrev_u32_e32 v10, s2, v10
	v_lshlrev_b32_e32 v31, 2, v10
	v_lshlrev_b64 v[31:32], 3, v[31:32]
	v_add_co_u32_e32 v45, vcc, s14, v31
	v_addc_co_u32_e32 v46, vcc, v18, v32, vcc
	global_load_dwordx4 v[31:34], v[45:46], off
	global_load_dwordx4 v[35:38], v[45:46], off offset:16
	global_load_dwordx4 v[39:42], v[43:44], off offset:48
	v_cmp_ge_i32_e32 vcc, v9, v12
	s_or_b64 s[8:9], vcc, s[8:9]
	s_waitcnt vmcnt(2)
	v_fmac_f32_e32 v15, v19, v31
	v_fmac_f32_e32 v11, v20, v31
	;; [unrolled: 1-line block ×4, first 2 shown]
	v_fma_f32 v10, -v20, v32, v15
	v_fmac_f32_e32 v11, v19, v32
	v_fma_f32 v14, -v22, v32, v14
	v_fmac_f32_e32 v13, v21, v32
	v_fmac_f32_e32 v10, v23, v33
	;; [unrolled: 1-line block ×5, first 2 shown]
	v_fma_f32 v10, -v24, v34, v10
	v_fmac_f32_e32 v11, v23, v34
	v_fma_f32 v14, -v26, v34, v14
	v_fmac_f32_e32 v13, v25, v34
	s_waitcnt vmcnt(1)
	v_fmac_f32_e32 v10, v27, v35
	v_fmac_f32_e32 v11, v28, v35
	;; [unrolled: 1-line block ×4, first 2 shown]
	v_fma_f32 v10, -v28, v36, v10
	v_fmac_f32_e32 v11, v27, v36
	v_fma_f32 v14, -v30, v36, v14
	v_fmac_f32_e32 v13, v29, v36
	s_waitcnt vmcnt(0)
	v_fmac_f32_e32 v10, v39, v37
	v_fmac_f32_e32 v11, v40, v37
	;; [unrolled: 1-line block ×4, first 2 shown]
	v_fma_f32 v15, -v40, v38, v10
	v_fmac_f32_e32 v11, v39, v38
	v_fma_f32 v14, -v42, v38, v14
	v_fmac_f32_e32 v13, v41, v38
	s_andn2_b64 exec, exec, s[8:9]
	s_cbranch_execnz .LBB164_7
; %bb.8:
	s_or_b64 exec, exec, s[8:9]
.LBB164_9:
	s_or_b64 exec, exec, s[6:7]
	s_cbranch_execz .LBB164_11
	s_branch .LBB164_16
.LBB164_10:
                                        ; implicit-def: $vgpr11
                                        ; implicit-def: $vgpr15
                                        ; implicit-def: $vgpr14
                                        ; implicit-def: $vgpr13
.LBB164_11:
	v_mov_b32_e32 v11, 0
	v_mov_b32_e32 v15, 0
	;; [unrolled: 1-line block ×4, first 2 shown]
	s_and_saveexec_b64 s[6:7], s[0:1]
	s_cbranch_execz .LBB164_15
; %bb.12:
	v_mov_b32_e32 v9, 0
	v_lshlrev_b32_e32 v8, 3, v6
	s_mov_b64 s[0:1], 0
	v_mov_b32_e32 v10, s11
	v_mov_b32_e32 v16, s13
	;; [unrolled: 1-line block ×7, first 2 shown]
.LBB164_13:                             ; =>This Inner Loop Header: Depth=1
	v_lshlrev_b64 v[18:19], 3, v[8:9]
	v_ashrrev_i32_e32 v7, 31, v6
	v_lshlrev_b64 v[20:21], 2, v[6:7]
	v_add_co_u32_e32 v38, vcc, s12, v18
	v_addc_co_u32_e32 v39, vcc, v16, v19, vcc
	v_add_co_u32_e32 v28, vcc, s10, v20
	v_addc_co_u32_e32 v29, vcc, v10, v21, vcc
	global_load_dwordx4 v[18:21], v[38:39], off
	global_load_dwordx4 v[22:25], v[38:39], off offset:16
	global_load_dword v7, v[28:29], off
	v_mov_b32_e32 v27, v9
	v_add_u32_e32 v6, 16, v6
	v_add_u32_e32 v8, 0x80, v8
	s_waitcnt vmcnt(0)
	v_subrev_u32_e32 v7, s2, v7
	v_lshlrev_b32_e32 v26, 2, v7
	v_lshlrev_b64 v[26:27], 3, v[26:27]
	v_add_co_u32_e32 v34, vcc, s14, v26
	v_addc_co_u32_e32 v35, vcc, v17, v27, vcc
	global_load_dwordx4 v[26:29], v[34:35], off
	global_load_dwordx4 v[30:33], v[34:35], off offset:16
	v_cmp_ge_i32_e32 vcc, v6, v12
	s_or_b64 s[0:1], vcc, s[0:1]
	s_waitcnt vmcnt(1)
	v_fmac_f32_e32 v15, v18, v26
	v_fmac_f32_e32 v11, v19, v26
	v_fma_f32 v7, -v19, v27, v15
	v_fmac_f32_e32 v11, v18, v27
	v_fmac_f32_e32 v7, v20, v28
	;; [unrolled: 1-line block ×3, first 2 shown]
	v_fma_f32 v7, -v21, v29, v7
	v_fmac_f32_e32 v11, v20, v29
	global_load_dwordx4 v[18:21], v[38:39], off offset:32
	global_load_dwordx4 v[34:37], v[38:39], off offset:48
	s_waitcnt vmcnt(2)
	v_fmac_f32_e32 v7, v22, v30
	v_fmac_f32_e32 v11, v23, v30
	v_fma_f32 v7, -v23, v31, v7
	v_fmac_f32_e32 v11, v22, v31
	v_fmac_f32_e32 v7, v24, v32
	v_fmac_f32_e32 v11, v25, v32
	v_fma_f32 v15, -v25, v33, v7
	v_fmac_f32_e32 v11, v24, v33
	s_waitcnt vmcnt(1)
	v_fmac_f32_e32 v14, v18, v26
	v_fmac_f32_e32 v13, v19, v26
	v_fma_f32 v14, -v19, v27, v14
	v_fmac_f32_e32 v13, v18, v27
	v_fmac_f32_e32 v14, v20, v28
	v_fmac_f32_e32 v13, v21, v28
	v_fma_f32 v14, -v21, v29, v14
	v_fmac_f32_e32 v13, v20, v29
	;; [unrolled: 9-line block ×3, first 2 shown]
	s_andn2_b64 exec, exec, s[0:1]
	s_cbranch_execnz .LBB164_13
; %bb.14:
	s_or_b64 exec, exec, s[0:1]
.LBB164_15:
	s_or_b64 exec, exec, s[6:7]
.LBB164_16:
	v_mov_b32_dpp v6, v15 row_shr:1 row_mask:0xf bank_mask:0xf
	v_mov_b32_dpp v8, v11 row_shr:1 row_mask:0xf bank_mask:0xf
	v_mov_b32_dpp v10, v14 row_shr:1 row_mask:0xf bank_mask:0xf
	v_mov_b32_dpp v12, v13 row_shr:1 row_mask:0xf bank_mask:0xf
	v_add_f32_e32 v6, v15, v6
	v_add_f32_e32 v8, v11, v8
	v_add_f32_e32 v10, v14, v10
	v_add_f32_e32 v12, v13, v12
	v_mov_b32_dpp v7, v6 row_shr:2 row_mask:0xf bank_mask:0xf
	v_mov_b32_dpp v9, v8 row_shr:2 row_mask:0xf bank_mask:0xf
	v_mov_b32_dpp v11, v10 row_shr:2 row_mask:0xf bank_mask:0xf
	v_mov_b32_dpp v13, v12 row_shr:2 row_mask:0xf bank_mask:0xf
	v_add_f32_e32 v6, v6, v7
	v_add_f32_e32 v8, v8, v9
	v_add_f32_e32 v10, v10, v11
	v_add_f32_e32 v12, v12, v13
	;; [unrolled: 8-line block ×3, first 2 shown]
	v_mov_b32_dpp v7, v6 row_shr:8 row_mask:0xf bank_mask:0xc
	v_mov_b32_dpp v9, v8 row_shr:8 row_mask:0xf bank_mask:0xc
	;; [unrolled: 1-line block ×4, first 2 shown]
	v_cmp_eq_u32_e32 vcc, 15, v0
	s_and_b64 exec, exec, vcc
	s_cbranch_execz .LBB164_21
; %bb.17:
	s_load_dwordx2 s[2:3], s[4:5], 0x38
	v_cmp_eq_f32_e32 vcc, 0, v3
	v_cmp_eq_f32_e64 s[0:1], 0, v4
	v_add_f32_e32 v7, v6, v7
	v_add_f32_e32 v8, v8, v9
	v_add_f32_e32 v0, v10, v11
	v_add_f32_e32 v6, v12, v13
	s_and_b64 s[0:1], vcc, s[0:1]
	s_and_saveexec_b64 s[4:5], s[0:1]
	s_xor_b64 s[0:1], exec, s[4:5]
	s_cbranch_execz .LBB164_19
; %bb.18:
	v_mul_f32_e64 v3, v8, -v2
	v_mul_f32_e32 v4, v1, v8
	v_fmac_f32_e32 v3, v1, v7
	v_fmac_f32_e32 v4, v2, v7
	v_lshlrev_b32_e32 v7, 1, v5
	v_ashrrev_i32_e32 v8, 31, v7
	v_lshlrev_b64 v[7:8], 3, v[7:8]
	s_waitcnt lgkmcnt(0)
	v_mov_b32_e32 v5, s3
	v_add_co_u32_e32 v7, vcc, s2, v7
	v_addc_co_u32_e32 v8, vcc, v5, v8, vcc
	v_mul_f32_e64 v5, v6, -v2
	v_mul_f32_e32 v6, v1, v6
	v_fmac_f32_e32 v5, v1, v0
	v_fmac_f32_e32 v6, v2, v0
	global_store_dwordx4 v[7:8], v[3:6], off
                                        ; implicit-def: $vgpr5
                                        ; implicit-def: $vgpr1_vgpr2
                                        ; implicit-def: $vgpr8
                                        ; implicit-def: $vgpr7
                                        ; implicit-def: $vgpr3_vgpr4
                                        ; implicit-def: $vgpr6
                                        ; implicit-def: $vgpr0
.LBB164_19:
	s_andn2_saveexec_b64 s[0:1], s[0:1]
	s_cbranch_execz .LBB164_21
; %bb.20:
	v_lshlrev_b32_e32 v9, 1, v5
	v_ashrrev_i32_e32 v10, 31, v9
	v_lshlrev_b64 v[9:10], 3, v[9:10]
	s_waitcnt lgkmcnt(0)
	v_mov_b32_e32 v5, s3
	v_add_co_u32_e32 v17, vcc, s2, v9
	v_addc_co_u32_e32 v18, vcc, v5, v10, vcc
	global_load_dwordx4 v[9:12], v[17:18], off
	v_mul_f32_e64 v5, v8, -v2
	v_mul_f32_e32 v14, v1, v8
	v_mul_f32_e64 v8, v6, -v2
	v_mul_f32_e32 v16, v1, v6
	v_fmac_f32_e32 v5, v1, v7
	v_fmac_f32_e32 v14, v2, v7
	;; [unrolled: 1-line block ×4, first 2 shown]
	s_waitcnt vmcnt(0)
	v_fmac_f32_e32 v5, v3, v9
	v_fmac_f32_e32 v14, v4, v9
	;; [unrolled: 1-line block ×4, first 2 shown]
	v_fma_f32 v13, -v4, v10, v5
	v_fmac_f32_e32 v14, v3, v10
	v_fma_f32 v15, -v4, v12, v8
	v_fmac_f32_e32 v16, v3, v12
	global_store_dwordx4 v[17:18], v[13:16], off
.LBB164_21:
	s_endpgm
	.section	.rodata,"a",@progbits
	.p2align	6, 0x0
	.amdhsa_kernel _ZN9rocsparseL19gebsrmvn_2xn_kernelILj128ELj4ELj16E21rocsparse_complex_numIfEEEvi20rocsparse_direction_NS_24const_host_device_scalarIT2_EEPKiS8_PKS5_SA_S6_PS5_21rocsparse_index_base_b
		.amdhsa_group_segment_fixed_size 0
		.amdhsa_private_segment_fixed_size 0
		.amdhsa_kernarg_size 72
		.amdhsa_user_sgpr_count 6
		.amdhsa_user_sgpr_private_segment_buffer 1
		.amdhsa_user_sgpr_dispatch_ptr 0
		.amdhsa_user_sgpr_queue_ptr 0
		.amdhsa_user_sgpr_kernarg_segment_ptr 1
		.amdhsa_user_sgpr_dispatch_id 0
		.amdhsa_user_sgpr_flat_scratch_init 0
		.amdhsa_user_sgpr_private_segment_size 0
		.amdhsa_uses_dynamic_stack 0
		.amdhsa_system_sgpr_private_segment_wavefront_offset 0
		.amdhsa_system_sgpr_workgroup_id_x 1
		.amdhsa_system_sgpr_workgroup_id_y 0
		.amdhsa_system_sgpr_workgroup_id_z 0
		.amdhsa_system_sgpr_workgroup_info 0
		.amdhsa_system_vgpr_workitem_id 0
		.amdhsa_next_free_vgpr 47
		.amdhsa_next_free_sgpr 16
		.amdhsa_reserve_vcc 1
		.amdhsa_reserve_flat_scratch 0
		.amdhsa_float_round_mode_32 0
		.amdhsa_float_round_mode_16_64 0
		.amdhsa_float_denorm_mode_32 3
		.amdhsa_float_denorm_mode_16_64 3
		.amdhsa_dx10_clamp 1
		.amdhsa_ieee_mode 1
		.amdhsa_fp16_overflow 0
		.amdhsa_exception_fp_ieee_invalid_op 0
		.amdhsa_exception_fp_denorm_src 0
		.amdhsa_exception_fp_ieee_div_zero 0
		.amdhsa_exception_fp_ieee_overflow 0
		.amdhsa_exception_fp_ieee_underflow 0
		.amdhsa_exception_fp_ieee_inexact 0
		.amdhsa_exception_int_div_zero 0
	.end_amdhsa_kernel
	.section	.text._ZN9rocsparseL19gebsrmvn_2xn_kernelILj128ELj4ELj16E21rocsparse_complex_numIfEEEvi20rocsparse_direction_NS_24const_host_device_scalarIT2_EEPKiS8_PKS5_SA_S6_PS5_21rocsparse_index_base_b,"axG",@progbits,_ZN9rocsparseL19gebsrmvn_2xn_kernelILj128ELj4ELj16E21rocsparse_complex_numIfEEEvi20rocsparse_direction_NS_24const_host_device_scalarIT2_EEPKiS8_PKS5_SA_S6_PS5_21rocsparse_index_base_b,comdat
.Lfunc_end164:
	.size	_ZN9rocsparseL19gebsrmvn_2xn_kernelILj128ELj4ELj16E21rocsparse_complex_numIfEEEvi20rocsparse_direction_NS_24const_host_device_scalarIT2_EEPKiS8_PKS5_SA_S6_PS5_21rocsparse_index_base_b, .Lfunc_end164-_ZN9rocsparseL19gebsrmvn_2xn_kernelILj128ELj4ELj16E21rocsparse_complex_numIfEEEvi20rocsparse_direction_NS_24const_host_device_scalarIT2_EEPKiS8_PKS5_SA_S6_PS5_21rocsparse_index_base_b
                                        ; -- End function
	.set _ZN9rocsparseL19gebsrmvn_2xn_kernelILj128ELj4ELj16E21rocsparse_complex_numIfEEEvi20rocsparse_direction_NS_24const_host_device_scalarIT2_EEPKiS8_PKS5_SA_S6_PS5_21rocsparse_index_base_b.num_vgpr, 47
	.set _ZN9rocsparseL19gebsrmvn_2xn_kernelILj128ELj4ELj16E21rocsparse_complex_numIfEEEvi20rocsparse_direction_NS_24const_host_device_scalarIT2_EEPKiS8_PKS5_SA_S6_PS5_21rocsparse_index_base_b.num_agpr, 0
	.set _ZN9rocsparseL19gebsrmvn_2xn_kernelILj128ELj4ELj16E21rocsparse_complex_numIfEEEvi20rocsparse_direction_NS_24const_host_device_scalarIT2_EEPKiS8_PKS5_SA_S6_PS5_21rocsparse_index_base_b.numbered_sgpr, 16
	.set _ZN9rocsparseL19gebsrmvn_2xn_kernelILj128ELj4ELj16E21rocsparse_complex_numIfEEEvi20rocsparse_direction_NS_24const_host_device_scalarIT2_EEPKiS8_PKS5_SA_S6_PS5_21rocsparse_index_base_b.num_named_barrier, 0
	.set _ZN9rocsparseL19gebsrmvn_2xn_kernelILj128ELj4ELj16E21rocsparse_complex_numIfEEEvi20rocsparse_direction_NS_24const_host_device_scalarIT2_EEPKiS8_PKS5_SA_S6_PS5_21rocsparse_index_base_b.private_seg_size, 0
	.set _ZN9rocsparseL19gebsrmvn_2xn_kernelILj128ELj4ELj16E21rocsparse_complex_numIfEEEvi20rocsparse_direction_NS_24const_host_device_scalarIT2_EEPKiS8_PKS5_SA_S6_PS5_21rocsparse_index_base_b.uses_vcc, 1
	.set _ZN9rocsparseL19gebsrmvn_2xn_kernelILj128ELj4ELj16E21rocsparse_complex_numIfEEEvi20rocsparse_direction_NS_24const_host_device_scalarIT2_EEPKiS8_PKS5_SA_S6_PS5_21rocsparse_index_base_b.uses_flat_scratch, 0
	.set _ZN9rocsparseL19gebsrmvn_2xn_kernelILj128ELj4ELj16E21rocsparse_complex_numIfEEEvi20rocsparse_direction_NS_24const_host_device_scalarIT2_EEPKiS8_PKS5_SA_S6_PS5_21rocsparse_index_base_b.has_dyn_sized_stack, 0
	.set _ZN9rocsparseL19gebsrmvn_2xn_kernelILj128ELj4ELj16E21rocsparse_complex_numIfEEEvi20rocsparse_direction_NS_24const_host_device_scalarIT2_EEPKiS8_PKS5_SA_S6_PS5_21rocsparse_index_base_b.has_recursion, 0
	.set _ZN9rocsparseL19gebsrmvn_2xn_kernelILj128ELj4ELj16E21rocsparse_complex_numIfEEEvi20rocsparse_direction_NS_24const_host_device_scalarIT2_EEPKiS8_PKS5_SA_S6_PS5_21rocsparse_index_base_b.has_indirect_call, 0
	.section	.AMDGPU.csdata,"",@progbits
; Kernel info:
; codeLenInByte = 1544
; TotalNumSgprs: 20
; NumVgprs: 47
; ScratchSize: 0
; MemoryBound: 0
; FloatMode: 240
; IeeeMode: 1
; LDSByteSize: 0 bytes/workgroup (compile time only)
; SGPRBlocks: 2
; VGPRBlocks: 11
; NumSGPRsForWavesPerEU: 20
; NumVGPRsForWavesPerEU: 47
; Occupancy: 5
; WaveLimiterHint : 1
; COMPUTE_PGM_RSRC2:SCRATCH_EN: 0
; COMPUTE_PGM_RSRC2:USER_SGPR: 6
; COMPUTE_PGM_RSRC2:TRAP_HANDLER: 0
; COMPUTE_PGM_RSRC2:TGID_X_EN: 1
; COMPUTE_PGM_RSRC2:TGID_Y_EN: 0
; COMPUTE_PGM_RSRC2:TGID_Z_EN: 0
; COMPUTE_PGM_RSRC2:TIDIG_COMP_CNT: 0
	.section	.text._ZN9rocsparseL19gebsrmvn_2xn_kernelILj128ELj4ELj32E21rocsparse_complex_numIfEEEvi20rocsparse_direction_NS_24const_host_device_scalarIT2_EEPKiS8_PKS5_SA_S6_PS5_21rocsparse_index_base_b,"axG",@progbits,_ZN9rocsparseL19gebsrmvn_2xn_kernelILj128ELj4ELj32E21rocsparse_complex_numIfEEEvi20rocsparse_direction_NS_24const_host_device_scalarIT2_EEPKiS8_PKS5_SA_S6_PS5_21rocsparse_index_base_b,comdat
	.globl	_ZN9rocsparseL19gebsrmvn_2xn_kernelILj128ELj4ELj32E21rocsparse_complex_numIfEEEvi20rocsparse_direction_NS_24const_host_device_scalarIT2_EEPKiS8_PKS5_SA_S6_PS5_21rocsparse_index_base_b ; -- Begin function _ZN9rocsparseL19gebsrmvn_2xn_kernelILj128ELj4ELj32E21rocsparse_complex_numIfEEEvi20rocsparse_direction_NS_24const_host_device_scalarIT2_EEPKiS8_PKS5_SA_S6_PS5_21rocsparse_index_base_b
	.p2align	8
	.type	_ZN9rocsparseL19gebsrmvn_2xn_kernelILj128ELj4ELj32E21rocsparse_complex_numIfEEEvi20rocsparse_direction_NS_24const_host_device_scalarIT2_EEPKiS8_PKS5_SA_S6_PS5_21rocsparse_index_base_b,@function
_ZN9rocsparseL19gebsrmvn_2xn_kernelILj128ELj4ELj32E21rocsparse_complex_numIfEEEvi20rocsparse_direction_NS_24const_host_device_scalarIT2_EEPKiS8_PKS5_SA_S6_PS5_21rocsparse_index_base_b: ; @_ZN9rocsparseL19gebsrmvn_2xn_kernelILj128ELj4ELj32E21rocsparse_complex_numIfEEEvi20rocsparse_direction_NS_24const_host_device_scalarIT2_EEPKiS8_PKS5_SA_S6_PS5_21rocsparse_index_base_b
; %bb.0:
	s_load_dwordx2 s[0:1], s[4:5], 0x8
	s_load_dwordx2 s[8:9], s[4:5], 0x30
	;; [unrolled: 1-line block ×3, first 2 shown]
	s_add_u32 s7, s4, 8
	s_addc_u32 s10, s5, 0
	s_add_u32 s11, s4, 48
	s_addc_u32 s12, s5, 0
	s_waitcnt lgkmcnt(0)
	s_bitcmp1_b32 s3, 0
	s_cselect_b32 s1, s10, s1
	s_cselect_b32 s0, s7, s0
	v_mov_b32_e32 v1, s0
	v_mov_b32_e32 v2, s1
	flat_load_dwordx2 v[1:2], v[1:2]
	s_cselect_b32 s0, s12, s9
	s_cselect_b32 s1, s11, s8
	v_mov_b32_e32 v3, s1
	v_mov_b32_e32 v4, s0
	flat_load_dwordx2 v[3:4], v[3:4]
	s_waitcnt vmcnt(0) lgkmcnt(0)
	v_cmp_eq_f32_e32 vcc, 0, v1
	v_cmp_eq_f32_e64 s[0:1], 0, v2
	s_and_b64 s[10:11], vcc, s[0:1]
	s_mov_b64 s[0:1], -1
	s_and_saveexec_b64 s[8:9], s[10:11]
; %bb.1:
	v_cmp_neq_f32_e32 vcc, 1.0, v3
	v_cmp_neq_f32_e64 s[0:1], 0, v4
	s_or_b64 s[0:1], vcc, s[0:1]
	s_orn2_b64 s[0:1], s[0:1], exec
; %bb.2:
	s_or_b64 exec, exec, s[8:9]
	s_and_saveexec_b64 s[8:9], s[0:1]
	s_cbranch_execz .LBB165_21
; %bb.3:
	s_load_dwordx2 s[0:1], s[4:5], 0x0
	v_lshrrev_b32_e32 v5, 5, v0
	v_lshl_or_b32 v5, s6, 2, v5
	s_waitcnt lgkmcnt(0)
	v_cmp_gt_i32_e32 vcc, s0, v5
	s_and_b64 exec, exec, vcc
	s_cbranch_execz .LBB165_21
; %bb.4:
	s_load_dwordx8 s[8:15], s[4:5], 0x10
	v_ashrrev_i32_e32 v6, 31, v5
	v_lshlrev_b64 v[6:7], 2, v[5:6]
	v_and_b32_e32 v0, 31, v0
	s_cmp_lg_u32 s1, 0
	s_waitcnt lgkmcnt(0)
	v_mov_b32_e32 v8, s9
	v_add_co_u32_e32 v6, vcc, s8, v6
	v_addc_co_u32_e32 v7, vcc, v8, v7, vcc
	global_load_dwordx2 v[6:7], v[6:7], off
	s_waitcnt vmcnt(0)
	v_subrev_u32_e32 v6, s2, v6
	v_subrev_u32_e32 v13, s2, v7
	v_add_u32_e32 v6, v6, v0
	v_cmp_lt_i32_e64 s[0:1], v6, v13
	s_cbranch_scc0 .LBB165_10
; %bb.5:
	v_mov_b32_e32 v12, 0
	v_mov_b32_e32 v15, 0
	;; [unrolled: 1-line block ×4, first 2 shown]
	s_and_saveexec_b64 s[6:7], s[0:1]
	s_cbranch_execz .LBB165_9
; %bb.6:
	v_mov_b32_e32 v8, 0
	v_lshlrev_b32_e32 v7, 3, v6
	s_mov_b64 s[8:9], 0
	v_mov_b32_e32 v16, s11
	v_mov_b32_e32 v17, s13
	;; [unrolled: 1-line block ×8, first 2 shown]
.LBB165_7:                              ; =>This Inner Loop Header: Depth=1
	v_ashrrev_i32_e32 v10, 31, v9
	v_lshlrev_b64 v[19:20], 2, v[9:10]
	v_mov_b32_e32 v32, v8
	v_add_co_u32_e32 v19, vcc, s10, v19
	v_addc_co_u32_e32 v20, vcc, v16, v20, vcc
	global_load_dword v10, v[19:20], off
	v_lshlrev_b64 v[19:20], 3, v[7:8]
	v_add_u32_e32 v9, 32, v9
	v_add_co_u32_e32 v43, vcc, s12, v19
	v_addc_co_u32_e32 v44, vcc, v17, v20, vcc
	global_load_dwordx4 v[19:22], v[43:44], off
	global_load_dwordx4 v[23:26], v[43:44], off offset:16
	global_load_dwordx4 v[27:30], v[43:44], off offset:32
	v_add_u32_e32 v7, 0x100, v7
	s_waitcnt vmcnt(3)
	v_subrev_u32_e32 v10, s2, v10
	v_lshlrev_b32_e32 v31, 2, v10
	v_lshlrev_b64 v[31:32], 3, v[31:32]
	v_add_co_u32_e32 v45, vcc, s14, v31
	v_addc_co_u32_e32 v46, vcc, v18, v32, vcc
	global_load_dwordx4 v[31:34], v[45:46], off
	global_load_dwordx4 v[35:38], v[45:46], off offset:16
	global_load_dwordx4 v[39:42], v[43:44], off offset:48
	v_cmp_ge_i32_e32 vcc, v9, v13
	s_or_b64 s[8:9], vcc, s[8:9]
	s_waitcnt vmcnt(2)
	v_fmac_f32_e32 v15, v19, v31
	v_fmac_f32_e32 v12, v20, v31
	;; [unrolled: 1-line block ×4, first 2 shown]
	v_fma_f32 v10, -v20, v32, v15
	v_fmac_f32_e32 v12, v19, v32
	v_fma_f32 v14, -v22, v32, v14
	v_fmac_f32_e32 v11, v21, v32
	v_fmac_f32_e32 v10, v23, v33
	;; [unrolled: 1-line block ×5, first 2 shown]
	v_fma_f32 v10, -v24, v34, v10
	v_fmac_f32_e32 v12, v23, v34
	v_fma_f32 v14, -v26, v34, v14
	v_fmac_f32_e32 v11, v25, v34
	s_waitcnt vmcnt(1)
	v_fmac_f32_e32 v10, v27, v35
	v_fmac_f32_e32 v12, v28, v35
	;; [unrolled: 1-line block ×4, first 2 shown]
	v_fma_f32 v10, -v28, v36, v10
	v_fmac_f32_e32 v12, v27, v36
	v_fma_f32 v14, -v30, v36, v14
	v_fmac_f32_e32 v11, v29, v36
	s_waitcnt vmcnt(0)
	v_fmac_f32_e32 v10, v39, v37
	v_fmac_f32_e32 v12, v40, v37
	;; [unrolled: 1-line block ×4, first 2 shown]
	v_fma_f32 v15, -v40, v38, v10
	v_fmac_f32_e32 v12, v39, v38
	v_fma_f32 v14, -v42, v38, v14
	v_fmac_f32_e32 v11, v41, v38
	s_andn2_b64 exec, exec, s[8:9]
	s_cbranch_execnz .LBB165_7
; %bb.8:
	s_or_b64 exec, exec, s[8:9]
.LBB165_9:
	s_or_b64 exec, exec, s[6:7]
	s_cbranch_execz .LBB165_11
	s_branch .LBB165_16
.LBB165_10:
                                        ; implicit-def: $vgpr12
                                        ; implicit-def: $vgpr15
                                        ; implicit-def: $vgpr14
                                        ; implicit-def: $vgpr11
.LBB165_11:
	v_mov_b32_e32 v12, 0
	v_mov_b32_e32 v15, 0
	;; [unrolled: 1-line block ×4, first 2 shown]
	s_and_saveexec_b64 s[6:7], s[0:1]
	s_cbranch_execz .LBB165_15
; %bb.12:
	v_mov_b32_e32 v9, 0
	v_lshlrev_b32_e32 v8, 3, v6
	s_mov_b64 s[0:1], 0
	v_mov_b32_e32 v10, s11
	v_mov_b32_e32 v16, s13
	;; [unrolled: 1-line block ×7, first 2 shown]
.LBB165_13:                             ; =>This Inner Loop Header: Depth=1
	v_lshlrev_b64 v[18:19], 3, v[8:9]
	v_ashrrev_i32_e32 v7, 31, v6
	v_lshlrev_b64 v[20:21], 2, v[6:7]
	v_add_co_u32_e32 v38, vcc, s12, v18
	v_addc_co_u32_e32 v39, vcc, v16, v19, vcc
	v_add_co_u32_e32 v28, vcc, s10, v20
	v_addc_co_u32_e32 v29, vcc, v10, v21, vcc
	global_load_dwordx4 v[18:21], v[38:39], off
	global_load_dwordx4 v[22:25], v[38:39], off offset:16
	global_load_dword v7, v[28:29], off
	v_mov_b32_e32 v27, v9
	v_add_u32_e32 v6, 32, v6
	v_add_u32_e32 v8, 0x100, v8
	s_waitcnt vmcnt(0)
	v_subrev_u32_e32 v7, s2, v7
	v_lshlrev_b32_e32 v26, 2, v7
	v_lshlrev_b64 v[26:27], 3, v[26:27]
	v_add_co_u32_e32 v34, vcc, s14, v26
	v_addc_co_u32_e32 v35, vcc, v17, v27, vcc
	global_load_dwordx4 v[26:29], v[34:35], off
	global_load_dwordx4 v[30:33], v[34:35], off offset:16
	v_cmp_ge_i32_e32 vcc, v6, v13
	s_or_b64 s[0:1], vcc, s[0:1]
	s_waitcnt vmcnt(1)
	v_fmac_f32_e32 v15, v18, v26
	v_fmac_f32_e32 v12, v19, v26
	v_fma_f32 v7, -v19, v27, v15
	v_fmac_f32_e32 v12, v18, v27
	v_fmac_f32_e32 v7, v20, v28
	v_fmac_f32_e32 v12, v21, v28
	v_fma_f32 v7, -v21, v29, v7
	v_fmac_f32_e32 v12, v20, v29
	global_load_dwordx4 v[18:21], v[38:39], off offset:32
	global_load_dwordx4 v[34:37], v[38:39], off offset:48
	s_waitcnt vmcnt(2)
	v_fmac_f32_e32 v7, v22, v30
	v_fmac_f32_e32 v12, v23, v30
	v_fma_f32 v7, -v23, v31, v7
	v_fmac_f32_e32 v12, v22, v31
	v_fmac_f32_e32 v7, v24, v32
	v_fmac_f32_e32 v12, v25, v32
	v_fma_f32 v15, -v25, v33, v7
	v_fmac_f32_e32 v12, v24, v33
	s_waitcnt vmcnt(1)
	v_fmac_f32_e32 v14, v18, v26
	v_fmac_f32_e32 v11, v19, v26
	v_fma_f32 v14, -v19, v27, v14
	v_fmac_f32_e32 v11, v18, v27
	v_fmac_f32_e32 v14, v20, v28
	v_fmac_f32_e32 v11, v21, v28
	v_fma_f32 v14, -v21, v29, v14
	v_fmac_f32_e32 v11, v20, v29
	;; [unrolled: 9-line block ×3, first 2 shown]
	s_andn2_b64 exec, exec, s[0:1]
	s_cbranch_execnz .LBB165_13
; %bb.14:
	s_or_b64 exec, exec, s[0:1]
.LBB165_15:
	s_or_b64 exec, exec, s[6:7]
.LBB165_16:
	v_mov_b32_dpp v6, v15 row_shr:1 row_mask:0xf bank_mask:0xf
	v_mov_b32_dpp v8, v12 row_shr:1 row_mask:0xf bank_mask:0xf
	v_mov_b32_dpp v10, v14 row_shr:1 row_mask:0xf bank_mask:0xf
	v_mov_b32_dpp v13, v11 row_shr:1 row_mask:0xf bank_mask:0xf
	v_add_f32_e32 v6, v15, v6
	v_add_f32_e32 v8, v12, v8
	v_add_f32_e32 v10, v14, v10
	v_add_f32_e32 v11, v11, v13
	v_mov_b32_dpp v7, v6 row_shr:2 row_mask:0xf bank_mask:0xf
	v_mov_b32_dpp v9, v8 row_shr:2 row_mask:0xf bank_mask:0xf
	v_mov_b32_dpp v12, v10 row_shr:2 row_mask:0xf bank_mask:0xf
	v_mov_b32_dpp v13, v11 row_shr:2 row_mask:0xf bank_mask:0xf
	v_add_f32_e32 v6, v6, v7
	v_add_f32_e32 v8, v8, v9
	v_add_f32_e32 v10, v10, v12
	v_add_f32_e32 v11, v11, v13
	v_mov_b32_dpp v7, v6 row_shr:4 row_mask:0xf bank_mask:0xe
	v_mov_b32_dpp v9, v8 row_shr:4 row_mask:0xf bank_mask:0xe
	v_mov_b32_dpp v12, v10 row_shr:4 row_mask:0xf bank_mask:0xe
	v_mov_b32_dpp v13, v11 row_shr:4 row_mask:0xf bank_mask:0xe
	v_add_f32_e32 v6, v6, v7
	v_add_f32_e32 v8, v8, v9
	v_add_f32_e32 v10, v10, v12
	v_add_f32_e32 v11, v11, v13
	v_mov_b32_dpp v7, v6 row_shr:8 row_mask:0xf bank_mask:0xc
	v_mov_b32_dpp v9, v8 row_shr:8 row_mask:0xf bank_mask:0xc
	v_mov_b32_dpp v12, v10 row_shr:8 row_mask:0xf bank_mask:0xc
	v_mov_b32_dpp v13, v11 row_shr:8 row_mask:0xf bank_mask:0xc
	v_add_f32_e32 v6, v6, v7
	v_add_f32_e32 v8, v8, v9
	v_add_f32_e32 v10, v10, v12
	v_add_f32_e32 v11, v11, v13
	v_mov_b32_dpp v7, v6 row_bcast:15 row_mask:0xa bank_mask:0xf
	v_mov_b32_dpp v9, v8 row_bcast:15 row_mask:0xa bank_mask:0xf
	;; [unrolled: 1-line block ×4, first 2 shown]
	v_cmp_eq_u32_e32 vcc, 31, v0
	s_and_b64 exec, exec, vcc
	s_cbranch_execz .LBB165_21
; %bb.17:
	s_load_dwordx2 s[2:3], s[4:5], 0x38
	v_cmp_eq_f32_e32 vcc, 0, v3
	v_cmp_eq_f32_e64 s[0:1], 0, v4
	v_add_f32_e32 v7, v6, v7
	v_add_f32_e32 v8, v8, v9
	;; [unrolled: 1-line block ×4, first 2 shown]
	s_and_b64 s[0:1], vcc, s[0:1]
	s_and_saveexec_b64 s[4:5], s[0:1]
	s_xor_b64 s[0:1], exec, s[4:5]
	s_cbranch_execz .LBB165_19
; %bb.18:
	v_mul_f32_e64 v3, v8, -v2
	v_mul_f32_e32 v4, v1, v8
	v_fmac_f32_e32 v3, v1, v7
	v_fmac_f32_e32 v4, v2, v7
	v_lshlrev_b32_e32 v7, 1, v5
	v_ashrrev_i32_e32 v8, 31, v7
	v_lshlrev_b64 v[7:8], 3, v[7:8]
	s_waitcnt lgkmcnt(0)
	v_mov_b32_e32 v5, s3
	v_add_co_u32_e32 v7, vcc, s2, v7
	v_addc_co_u32_e32 v8, vcc, v5, v8, vcc
	v_mul_f32_e64 v5, v6, -v2
	v_mul_f32_e32 v6, v1, v6
	v_fmac_f32_e32 v5, v1, v0
	v_fmac_f32_e32 v6, v2, v0
	global_store_dwordx4 v[7:8], v[3:6], off
                                        ; implicit-def: $vgpr5
                                        ; implicit-def: $vgpr1_vgpr2
                                        ; implicit-def: $vgpr8
                                        ; implicit-def: $vgpr7
                                        ; implicit-def: $vgpr3_vgpr4
                                        ; implicit-def: $vgpr6
                                        ; implicit-def: $vgpr0
.LBB165_19:
	s_andn2_saveexec_b64 s[0:1], s[0:1]
	s_cbranch_execz .LBB165_21
; %bb.20:
	v_lshlrev_b32_e32 v9, 1, v5
	v_ashrrev_i32_e32 v10, 31, v9
	v_lshlrev_b64 v[9:10], 3, v[9:10]
	s_waitcnt lgkmcnt(0)
	v_mov_b32_e32 v5, s3
	v_add_co_u32_e32 v17, vcc, s2, v9
	v_addc_co_u32_e32 v18, vcc, v5, v10, vcc
	global_load_dwordx4 v[9:12], v[17:18], off
	v_mul_f32_e64 v5, v8, -v2
	v_mul_f32_e32 v14, v1, v8
	v_mul_f32_e64 v8, v6, -v2
	v_mul_f32_e32 v16, v1, v6
	v_fmac_f32_e32 v5, v1, v7
	v_fmac_f32_e32 v14, v2, v7
	;; [unrolled: 1-line block ×4, first 2 shown]
	s_waitcnt vmcnt(0)
	v_fmac_f32_e32 v5, v3, v9
	v_fmac_f32_e32 v14, v4, v9
	;; [unrolled: 1-line block ×4, first 2 shown]
	v_fma_f32 v13, -v4, v10, v5
	v_fmac_f32_e32 v14, v3, v10
	v_fma_f32 v15, -v4, v12, v8
	v_fmac_f32_e32 v16, v3, v12
	global_store_dwordx4 v[17:18], v[13:16], off
.LBB165_21:
	s_endpgm
	.section	.rodata,"a",@progbits
	.p2align	6, 0x0
	.amdhsa_kernel _ZN9rocsparseL19gebsrmvn_2xn_kernelILj128ELj4ELj32E21rocsparse_complex_numIfEEEvi20rocsparse_direction_NS_24const_host_device_scalarIT2_EEPKiS8_PKS5_SA_S6_PS5_21rocsparse_index_base_b
		.amdhsa_group_segment_fixed_size 0
		.amdhsa_private_segment_fixed_size 0
		.amdhsa_kernarg_size 72
		.amdhsa_user_sgpr_count 6
		.amdhsa_user_sgpr_private_segment_buffer 1
		.amdhsa_user_sgpr_dispatch_ptr 0
		.amdhsa_user_sgpr_queue_ptr 0
		.amdhsa_user_sgpr_kernarg_segment_ptr 1
		.amdhsa_user_sgpr_dispatch_id 0
		.amdhsa_user_sgpr_flat_scratch_init 0
		.amdhsa_user_sgpr_private_segment_size 0
		.amdhsa_uses_dynamic_stack 0
		.amdhsa_system_sgpr_private_segment_wavefront_offset 0
		.amdhsa_system_sgpr_workgroup_id_x 1
		.amdhsa_system_sgpr_workgroup_id_y 0
		.amdhsa_system_sgpr_workgroup_id_z 0
		.amdhsa_system_sgpr_workgroup_info 0
		.amdhsa_system_vgpr_workitem_id 0
		.amdhsa_next_free_vgpr 47
		.amdhsa_next_free_sgpr 16
		.amdhsa_reserve_vcc 1
		.amdhsa_reserve_flat_scratch 0
		.amdhsa_float_round_mode_32 0
		.amdhsa_float_round_mode_16_64 0
		.amdhsa_float_denorm_mode_32 3
		.amdhsa_float_denorm_mode_16_64 3
		.amdhsa_dx10_clamp 1
		.amdhsa_ieee_mode 1
		.amdhsa_fp16_overflow 0
		.amdhsa_exception_fp_ieee_invalid_op 0
		.amdhsa_exception_fp_denorm_src 0
		.amdhsa_exception_fp_ieee_div_zero 0
		.amdhsa_exception_fp_ieee_overflow 0
		.amdhsa_exception_fp_ieee_underflow 0
		.amdhsa_exception_fp_ieee_inexact 0
		.amdhsa_exception_int_div_zero 0
	.end_amdhsa_kernel
	.section	.text._ZN9rocsparseL19gebsrmvn_2xn_kernelILj128ELj4ELj32E21rocsparse_complex_numIfEEEvi20rocsparse_direction_NS_24const_host_device_scalarIT2_EEPKiS8_PKS5_SA_S6_PS5_21rocsparse_index_base_b,"axG",@progbits,_ZN9rocsparseL19gebsrmvn_2xn_kernelILj128ELj4ELj32E21rocsparse_complex_numIfEEEvi20rocsparse_direction_NS_24const_host_device_scalarIT2_EEPKiS8_PKS5_SA_S6_PS5_21rocsparse_index_base_b,comdat
.Lfunc_end165:
	.size	_ZN9rocsparseL19gebsrmvn_2xn_kernelILj128ELj4ELj32E21rocsparse_complex_numIfEEEvi20rocsparse_direction_NS_24const_host_device_scalarIT2_EEPKiS8_PKS5_SA_S6_PS5_21rocsparse_index_base_b, .Lfunc_end165-_ZN9rocsparseL19gebsrmvn_2xn_kernelILj128ELj4ELj32E21rocsparse_complex_numIfEEEvi20rocsparse_direction_NS_24const_host_device_scalarIT2_EEPKiS8_PKS5_SA_S6_PS5_21rocsparse_index_base_b
                                        ; -- End function
	.set _ZN9rocsparseL19gebsrmvn_2xn_kernelILj128ELj4ELj32E21rocsparse_complex_numIfEEEvi20rocsparse_direction_NS_24const_host_device_scalarIT2_EEPKiS8_PKS5_SA_S6_PS5_21rocsparse_index_base_b.num_vgpr, 47
	.set _ZN9rocsparseL19gebsrmvn_2xn_kernelILj128ELj4ELj32E21rocsparse_complex_numIfEEEvi20rocsparse_direction_NS_24const_host_device_scalarIT2_EEPKiS8_PKS5_SA_S6_PS5_21rocsparse_index_base_b.num_agpr, 0
	.set _ZN9rocsparseL19gebsrmvn_2xn_kernelILj128ELj4ELj32E21rocsparse_complex_numIfEEEvi20rocsparse_direction_NS_24const_host_device_scalarIT2_EEPKiS8_PKS5_SA_S6_PS5_21rocsparse_index_base_b.numbered_sgpr, 16
	.set _ZN9rocsparseL19gebsrmvn_2xn_kernelILj128ELj4ELj32E21rocsparse_complex_numIfEEEvi20rocsparse_direction_NS_24const_host_device_scalarIT2_EEPKiS8_PKS5_SA_S6_PS5_21rocsparse_index_base_b.num_named_barrier, 0
	.set _ZN9rocsparseL19gebsrmvn_2xn_kernelILj128ELj4ELj32E21rocsparse_complex_numIfEEEvi20rocsparse_direction_NS_24const_host_device_scalarIT2_EEPKiS8_PKS5_SA_S6_PS5_21rocsparse_index_base_b.private_seg_size, 0
	.set _ZN9rocsparseL19gebsrmvn_2xn_kernelILj128ELj4ELj32E21rocsparse_complex_numIfEEEvi20rocsparse_direction_NS_24const_host_device_scalarIT2_EEPKiS8_PKS5_SA_S6_PS5_21rocsparse_index_base_b.uses_vcc, 1
	.set _ZN9rocsparseL19gebsrmvn_2xn_kernelILj128ELj4ELj32E21rocsparse_complex_numIfEEEvi20rocsparse_direction_NS_24const_host_device_scalarIT2_EEPKiS8_PKS5_SA_S6_PS5_21rocsparse_index_base_b.uses_flat_scratch, 0
	.set _ZN9rocsparseL19gebsrmvn_2xn_kernelILj128ELj4ELj32E21rocsparse_complex_numIfEEEvi20rocsparse_direction_NS_24const_host_device_scalarIT2_EEPKiS8_PKS5_SA_S6_PS5_21rocsparse_index_base_b.has_dyn_sized_stack, 0
	.set _ZN9rocsparseL19gebsrmvn_2xn_kernelILj128ELj4ELj32E21rocsparse_complex_numIfEEEvi20rocsparse_direction_NS_24const_host_device_scalarIT2_EEPKiS8_PKS5_SA_S6_PS5_21rocsparse_index_base_b.has_recursion, 0
	.set _ZN9rocsparseL19gebsrmvn_2xn_kernelILj128ELj4ELj32E21rocsparse_complex_numIfEEEvi20rocsparse_direction_NS_24const_host_device_scalarIT2_EEPKiS8_PKS5_SA_S6_PS5_21rocsparse_index_base_b.has_indirect_call, 0
	.section	.AMDGPU.csdata,"",@progbits
; Kernel info:
; codeLenInByte = 1592
; TotalNumSgprs: 20
; NumVgprs: 47
; ScratchSize: 0
; MemoryBound: 0
; FloatMode: 240
; IeeeMode: 1
; LDSByteSize: 0 bytes/workgroup (compile time only)
; SGPRBlocks: 2
; VGPRBlocks: 11
; NumSGPRsForWavesPerEU: 20
; NumVGPRsForWavesPerEU: 47
; Occupancy: 5
; WaveLimiterHint : 1
; COMPUTE_PGM_RSRC2:SCRATCH_EN: 0
; COMPUTE_PGM_RSRC2:USER_SGPR: 6
; COMPUTE_PGM_RSRC2:TRAP_HANDLER: 0
; COMPUTE_PGM_RSRC2:TGID_X_EN: 1
; COMPUTE_PGM_RSRC2:TGID_Y_EN: 0
; COMPUTE_PGM_RSRC2:TGID_Z_EN: 0
; COMPUTE_PGM_RSRC2:TIDIG_COMP_CNT: 0
	.section	.text._ZN9rocsparseL19gebsrmvn_2xn_kernelILj128ELj4ELj64E21rocsparse_complex_numIfEEEvi20rocsparse_direction_NS_24const_host_device_scalarIT2_EEPKiS8_PKS5_SA_S6_PS5_21rocsparse_index_base_b,"axG",@progbits,_ZN9rocsparseL19gebsrmvn_2xn_kernelILj128ELj4ELj64E21rocsparse_complex_numIfEEEvi20rocsparse_direction_NS_24const_host_device_scalarIT2_EEPKiS8_PKS5_SA_S6_PS5_21rocsparse_index_base_b,comdat
	.globl	_ZN9rocsparseL19gebsrmvn_2xn_kernelILj128ELj4ELj64E21rocsparse_complex_numIfEEEvi20rocsparse_direction_NS_24const_host_device_scalarIT2_EEPKiS8_PKS5_SA_S6_PS5_21rocsparse_index_base_b ; -- Begin function _ZN9rocsparseL19gebsrmvn_2xn_kernelILj128ELj4ELj64E21rocsparse_complex_numIfEEEvi20rocsparse_direction_NS_24const_host_device_scalarIT2_EEPKiS8_PKS5_SA_S6_PS5_21rocsparse_index_base_b
	.p2align	8
	.type	_ZN9rocsparseL19gebsrmvn_2xn_kernelILj128ELj4ELj64E21rocsparse_complex_numIfEEEvi20rocsparse_direction_NS_24const_host_device_scalarIT2_EEPKiS8_PKS5_SA_S6_PS5_21rocsparse_index_base_b,@function
_ZN9rocsparseL19gebsrmvn_2xn_kernelILj128ELj4ELj64E21rocsparse_complex_numIfEEEvi20rocsparse_direction_NS_24const_host_device_scalarIT2_EEPKiS8_PKS5_SA_S6_PS5_21rocsparse_index_base_b: ; @_ZN9rocsparseL19gebsrmvn_2xn_kernelILj128ELj4ELj64E21rocsparse_complex_numIfEEEvi20rocsparse_direction_NS_24const_host_device_scalarIT2_EEPKiS8_PKS5_SA_S6_PS5_21rocsparse_index_base_b
; %bb.0:
	s_load_dwordx2 s[0:1], s[4:5], 0x8
	s_load_dwordx2 s[8:9], s[4:5], 0x30
	;; [unrolled: 1-line block ×3, first 2 shown]
	s_add_u32 s7, s4, 8
	s_addc_u32 s10, s5, 0
	s_add_u32 s11, s4, 48
	s_addc_u32 s12, s5, 0
	s_waitcnt lgkmcnt(0)
	s_bitcmp1_b32 s3, 0
	s_cselect_b32 s1, s10, s1
	s_cselect_b32 s0, s7, s0
	v_mov_b32_e32 v1, s0
	v_mov_b32_e32 v2, s1
	flat_load_dwordx2 v[1:2], v[1:2]
	s_cselect_b32 s0, s12, s9
	s_cselect_b32 s1, s11, s8
	v_mov_b32_e32 v3, s1
	v_mov_b32_e32 v4, s0
	flat_load_dwordx2 v[3:4], v[3:4]
	s_waitcnt vmcnt(0) lgkmcnt(0)
	v_cmp_eq_f32_e32 vcc, 0, v1
	v_cmp_eq_f32_e64 s[0:1], 0, v2
	s_and_b64 s[10:11], vcc, s[0:1]
	s_mov_b64 s[0:1], -1
	s_and_saveexec_b64 s[8:9], s[10:11]
; %bb.1:
	v_cmp_neq_f32_e32 vcc, 1.0, v3
	v_cmp_neq_f32_e64 s[0:1], 0, v4
	s_or_b64 s[0:1], vcc, s[0:1]
	s_orn2_b64 s[0:1], s[0:1], exec
; %bb.2:
	s_or_b64 exec, exec, s[8:9]
	s_and_saveexec_b64 s[8:9], s[0:1]
	s_cbranch_execz .LBB166_21
; %bb.3:
	s_load_dwordx2 s[0:1], s[4:5], 0x0
	v_lshrrev_b32_e32 v5, 6, v0
	v_lshl_or_b32 v5, s6, 1, v5
	s_waitcnt lgkmcnt(0)
	v_cmp_gt_i32_e32 vcc, s0, v5
	s_and_b64 exec, exec, vcc
	s_cbranch_execz .LBB166_21
; %bb.4:
	s_load_dwordx8 s[8:15], s[4:5], 0x10
	v_ashrrev_i32_e32 v6, 31, v5
	v_lshlrev_b64 v[6:7], 2, v[5:6]
	v_and_b32_e32 v0, 63, v0
	s_cmp_lg_u32 s1, 0
	s_waitcnt lgkmcnt(0)
	v_mov_b32_e32 v8, s9
	v_add_co_u32_e32 v6, vcc, s8, v6
	v_addc_co_u32_e32 v7, vcc, v8, v7, vcc
	global_load_dwordx2 v[6:7], v[6:7], off
	s_waitcnt vmcnt(0)
	v_subrev_u32_e32 v6, s2, v6
	v_subrev_u32_e32 v13, s2, v7
	v_add_u32_e32 v6, v6, v0
	v_cmp_lt_i32_e64 s[0:1], v6, v13
	s_cbranch_scc0 .LBB166_10
; %bb.5:
	v_mov_b32_e32 v12, 0
	v_mov_b32_e32 v15, 0
	v_mov_b32_e32 v14, 0
	v_mov_b32_e32 v11, 0
	s_and_saveexec_b64 s[6:7], s[0:1]
	s_cbranch_execz .LBB166_9
; %bb.6:
	v_mov_b32_e32 v8, 0
	v_lshlrev_b32_e32 v7, 3, v6
	s_mov_b64 s[8:9], 0
	v_mov_b32_e32 v16, s11
	v_mov_b32_e32 v17, s13
	;; [unrolled: 1-line block ×8, first 2 shown]
.LBB166_7:                              ; =>This Inner Loop Header: Depth=1
	v_ashrrev_i32_e32 v10, 31, v9
	v_lshlrev_b64 v[19:20], 2, v[9:10]
	v_mov_b32_e32 v32, v8
	v_add_co_u32_e32 v19, vcc, s10, v19
	v_addc_co_u32_e32 v20, vcc, v16, v20, vcc
	global_load_dword v10, v[19:20], off
	v_lshlrev_b64 v[19:20], 3, v[7:8]
	v_add_u32_e32 v9, 64, v9
	v_add_co_u32_e32 v43, vcc, s12, v19
	v_addc_co_u32_e32 v44, vcc, v17, v20, vcc
	global_load_dwordx4 v[19:22], v[43:44], off
	global_load_dwordx4 v[23:26], v[43:44], off offset:16
	global_load_dwordx4 v[27:30], v[43:44], off offset:32
	v_add_u32_e32 v7, 0x200, v7
	s_waitcnt vmcnt(3)
	v_subrev_u32_e32 v10, s2, v10
	v_lshlrev_b32_e32 v31, 2, v10
	v_lshlrev_b64 v[31:32], 3, v[31:32]
	v_add_co_u32_e32 v45, vcc, s14, v31
	v_addc_co_u32_e32 v46, vcc, v18, v32, vcc
	global_load_dwordx4 v[31:34], v[45:46], off
	global_load_dwordx4 v[35:38], v[45:46], off offset:16
	global_load_dwordx4 v[39:42], v[43:44], off offset:48
	v_cmp_ge_i32_e32 vcc, v9, v13
	s_or_b64 s[8:9], vcc, s[8:9]
	s_waitcnt vmcnt(2)
	v_fmac_f32_e32 v15, v19, v31
	v_fmac_f32_e32 v12, v20, v31
	v_fmac_f32_e32 v14, v21, v31
	v_fmac_f32_e32 v11, v22, v31
	v_fma_f32 v10, -v20, v32, v15
	v_fmac_f32_e32 v12, v19, v32
	v_fma_f32 v14, -v22, v32, v14
	v_fmac_f32_e32 v11, v21, v32
	v_fmac_f32_e32 v10, v23, v33
	;; [unrolled: 1-line block ×5, first 2 shown]
	v_fma_f32 v10, -v24, v34, v10
	v_fmac_f32_e32 v12, v23, v34
	v_fma_f32 v14, -v26, v34, v14
	v_fmac_f32_e32 v11, v25, v34
	s_waitcnt vmcnt(1)
	v_fmac_f32_e32 v10, v27, v35
	v_fmac_f32_e32 v12, v28, v35
	;; [unrolled: 1-line block ×4, first 2 shown]
	v_fma_f32 v10, -v28, v36, v10
	v_fmac_f32_e32 v12, v27, v36
	v_fma_f32 v14, -v30, v36, v14
	v_fmac_f32_e32 v11, v29, v36
	s_waitcnt vmcnt(0)
	v_fmac_f32_e32 v10, v39, v37
	v_fmac_f32_e32 v12, v40, v37
	;; [unrolled: 1-line block ×4, first 2 shown]
	v_fma_f32 v15, -v40, v38, v10
	v_fmac_f32_e32 v12, v39, v38
	v_fma_f32 v14, -v42, v38, v14
	v_fmac_f32_e32 v11, v41, v38
	s_andn2_b64 exec, exec, s[8:9]
	s_cbranch_execnz .LBB166_7
; %bb.8:
	s_or_b64 exec, exec, s[8:9]
.LBB166_9:
	s_or_b64 exec, exec, s[6:7]
	s_cbranch_execz .LBB166_11
	s_branch .LBB166_16
.LBB166_10:
                                        ; implicit-def: $vgpr12
                                        ; implicit-def: $vgpr15
                                        ; implicit-def: $vgpr14
                                        ; implicit-def: $vgpr11
.LBB166_11:
	v_mov_b32_e32 v12, 0
	v_mov_b32_e32 v15, 0
	;; [unrolled: 1-line block ×4, first 2 shown]
	s_and_saveexec_b64 s[6:7], s[0:1]
	s_cbranch_execz .LBB166_15
; %bb.12:
	v_mov_b32_e32 v9, 0
	v_lshlrev_b32_e32 v8, 3, v6
	s_mov_b64 s[0:1], 0
	v_mov_b32_e32 v10, s11
	v_mov_b32_e32 v16, s13
	;; [unrolled: 1-line block ×7, first 2 shown]
.LBB166_13:                             ; =>This Inner Loop Header: Depth=1
	v_lshlrev_b64 v[18:19], 3, v[8:9]
	v_ashrrev_i32_e32 v7, 31, v6
	v_lshlrev_b64 v[20:21], 2, v[6:7]
	v_add_co_u32_e32 v38, vcc, s12, v18
	v_addc_co_u32_e32 v39, vcc, v16, v19, vcc
	v_add_co_u32_e32 v28, vcc, s10, v20
	v_addc_co_u32_e32 v29, vcc, v10, v21, vcc
	global_load_dwordx4 v[18:21], v[38:39], off
	global_load_dwordx4 v[22:25], v[38:39], off offset:16
	global_load_dword v7, v[28:29], off
	v_mov_b32_e32 v27, v9
	v_add_u32_e32 v6, 64, v6
	v_add_u32_e32 v8, 0x200, v8
	s_waitcnt vmcnt(0)
	v_subrev_u32_e32 v7, s2, v7
	v_lshlrev_b32_e32 v26, 2, v7
	v_lshlrev_b64 v[26:27], 3, v[26:27]
	v_add_co_u32_e32 v34, vcc, s14, v26
	v_addc_co_u32_e32 v35, vcc, v17, v27, vcc
	global_load_dwordx4 v[26:29], v[34:35], off
	global_load_dwordx4 v[30:33], v[34:35], off offset:16
	v_cmp_ge_i32_e32 vcc, v6, v13
	s_or_b64 s[0:1], vcc, s[0:1]
	s_waitcnt vmcnt(1)
	v_fmac_f32_e32 v15, v18, v26
	v_fmac_f32_e32 v12, v19, v26
	v_fma_f32 v7, -v19, v27, v15
	v_fmac_f32_e32 v12, v18, v27
	v_fmac_f32_e32 v7, v20, v28
	;; [unrolled: 1-line block ×3, first 2 shown]
	v_fma_f32 v7, -v21, v29, v7
	v_fmac_f32_e32 v12, v20, v29
	global_load_dwordx4 v[18:21], v[38:39], off offset:32
	global_load_dwordx4 v[34:37], v[38:39], off offset:48
	s_waitcnt vmcnt(2)
	v_fmac_f32_e32 v7, v22, v30
	v_fmac_f32_e32 v12, v23, v30
	v_fma_f32 v7, -v23, v31, v7
	v_fmac_f32_e32 v12, v22, v31
	v_fmac_f32_e32 v7, v24, v32
	v_fmac_f32_e32 v12, v25, v32
	v_fma_f32 v15, -v25, v33, v7
	v_fmac_f32_e32 v12, v24, v33
	s_waitcnt vmcnt(1)
	v_fmac_f32_e32 v14, v18, v26
	v_fmac_f32_e32 v11, v19, v26
	v_fma_f32 v14, -v19, v27, v14
	v_fmac_f32_e32 v11, v18, v27
	v_fmac_f32_e32 v14, v20, v28
	v_fmac_f32_e32 v11, v21, v28
	v_fma_f32 v14, -v21, v29, v14
	v_fmac_f32_e32 v11, v20, v29
	;; [unrolled: 9-line block ×3, first 2 shown]
	s_andn2_b64 exec, exec, s[0:1]
	s_cbranch_execnz .LBB166_13
; %bb.14:
	s_or_b64 exec, exec, s[0:1]
.LBB166_15:
	s_or_b64 exec, exec, s[6:7]
.LBB166_16:
	v_mov_b32_dpp v6, v15 row_shr:1 row_mask:0xf bank_mask:0xf
	v_mov_b32_dpp v8, v12 row_shr:1 row_mask:0xf bank_mask:0xf
	v_mov_b32_dpp v10, v14 row_shr:1 row_mask:0xf bank_mask:0xf
	v_mov_b32_dpp v13, v11 row_shr:1 row_mask:0xf bank_mask:0xf
	v_add_f32_e32 v6, v15, v6
	v_add_f32_e32 v8, v12, v8
	v_add_f32_e32 v10, v14, v10
	v_add_f32_e32 v11, v11, v13
	v_mov_b32_dpp v7, v6 row_shr:2 row_mask:0xf bank_mask:0xf
	v_mov_b32_dpp v9, v8 row_shr:2 row_mask:0xf bank_mask:0xf
	v_mov_b32_dpp v12, v10 row_shr:2 row_mask:0xf bank_mask:0xf
	v_mov_b32_dpp v13, v11 row_shr:2 row_mask:0xf bank_mask:0xf
	v_add_f32_e32 v6, v6, v7
	v_add_f32_e32 v8, v8, v9
	v_add_f32_e32 v10, v10, v12
	v_add_f32_e32 v11, v11, v13
	;; [unrolled: 8-line block ×4, first 2 shown]
	v_mov_b32_dpp v7, v6 row_bcast:15 row_mask:0xa bank_mask:0xf
	v_mov_b32_dpp v9, v8 row_bcast:15 row_mask:0xa bank_mask:0xf
	;; [unrolled: 1-line block ×4, first 2 shown]
	v_add_f32_e32 v6, v6, v7
	v_add_f32_e32 v8, v8, v9
	;; [unrolled: 1-line block ×4, first 2 shown]
	v_mov_b32_dpp v7, v6 row_bcast:31 row_mask:0xc bank_mask:0xf
	v_mov_b32_dpp v9, v8 row_bcast:31 row_mask:0xc bank_mask:0xf
	;; [unrolled: 1-line block ×4, first 2 shown]
	v_cmp_eq_u32_e32 vcc, 63, v0
	s_and_b64 exec, exec, vcc
	s_cbranch_execz .LBB166_21
; %bb.17:
	s_load_dwordx2 s[2:3], s[4:5], 0x38
	v_cmp_eq_f32_e32 vcc, 0, v3
	v_cmp_eq_f32_e64 s[0:1], 0, v4
	v_add_f32_e32 v7, v6, v7
	v_add_f32_e32 v8, v8, v9
	;; [unrolled: 1-line block ×4, first 2 shown]
	s_and_b64 s[0:1], vcc, s[0:1]
	s_and_saveexec_b64 s[4:5], s[0:1]
	s_xor_b64 s[0:1], exec, s[4:5]
	s_cbranch_execz .LBB166_19
; %bb.18:
	v_mul_f32_e64 v3, v8, -v2
	v_mul_f32_e32 v4, v1, v8
	v_fmac_f32_e32 v3, v1, v7
	v_fmac_f32_e32 v4, v2, v7
	v_lshlrev_b32_e32 v7, 1, v5
	v_ashrrev_i32_e32 v8, 31, v7
	v_lshlrev_b64 v[7:8], 3, v[7:8]
	s_waitcnt lgkmcnt(0)
	v_mov_b32_e32 v5, s3
	v_add_co_u32_e32 v7, vcc, s2, v7
	v_addc_co_u32_e32 v8, vcc, v5, v8, vcc
	v_mul_f32_e64 v5, v6, -v2
	v_mul_f32_e32 v6, v1, v6
	v_fmac_f32_e32 v5, v1, v0
	v_fmac_f32_e32 v6, v2, v0
	global_store_dwordx4 v[7:8], v[3:6], off
                                        ; implicit-def: $vgpr5
                                        ; implicit-def: $vgpr1_vgpr2
                                        ; implicit-def: $vgpr8
                                        ; implicit-def: $vgpr7
                                        ; implicit-def: $vgpr3_vgpr4
                                        ; implicit-def: $vgpr6
                                        ; implicit-def: $vgpr0
.LBB166_19:
	s_andn2_saveexec_b64 s[0:1], s[0:1]
	s_cbranch_execz .LBB166_21
; %bb.20:
	v_lshlrev_b32_e32 v9, 1, v5
	v_ashrrev_i32_e32 v10, 31, v9
	v_lshlrev_b64 v[9:10], 3, v[9:10]
	s_waitcnt lgkmcnt(0)
	v_mov_b32_e32 v5, s3
	v_add_co_u32_e32 v17, vcc, s2, v9
	v_addc_co_u32_e32 v18, vcc, v5, v10, vcc
	global_load_dwordx4 v[9:12], v[17:18], off
	v_mul_f32_e64 v5, v8, -v2
	v_mul_f32_e32 v14, v1, v8
	v_mul_f32_e64 v8, v6, -v2
	v_mul_f32_e32 v16, v1, v6
	v_fmac_f32_e32 v5, v1, v7
	v_fmac_f32_e32 v14, v2, v7
	v_fmac_f32_e32 v8, v1, v0
	v_fmac_f32_e32 v16, v2, v0
	s_waitcnt vmcnt(0)
	v_fmac_f32_e32 v5, v3, v9
	v_fmac_f32_e32 v14, v4, v9
	;; [unrolled: 1-line block ×4, first 2 shown]
	v_fma_f32 v13, -v4, v10, v5
	v_fmac_f32_e32 v14, v3, v10
	v_fma_f32 v15, -v4, v12, v8
	v_fmac_f32_e32 v16, v3, v12
	global_store_dwordx4 v[17:18], v[13:16], off
.LBB166_21:
	s_endpgm
	.section	.rodata,"a",@progbits
	.p2align	6, 0x0
	.amdhsa_kernel _ZN9rocsparseL19gebsrmvn_2xn_kernelILj128ELj4ELj64E21rocsparse_complex_numIfEEEvi20rocsparse_direction_NS_24const_host_device_scalarIT2_EEPKiS8_PKS5_SA_S6_PS5_21rocsparse_index_base_b
		.amdhsa_group_segment_fixed_size 0
		.amdhsa_private_segment_fixed_size 0
		.amdhsa_kernarg_size 72
		.amdhsa_user_sgpr_count 6
		.amdhsa_user_sgpr_private_segment_buffer 1
		.amdhsa_user_sgpr_dispatch_ptr 0
		.amdhsa_user_sgpr_queue_ptr 0
		.amdhsa_user_sgpr_kernarg_segment_ptr 1
		.amdhsa_user_sgpr_dispatch_id 0
		.amdhsa_user_sgpr_flat_scratch_init 0
		.amdhsa_user_sgpr_private_segment_size 0
		.amdhsa_uses_dynamic_stack 0
		.amdhsa_system_sgpr_private_segment_wavefront_offset 0
		.amdhsa_system_sgpr_workgroup_id_x 1
		.amdhsa_system_sgpr_workgroup_id_y 0
		.amdhsa_system_sgpr_workgroup_id_z 0
		.amdhsa_system_sgpr_workgroup_info 0
		.amdhsa_system_vgpr_workitem_id 0
		.amdhsa_next_free_vgpr 47
		.amdhsa_next_free_sgpr 16
		.amdhsa_reserve_vcc 1
		.amdhsa_reserve_flat_scratch 0
		.amdhsa_float_round_mode_32 0
		.amdhsa_float_round_mode_16_64 0
		.amdhsa_float_denorm_mode_32 3
		.amdhsa_float_denorm_mode_16_64 3
		.amdhsa_dx10_clamp 1
		.amdhsa_ieee_mode 1
		.amdhsa_fp16_overflow 0
		.amdhsa_exception_fp_ieee_invalid_op 0
		.amdhsa_exception_fp_denorm_src 0
		.amdhsa_exception_fp_ieee_div_zero 0
		.amdhsa_exception_fp_ieee_overflow 0
		.amdhsa_exception_fp_ieee_underflow 0
		.amdhsa_exception_fp_ieee_inexact 0
		.amdhsa_exception_int_div_zero 0
	.end_amdhsa_kernel
	.section	.text._ZN9rocsparseL19gebsrmvn_2xn_kernelILj128ELj4ELj64E21rocsparse_complex_numIfEEEvi20rocsparse_direction_NS_24const_host_device_scalarIT2_EEPKiS8_PKS5_SA_S6_PS5_21rocsparse_index_base_b,"axG",@progbits,_ZN9rocsparseL19gebsrmvn_2xn_kernelILj128ELj4ELj64E21rocsparse_complex_numIfEEEvi20rocsparse_direction_NS_24const_host_device_scalarIT2_EEPKiS8_PKS5_SA_S6_PS5_21rocsparse_index_base_b,comdat
.Lfunc_end166:
	.size	_ZN9rocsparseL19gebsrmvn_2xn_kernelILj128ELj4ELj64E21rocsparse_complex_numIfEEEvi20rocsparse_direction_NS_24const_host_device_scalarIT2_EEPKiS8_PKS5_SA_S6_PS5_21rocsparse_index_base_b, .Lfunc_end166-_ZN9rocsparseL19gebsrmvn_2xn_kernelILj128ELj4ELj64E21rocsparse_complex_numIfEEEvi20rocsparse_direction_NS_24const_host_device_scalarIT2_EEPKiS8_PKS5_SA_S6_PS5_21rocsparse_index_base_b
                                        ; -- End function
	.set _ZN9rocsparseL19gebsrmvn_2xn_kernelILj128ELj4ELj64E21rocsparse_complex_numIfEEEvi20rocsparse_direction_NS_24const_host_device_scalarIT2_EEPKiS8_PKS5_SA_S6_PS5_21rocsparse_index_base_b.num_vgpr, 47
	.set _ZN9rocsparseL19gebsrmvn_2xn_kernelILj128ELj4ELj64E21rocsparse_complex_numIfEEEvi20rocsparse_direction_NS_24const_host_device_scalarIT2_EEPKiS8_PKS5_SA_S6_PS5_21rocsparse_index_base_b.num_agpr, 0
	.set _ZN9rocsparseL19gebsrmvn_2xn_kernelILj128ELj4ELj64E21rocsparse_complex_numIfEEEvi20rocsparse_direction_NS_24const_host_device_scalarIT2_EEPKiS8_PKS5_SA_S6_PS5_21rocsparse_index_base_b.numbered_sgpr, 16
	.set _ZN9rocsparseL19gebsrmvn_2xn_kernelILj128ELj4ELj64E21rocsparse_complex_numIfEEEvi20rocsparse_direction_NS_24const_host_device_scalarIT2_EEPKiS8_PKS5_SA_S6_PS5_21rocsparse_index_base_b.num_named_barrier, 0
	.set _ZN9rocsparseL19gebsrmvn_2xn_kernelILj128ELj4ELj64E21rocsparse_complex_numIfEEEvi20rocsparse_direction_NS_24const_host_device_scalarIT2_EEPKiS8_PKS5_SA_S6_PS5_21rocsparse_index_base_b.private_seg_size, 0
	.set _ZN9rocsparseL19gebsrmvn_2xn_kernelILj128ELj4ELj64E21rocsparse_complex_numIfEEEvi20rocsparse_direction_NS_24const_host_device_scalarIT2_EEPKiS8_PKS5_SA_S6_PS5_21rocsparse_index_base_b.uses_vcc, 1
	.set _ZN9rocsparseL19gebsrmvn_2xn_kernelILj128ELj4ELj64E21rocsparse_complex_numIfEEEvi20rocsparse_direction_NS_24const_host_device_scalarIT2_EEPKiS8_PKS5_SA_S6_PS5_21rocsparse_index_base_b.uses_flat_scratch, 0
	.set _ZN9rocsparseL19gebsrmvn_2xn_kernelILj128ELj4ELj64E21rocsparse_complex_numIfEEEvi20rocsparse_direction_NS_24const_host_device_scalarIT2_EEPKiS8_PKS5_SA_S6_PS5_21rocsparse_index_base_b.has_dyn_sized_stack, 0
	.set _ZN9rocsparseL19gebsrmvn_2xn_kernelILj128ELj4ELj64E21rocsparse_complex_numIfEEEvi20rocsparse_direction_NS_24const_host_device_scalarIT2_EEPKiS8_PKS5_SA_S6_PS5_21rocsparse_index_base_b.has_recursion, 0
	.set _ZN9rocsparseL19gebsrmvn_2xn_kernelILj128ELj4ELj64E21rocsparse_complex_numIfEEEvi20rocsparse_direction_NS_24const_host_device_scalarIT2_EEPKiS8_PKS5_SA_S6_PS5_21rocsparse_index_base_b.has_indirect_call, 0
	.section	.AMDGPU.csdata,"",@progbits
; Kernel info:
; codeLenInByte = 1640
; TotalNumSgprs: 20
; NumVgprs: 47
; ScratchSize: 0
; MemoryBound: 0
; FloatMode: 240
; IeeeMode: 1
; LDSByteSize: 0 bytes/workgroup (compile time only)
; SGPRBlocks: 2
; VGPRBlocks: 11
; NumSGPRsForWavesPerEU: 20
; NumVGPRsForWavesPerEU: 47
; Occupancy: 5
; WaveLimiterHint : 1
; COMPUTE_PGM_RSRC2:SCRATCH_EN: 0
; COMPUTE_PGM_RSRC2:USER_SGPR: 6
; COMPUTE_PGM_RSRC2:TRAP_HANDLER: 0
; COMPUTE_PGM_RSRC2:TGID_X_EN: 1
; COMPUTE_PGM_RSRC2:TGID_Y_EN: 0
; COMPUTE_PGM_RSRC2:TGID_Z_EN: 0
; COMPUTE_PGM_RSRC2:TIDIG_COMP_CNT: 0
	.section	.text._ZN9rocsparseL19gebsrmvn_2xn_kernelILj128ELj5ELj4E21rocsparse_complex_numIfEEEvi20rocsparse_direction_NS_24const_host_device_scalarIT2_EEPKiS8_PKS5_SA_S6_PS5_21rocsparse_index_base_b,"axG",@progbits,_ZN9rocsparseL19gebsrmvn_2xn_kernelILj128ELj5ELj4E21rocsparse_complex_numIfEEEvi20rocsparse_direction_NS_24const_host_device_scalarIT2_EEPKiS8_PKS5_SA_S6_PS5_21rocsparse_index_base_b,comdat
	.globl	_ZN9rocsparseL19gebsrmvn_2xn_kernelILj128ELj5ELj4E21rocsparse_complex_numIfEEEvi20rocsparse_direction_NS_24const_host_device_scalarIT2_EEPKiS8_PKS5_SA_S6_PS5_21rocsparse_index_base_b ; -- Begin function _ZN9rocsparseL19gebsrmvn_2xn_kernelILj128ELj5ELj4E21rocsparse_complex_numIfEEEvi20rocsparse_direction_NS_24const_host_device_scalarIT2_EEPKiS8_PKS5_SA_S6_PS5_21rocsparse_index_base_b
	.p2align	8
	.type	_ZN9rocsparseL19gebsrmvn_2xn_kernelILj128ELj5ELj4E21rocsparse_complex_numIfEEEvi20rocsparse_direction_NS_24const_host_device_scalarIT2_EEPKiS8_PKS5_SA_S6_PS5_21rocsparse_index_base_b,@function
_ZN9rocsparseL19gebsrmvn_2xn_kernelILj128ELj5ELj4E21rocsparse_complex_numIfEEEvi20rocsparse_direction_NS_24const_host_device_scalarIT2_EEPKiS8_PKS5_SA_S6_PS5_21rocsparse_index_base_b: ; @_ZN9rocsparseL19gebsrmvn_2xn_kernelILj128ELj5ELj4E21rocsparse_complex_numIfEEEvi20rocsparse_direction_NS_24const_host_device_scalarIT2_EEPKiS8_PKS5_SA_S6_PS5_21rocsparse_index_base_b
; %bb.0:
	s_load_dwordx2 s[0:1], s[4:5], 0x8
	s_load_dwordx2 s[8:9], s[4:5], 0x30
	;; [unrolled: 1-line block ×3, first 2 shown]
	s_add_u32 s7, s4, 8
	s_addc_u32 s10, s5, 0
	s_add_u32 s11, s4, 48
	s_addc_u32 s12, s5, 0
	s_waitcnt lgkmcnt(0)
	s_bitcmp1_b32 s3, 0
	s_cselect_b32 s1, s10, s1
	s_cselect_b32 s0, s7, s0
	v_mov_b32_e32 v1, s0
	v_mov_b32_e32 v2, s1
	flat_load_dwordx2 v[1:2], v[1:2]
	s_cselect_b32 s0, s12, s9
	s_cselect_b32 s1, s11, s8
	v_mov_b32_e32 v3, s1
	v_mov_b32_e32 v4, s0
	flat_load_dwordx2 v[3:4], v[3:4]
	s_waitcnt vmcnt(0) lgkmcnt(0)
	v_cmp_eq_f32_e32 vcc, 0, v1
	v_cmp_eq_f32_e64 s[0:1], 0, v2
	s_and_b64 s[10:11], vcc, s[0:1]
	s_mov_b64 s[0:1], -1
	s_and_saveexec_b64 s[8:9], s[10:11]
; %bb.1:
	v_cmp_neq_f32_e32 vcc, 1.0, v3
	v_cmp_neq_f32_e64 s[0:1], 0, v4
	s_or_b64 s[0:1], vcc, s[0:1]
	s_orn2_b64 s[0:1], s[0:1], exec
; %bb.2:
	s_or_b64 exec, exec, s[8:9]
	s_and_saveexec_b64 s[8:9], s[0:1]
	s_cbranch_execz .LBB167_21
; %bb.3:
	s_load_dwordx2 s[0:1], s[4:5], 0x0
	v_lshrrev_b32_e32 v5, 2, v0
	v_lshl_or_b32 v5, s6, 5, v5
	s_waitcnt lgkmcnt(0)
	v_cmp_gt_i32_e32 vcc, s0, v5
	s_and_b64 exec, exec, vcc
	s_cbranch_execz .LBB167_21
; %bb.4:
	s_load_dwordx8 s[8:15], s[4:5], 0x10
	v_ashrrev_i32_e32 v6, 31, v5
	v_lshlrev_b64 v[6:7], 2, v[5:6]
	v_and_b32_e32 v0, 3, v0
	s_cmp_lg_u32 s1, 0
	s_waitcnt lgkmcnt(0)
	v_mov_b32_e32 v8, s9
	v_add_co_u32_e32 v6, vcc, s8, v6
	v_addc_co_u32_e32 v7, vcc, v8, v7, vcc
	global_load_dwordx2 v[6:7], v[6:7], off
	s_waitcnt vmcnt(0)
	v_subrev_u32_e32 v6, s2, v6
	v_subrev_u32_e32 v13, s2, v7
	v_add_u32_e32 v6, v6, v0
	v_cmp_lt_i32_e64 s[0:1], v6, v13
	s_cbranch_scc0 .LBB167_10
; %bb.5:
	v_mov_b32_e32 v14, 0
	v_mov_b32_e32 v16, 0
	;; [unrolled: 1-line block ×4, first 2 shown]
	s_and_saveexec_b64 s[6:7], s[0:1]
	s_cbranch_execz .LBB167_9
; %bb.6:
	v_mad_u64_u32 v[7:8], s[8:9], v6, 10, 8
	v_mov_b32_e32 v10, 0
	s_mov_b64 s[8:9], 0
	v_mov_b32_e32 v18, s11
	v_mov_b32_e32 v19, s13
	;; [unrolled: 1-line block ×8, first 2 shown]
.LBB167_7:                              ; =>This Inner Loop Header: Depth=1
	v_ashrrev_i32_e32 v12, 31, v11
	v_lshlrev_b64 v[21:22], 2, v[11:12]
	v_add_u32_e32 v9, -8, v7
	v_lshlrev_b64 v[23:24], 3, v[9:10]
	v_add_co_u32_e32 v27, vcc, s10, v21
	v_addc_co_u32_e32 v28, vcc, v18, v22, vcc
	v_add_co_u32_e32 v31, vcc, s12, v23
	v_addc_co_u32_e32 v32, vcc, v19, v24, vcc
	global_load_dword v12, v[27:28], off
	global_load_dwordx4 v[21:24], v[31:32], off
	v_mov_b32_e32 v8, v10
	v_lshlrev_b64 v[25:26], 3, v[7:8]
	v_add_u32_e32 v9, -6, v7
	v_lshlrev_b64 v[8:9], 3, v[9:10]
	v_add_co_u32_e32 v33, vcc, s12, v25
	v_mov_b32_e32 v30, v10
	v_addc_co_u32_e32 v34, vcc, v19, v26, vcc
	v_add_co_u32_e32 v8, vcc, s12, v8
	v_addc_co_u32_e32 v9, vcc, v19, v9, vcc
	v_add_u32_e32 v11, 4, v11
	s_waitcnt vmcnt(1)
	v_subrev_u32_e32 v12, s2, v12
	v_lshl_add_u32 v29, v12, 2, v12
	v_lshlrev_b64 v[25:26], 3, v[29:30]
	v_add_co_u32_e32 v30, vcc, s14, v25
	v_addc_co_u32_e32 v31, vcc, v20, v26, vcc
	global_load_dwordx4 v[25:28], v[33:34], off
	global_load_dwordx2 v[35:36], v[30:31], off
	s_waitcnt vmcnt(0)
	v_fmac_f32_e32 v16, v21, v35
	v_fmac_f32_e32 v14, v22, v35
	;; [unrolled: 1-line block ×4, first 2 shown]
	v_fma_f32 v12, -v22, v36, v16
	v_fmac_f32_e32 v14, v21, v36
	v_fma_f32 v32, -v24, v36, v17
	v_fmac_f32_e32 v15, v23, v36
	global_load_dwordx4 v[21:24], v[8:9], off
	v_add_u32_e32 v9, 1, v29
	v_lshlrev_b64 v[16:17], 3, v[9:10]
	v_add_u32_e32 v9, -4, v7
	v_add_co_u32_e32 v16, vcc, s14, v16
	v_addc_co_u32_e32 v17, vcc, v20, v17, vcc
	global_load_dwordx2 v[16:17], v[16:17], off
	v_lshlrev_b64 v[30:31], 3, v[9:10]
	v_add_u32_e32 v9, 2, v29
	v_add_co_u32_e32 v30, vcc, s12, v30
	v_addc_co_u32_e32 v31, vcc, v19, v31, vcc
	s_waitcnt vmcnt(0)
	v_fmac_f32_e32 v12, v21, v16
	v_fmac_f32_e32 v14, v22, v16
	v_fmac_f32_e32 v32, v23, v16
	v_fmac_f32_e32 v15, v24, v16
	v_fma_f32 v8, -v22, v17, v12
	v_fmac_f32_e32 v14, v21, v17
	v_fma_f32 v12, -v24, v17, v32
	v_fmac_f32_e32 v15, v23, v17
	v_lshlrev_b64 v[16:17], 3, v[9:10]
	v_add_u32_e32 v9, -2, v7
	v_lshlrev_b64 v[21:22], 3, v[9:10]
	v_add_co_u32_e32 v16, vcc, s14, v16
	v_addc_co_u32_e32 v17, vcc, v20, v17, vcc
	v_add_co_u32_e32 v34, vcc, s12, v21
	v_addc_co_u32_e32 v35, vcc, v19, v22, vcc
	global_load_dwordx4 v[21:24], v[30:31], off
	global_load_dwordx2 v[36:37], v[16:17], off
	v_add_u32_e32 v9, 3, v29
	v_lshlrev_b64 v[32:33], 3, v[9:10]
	v_add_u32_e32 v9, 4, v29
	v_add_co_u32_e32 v16, vcc, s14, v32
	v_addc_co_u32_e32 v17, vcc, v20, v33, vcc
	v_add_u32_e32 v7, 40, v7
	s_waitcnt vmcnt(0)
	v_fmac_f32_e32 v8, v21, v36
	v_fma_f32 v31, -v22, v37, v8
	v_lshlrev_b64 v[8:9], 3, v[9:10]
	v_fmac_f32_e32 v14, v22, v36
	v_fmac_f32_e32 v12, v23, v36
	;; [unrolled: 1-line block ×4, first 2 shown]
	v_fma_f32 v12, -v24, v37, v12
	v_fmac_f32_e32 v15, v23, v37
	global_load_dwordx4 v[21:24], v[34:35], off
	global_load_dwordx2 v[29:30], v[16:17], off
	v_add_co_u32_e32 v8, vcc, s14, v8
	v_addc_co_u32_e32 v9, vcc, v20, v9, vcc
	global_load_dwordx2 v[8:9], v[8:9], off
	v_cmp_ge_i32_e32 vcc, v11, v13
	s_or_b64 s[8:9], vcc, s[8:9]
	s_waitcnt vmcnt(1)
	v_fmac_f32_e32 v31, v21, v29
	v_fmac_f32_e32 v14, v22, v29
	;; [unrolled: 1-line block ×4, first 2 shown]
	v_fma_f32 v16, -v22, v30, v31
	v_fmac_f32_e32 v14, v21, v30
	v_fma_f32 v12, -v24, v30, v12
	v_fmac_f32_e32 v15, v23, v30
	s_waitcnt vmcnt(0)
	v_fmac_f32_e32 v16, v25, v8
	v_fmac_f32_e32 v14, v26, v8
	;; [unrolled: 1-line block ×4, first 2 shown]
	v_fma_f32 v16, -v26, v9, v16
	v_fmac_f32_e32 v14, v25, v9
	v_fma_f32 v17, -v28, v9, v12
	v_fmac_f32_e32 v15, v27, v9
	s_andn2_b64 exec, exec, s[8:9]
	s_cbranch_execnz .LBB167_7
; %bb.8:
	s_or_b64 exec, exec, s[8:9]
.LBB167_9:
	s_or_b64 exec, exec, s[6:7]
	s_cbranch_execz .LBB167_11
	s_branch .LBB167_16
.LBB167_10:
                                        ; implicit-def: $vgpr14
                                        ; implicit-def: $vgpr16
                                        ; implicit-def: $vgpr17
                                        ; implicit-def: $vgpr15
.LBB167_11:
	v_mov_b32_e32 v14, 0
	v_mov_b32_e32 v16, 0
	;; [unrolled: 1-line block ×4, first 2 shown]
	s_and_saveexec_b64 s[6:7], s[0:1]
	s_cbranch_execz .LBB167_15
; %bb.12:
	v_mad_u64_u32 v[8:9], s[0:1], v6, 10, 9
	v_mov_b32_e32 v11, 0
	s_mov_b64 s[0:1], 0
	v_mov_b32_e32 v12, s11
	v_mov_b32_e32 v18, s13
	;; [unrolled: 1-line block ×7, first 2 shown]
.LBB167_13:                             ; =>This Inner Loop Header: Depth=1
	v_ashrrev_i32_e32 v7, 31, v6
	v_lshlrev_b64 v[22:23], 2, v[6:7]
	v_add_u32_e32 v10, -9, v8
	v_add_co_u32_e32 v22, vcc, s10, v22
	v_addc_co_u32_e32 v23, vcc, v12, v23, vcc
	global_load_dword v7, v[22:23], off
	v_lshlrev_b64 v[24:25], 3, v[10:11]
	v_add_u32_e32 v20, -4, v8
	v_mov_b32_e32 v21, v11
	v_lshlrev_b64 v[20:21], 3, v[20:21]
	v_add_co_u32_e32 v24, vcc, s12, v24
	v_mov_b32_e32 v9, v11
	v_addc_co_u32_e32 v25, vcc, v18, v25, vcc
	v_lshlrev_b64 v[9:10], 3, v[8:9]
	v_add_co_u32_e32 v20, vcc, s12, v20
	v_addc_co_u32_e32 v21, vcc, v18, v21, vcc
	v_add_co_u32_e32 v26, vcc, s12, v9
	v_addc_co_u32_e32 v27, vcc, v18, v10, vcc
	v_mov_b32_e32 v10, v11
	v_add_u32_e32 v6, 4, v6
	s_waitcnt vmcnt(0)
	v_subrev_u32_e32 v7, s2, v7
	v_lshl_add_u32 v9, v7, 2, v7
	v_lshlrev_b64 v[22:23], 3, v[9:10]
	v_add_u32_e32 v10, 1, v9
	v_add_co_u32_e32 v22, vcc, s14, v22
	v_addc_co_u32_e32 v23, vcc, v19, v23, vcc
	global_load_dwordx2 v[30:31], v[20:21], off
	global_load_dwordx2 v[32:33], v[22:23], off
	v_lshlrev_b64 v[28:29], 3, v[10:11]
	global_load_dwordx4 v[20:23], v[24:25], off
	v_add_co_u32_e32 v28, vcc, s14, v28
	v_addc_co_u32_e32 v29, vcc, v19, v29, vcc
	v_add_u32_e32 v10, -3, v8
	s_waitcnt vmcnt(1)
	v_fmac_f32_e32 v17, v30, v32
	v_fma_f32 v7, -v31, v33, v17
	s_waitcnt vmcnt(0)
	v_fmac_f32_e32 v16, v20, v32
	v_fmac_f32_e32 v14, v21, v32
	v_fma_f32 v21, -v21, v33, v16
	global_load_dwordx2 v[16:17], v[28:29], off
	v_fmac_f32_e32 v15, v31, v32
	v_fmac_f32_e32 v15, v30, v33
	;; [unrolled: 1-line block ×3, first 2 shown]
	s_waitcnt vmcnt(0)
	v_fmac_f32_e32 v21, v22, v16
	v_fma_f32 v30, -v23, v17, v21
	v_lshlrev_b64 v[20:21], 3, v[10:11]
	v_fmac_f32_e32 v14, v23, v16
	v_add_u32_e32 v10, -7, v8
	v_fmac_f32_e32 v14, v22, v17
	v_add_co_u32_e32 v20, vcc, s12, v20
	v_lshlrev_b64 v[22:23], 3, v[10:11]
	v_addc_co_u32_e32 v21, vcc, v18, v21, vcc
	v_add_co_u32_e32 v22, vcc, s12, v22
	v_addc_co_u32_e32 v23, vcc, v18, v23, vcc
	global_load_dwordx2 v[24:25], v[20:21], off
	global_load_dwordx2 v[28:29], v[22:23], off
	v_add_u32_e32 v10, 2, v9
	s_waitcnt vmcnt(1)
	v_fmac_f32_e32 v7, v24, v16
	v_fmac_f32_e32 v15, v25, v16
	v_fma_f32 v7, -v25, v17, v7
	v_fmac_f32_e32 v15, v24, v17
	v_lshlrev_b64 v[16:17], 3, v[10:11]
	v_add_u32_e32 v10, -2, v8
	v_add_co_u32_e32 v16, vcc, s14, v16
	v_addc_co_u32_e32 v17, vcc, v19, v17, vcc
	global_load_dwordx2 v[16:17], v[16:17], off
	v_lshlrev_b64 v[20:21], 3, v[10:11]
	v_add_u32_e32 v10, -6, v8
	v_add_co_u32_e32 v20, vcc, s12, v20
	v_lshlrev_b64 v[22:23], 3, v[10:11]
	v_addc_co_u32_e32 v21, vcc, v18, v21, vcc
	v_add_co_u32_e32 v22, vcc, s12, v22
	v_addc_co_u32_e32 v23, vcc, v18, v23, vcc
	v_add_u32_e32 v10, 3, v9
	s_waitcnt vmcnt(0)
	v_fmac_f32_e32 v30, v28, v16
	v_fmac_f32_e32 v14, v29, v16
	v_fma_f32 v30, -v29, v17, v30
	v_fmac_f32_e32 v14, v28, v17
	global_load_dwordx2 v[24:25], v[20:21], off
	global_load_dwordx2 v[28:29], v[22:23], off
	s_waitcnt vmcnt(1)
	v_fmac_f32_e32 v7, v24, v16
	v_fmac_f32_e32 v15, v25, v16
	v_fma_f32 v7, -v25, v17, v7
	v_fmac_f32_e32 v15, v24, v17
	v_lshlrev_b64 v[16:17], 3, v[10:11]
	v_add_u32_e32 v10, -1, v8
	v_add_co_u32_e32 v16, vcc, s14, v16
	v_addc_co_u32_e32 v17, vcc, v19, v17, vcc
	global_load_dwordx2 v[16:17], v[16:17], off
	v_lshlrev_b64 v[20:21], 3, v[10:11]
	v_add_u32_e32 v10, -5, v8
	v_lshlrev_b64 v[22:23], 3, v[10:11]
	v_add_co_u32_e32 v20, vcc, s12, v20
	v_add_u32_e32 v10, 4, v9
	v_addc_co_u32_e32 v21, vcc, v18, v21, vcc
	v_add_co_u32_e32 v22, vcc, s12, v22
	v_lshlrev_b64 v[9:10], 3, v[10:11]
	v_addc_co_u32_e32 v23, vcc, v18, v23, vcc
	v_add_co_u32_e32 v9, vcc, s14, v9
	v_addc_co_u32_e32 v10, vcc, v19, v10, vcc
	v_cmp_ge_i32_e32 vcc, v6, v13
	s_or_b64 s[0:1], vcc, s[0:1]
	v_add_u32_e32 v8, 40, v8
	s_waitcnt vmcnt(0)
	v_fmac_f32_e32 v30, v28, v16
	v_fmac_f32_e32 v14, v29, v16
	v_fma_f32 v34, -v29, v17, v30
	v_fmac_f32_e32 v14, v28, v17
	global_load_dwordx2 v[24:25], v[26:27], off
	global_load_dwordx2 v[28:29], v[20:21], off
	;; [unrolled: 1-line block ×4, first 2 shown]
	s_waitcnt vmcnt(2)
	v_fmac_f32_e32 v7, v28, v16
	v_fmac_f32_e32 v15, v29, v16
	v_fma_f32 v7, -v29, v17, v7
	v_fmac_f32_e32 v15, v28, v17
	s_waitcnt vmcnt(0)
	v_fmac_f32_e32 v34, v30, v32
	v_fmac_f32_e32 v14, v31, v32
	;; [unrolled: 1-line block ×4, first 2 shown]
	v_fma_f32 v16, -v31, v33, v34
	v_fmac_f32_e32 v14, v30, v33
	v_fma_f32 v17, -v25, v33, v7
	v_fmac_f32_e32 v15, v24, v33
	s_andn2_b64 exec, exec, s[0:1]
	s_cbranch_execnz .LBB167_13
; %bb.14:
	s_or_b64 exec, exec, s[0:1]
.LBB167_15:
	s_or_b64 exec, exec, s[6:7]
.LBB167_16:
	v_mov_b32_dpp v6, v16 row_shr:1 row_mask:0xf bank_mask:0xf
	v_mov_b32_dpp v8, v14 row_shr:1 row_mask:0xf bank_mask:0xf
	v_mov_b32_dpp v10, v17 row_shr:1 row_mask:0xf bank_mask:0xf
	v_mov_b32_dpp v12, v15 row_shr:1 row_mask:0xf bank_mask:0xf
	v_add_f32_e32 v6, v16, v6
	v_add_f32_e32 v8, v14, v8
	;; [unrolled: 1-line block ×4, first 2 shown]
	v_mov_b32_dpp v7, v6 row_shr:2 row_mask:0xf bank_mask:0xf
	v_mov_b32_dpp v9, v8 row_shr:2 row_mask:0xf bank_mask:0xf
	v_mov_b32_dpp v11, v10 row_shr:2 row_mask:0xf bank_mask:0xf
	v_mov_b32_dpp v13, v12 row_shr:2 row_mask:0xf bank_mask:0xf
	v_cmp_eq_u32_e32 vcc, 3, v0
	s_and_b64 exec, exec, vcc
	s_cbranch_execz .LBB167_21
; %bb.17:
	s_load_dwordx2 s[2:3], s[4:5], 0x38
	v_cmp_eq_f32_e32 vcc, 0, v3
	v_cmp_eq_f32_e64 s[0:1], 0, v4
	v_add_f32_e32 v7, v6, v7
	v_add_f32_e32 v8, v8, v9
	;; [unrolled: 1-line block ×4, first 2 shown]
	s_and_b64 s[0:1], vcc, s[0:1]
	s_and_saveexec_b64 s[4:5], s[0:1]
	s_xor_b64 s[0:1], exec, s[4:5]
	s_cbranch_execz .LBB167_19
; %bb.18:
	v_mul_f32_e64 v3, v8, -v2
	v_mul_f32_e32 v4, v1, v8
	v_fmac_f32_e32 v3, v1, v7
	v_fmac_f32_e32 v4, v2, v7
	v_lshlrev_b32_e32 v7, 1, v5
	v_ashrrev_i32_e32 v8, 31, v7
	v_lshlrev_b64 v[7:8], 3, v[7:8]
	s_waitcnt lgkmcnt(0)
	v_mov_b32_e32 v5, s3
	v_add_co_u32_e32 v7, vcc, s2, v7
	v_addc_co_u32_e32 v8, vcc, v5, v8, vcc
	v_mul_f32_e64 v5, v6, -v2
	v_mul_f32_e32 v6, v1, v6
	v_fmac_f32_e32 v5, v1, v0
	v_fmac_f32_e32 v6, v2, v0
	global_store_dwordx4 v[7:8], v[3:6], off
                                        ; implicit-def: $vgpr5
                                        ; implicit-def: $vgpr1_vgpr2
                                        ; implicit-def: $vgpr8
                                        ; implicit-def: $vgpr7
                                        ; implicit-def: $vgpr3_vgpr4
                                        ; implicit-def: $vgpr6
                                        ; implicit-def: $vgpr0
.LBB167_19:
	s_andn2_saveexec_b64 s[0:1], s[0:1]
	s_cbranch_execz .LBB167_21
; %bb.20:
	v_lshlrev_b32_e32 v9, 1, v5
	v_ashrrev_i32_e32 v10, 31, v9
	v_lshlrev_b64 v[9:10], 3, v[9:10]
	s_waitcnt lgkmcnt(0)
	v_mov_b32_e32 v5, s3
	v_add_co_u32_e32 v17, vcc, s2, v9
	v_addc_co_u32_e32 v18, vcc, v5, v10, vcc
	global_load_dwordx4 v[9:12], v[17:18], off
	v_mul_f32_e64 v5, v8, -v2
	v_mul_f32_e32 v14, v1, v8
	v_mul_f32_e64 v8, v6, -v2
	v_mul_f32_e32 v16, v1, v6
	v_fmac_f32_e32 v5, v1, v7
	v_fmac_f32_e32 v14, v2, v7
	;; [unrolled: 1-line block ×4, first 2 shown]
	s_waitcnt vmcnt(0)
	v_fmac_f32_e32 v5, v3, v9
	v_fmac_f32_e32 v14, v4, v9
	;; [unrolled: 1-line block ×4, first 2 shown]
	v_fma_f32 v13, -v4, v10, v5
	v_fmac_f32_e32 v14, v3, v10
	v_fma_f32 v15, -v4, v12, v8
	v_fmac_f32_e32 v16, v3, v12
	global_store_dwordx4 v[17:18], v[13:16], off
.LBB167_21:
	s_endpgm
	.section	.rodata,"a",@progbits
	.p2align	6, 0x0
	.amdhsa_kernel _ZN9rocsparseL19gebsrmvn_2xn_kernelILj128ELj5ELj4E21rocsparse_complex_numIfEEEvi20rocsparse_direction_NS_24const_host_device_scalarIT2_EEPKiS8_PKS5_SA_S6_PS5_21rocsparse_index_base_b
		.amdhsa_group_segment_fixed_size 0
		.amdhsa_private_segment_fixed_size 0
		.amdhsa_kernarg_size 72
		.amdhsa_user_sgpr_count 6
		.amdhsa_user_sgpr_private_segment_buffer 1
		.amdhsa_user_sgpr_dispatch_ptr 0
		.amdhsa_user_sgpr_queue_ptr 0
		.amdhsa_user_sgpr_kernarg_segment_ptr 1
		.amdhsa_user_sgpr_dispatch_id 0
		.amdhsa_user_sgpr_flat_scratch_init 0
		.amdhsa_user_sgpr_private_segment_size 0
		.amdhsa_uses_dynamic_stack 0
		.amdhsa_system_sgpr_private_segment_wavefront_offset 0
		.amdhsa_system_sgpr_workgroup_id_x 1
		.amdhsa_system_sgpr_workgroup_id_y 0
		.amdhsa_system_sgpr_workgroup_id_z 0
		.amdhsa_system_sgpr_workgroup_info 0
		.amdhsa_system_vgpr_workitem_id 0
		.amdhsa_next_free_vgpr 38
		.amdhsa_next_free_sgpr 16
		.amdhsa_reserve_vcc 1
		.amdhsa_reserve_flat_scratch 0
		.amdhsa_float_round_mode_32 0
		.amdhsa_float_round_mode_16_64 0
		.amdhsa_float_denorm_mode_32 3
		.amdhsa_float_denorm_mode_16_64 3
		.amdhsa_dx10_clamp 1
		.amdhsa_ieee_mode 1
		.amdhsa_fp16_overflow 0
		.amdhsa_exception_fp_ieee_invalid_op 0
		.amdhsa_exception_fp_denorm_src 0
		.amdhsa_exception_fp_ieee_div_zero 0
		.amdhsa_exception_fp_ieee_overflow 0
		.amdhsa_exception_fp_ieee_underflow 0
		.amdhsa_exception_fp_ieee_inexact 0
		.amdhsa_exception_int_div_zero 0
	.end_amdhsa_kernel
	.section	.text._ZN9rocsparseL19gebsrmvn_2xn_kernelILj128ELj5ELj4E21rocsparse_complex_numIfEEEvi20rocsparse_direction_NS_24const_host_device_scalarIT2_EEPKiS8_PKS5_SA_S6_PS5_21rocsparse_index_base_b,"axG",@progbits,_ZN9rocsparseL19gebsrmvn_2xn_kernelILj128ELj5ELj4E21rocsparse_complex_numIfEEEvi20rocsparse_direction_NS_24const_host_device_scalarIT2_EEPKiS8_PKS5_SA_S6_PS5_21rocsparse_index_base_b,comdat
.Lfunc_end167:
	.size	_ZN9rocsparseL19gebsrmvn_2xn_kernelILj128ELj5ELj4E21rocsparse_complex_numIfEEEvi20rocsparse_direction_NS_24const_host_device_scalarIT2_EEPKiS8_PKS5_SA_S6_PS5_21rocsparse_index_base_b, .Lfunc_end167-_ZN9rocsparseL19gebsrmvn_2xn_kernelILj128ELj5ELj4E21rocsparse_complex_numIfEEEvi20rocsparse_direction_NS_24const_host_device_scalarIT2_EEPKiS8_PKS5_SA_S6_PS5_21rocsparse_index_base_b
                                        ; -- End function
	.set _ZN9rocsparseL19gebsrmvn_2xn_kernelILj128ELj5ELj4E21rocsparse_complex_numIfEEEvi20rocsparse_direction_NS_24const_host_device_scalarIT2_EEPKiS8_PKS5_SA_S6_PS5_21rocsparse_index_base_b.num_vgpr, 38
	.set _ZN9rocsparseL19gebsrmvn_2xn_kernelILj128ELj5ELj4E21rocsparse_complex_numIfEEEvi20rocsparse_direction_NS_24const_host_device_scalarIT2_EEPKiS8_PKS5_SA_S6_PS5_21rocsparse_index_base_b.num_agpr, 0
	.set _ZN9rocsparseL19gebsrmvn_2xn_kernelILj128ELj5ELj4E21rocsparse_complex_numIfEEEvi20rocsparse_direction_NS_24const_host_device_scalarIT2_EEPKiS8_PKS5_SA_S6_PS5_21rocsparse_index_base_b.numbered_sgpr, 16
	.set _ZN9rocsparseL19gebsrmvn_2xn_kernelILj128ELj5ELj4E21rocsparse_complex_numIfEEEvi20rocsparse_direction_NS_24const_host_device_scalarIT2_EEPKiS8_PKS5_SA_S6_PS5_21rocsparse_index_base_b.num_named_barrier, 0
	.set _ZN9rocsparseL19gebsrmvn_2xn_kernelILj128ELj5ELj4E21rocsparse_complex_numIfEEEvi20rocsparse_direction_NS_24const_host_device_scalarIT2_EEPKiS8_PKS5_SA_S6_PS5_21rocsparse_index_base_b.private_seg_size, 0
	.set _ZN9rocsparseL19gebsrmvn_2xn_kernelILj128ELj5ELj4E21rocsparse_complex_numIfEEEvi20rocsparse_direction_NS_24const_host_device_scalarIT2_EEPKiS8_PKS5_SA_S6_PS5_21rocsparse_index_base_b.uses_vcc, 1
	.set _ZN9rocsparseL19gebsrmvn_2xn_kernelILj128ELj5ELj4E21rocsparse_complex_numIfEEEvi20rocsparse_direction_NS_24const_host_device_scalarIT2_EEPKiS8_PKS5_SA_S6_PS5_21rocsparse_index_base_b.uses_flat_scratch, 0
	.set _ZN9rocsparseL19gebsrmvn_2xn_kernelILj128ELj5ELj4E21rocsparse_complex_numIfEEEvi20rocsparse_direction_NS_24const_host_device_scalarIT2_EEPKiS8_PKS5_SA_S6_PS5_21rocsparse_index_base_b.has_dyn_sized_stack, 0
	.set _ZN9rocsparseL19gebsrmvn_2xn_kernelILj128ELj5ELj4E21rocsparse_complex_numIfEEEvi20rocsparse_direction_NS_24const_host_device_scalarIT2_EEPKiS8_PKS5_SA_S6_PS5_21rocsparse_index_base_b.has_recursion, 0
	.set _ZN9rocsparseL19gebsrmvn_2xn_kernelILj128ELj5ELj4E21rocsparse_complex_numIfEEEvi20rocsparse_direction_NS_24const_host_device_scalarIT2_EEPKiS8_PKS5_SA_S6_PS5_21rocsparse_index_base_b.has_indirect_call, 0
	.section	.AMDGPU.csdata,"",@progbits
; Kernel info:
; codeLenInByte = 2072
; TotalNumSgprs: 20
; NumVgprs: 38
; ScratchSize: 0
; MemoryBound: 0
; FloatMode: 240
; IeeeMode: 1
; LDSByteSize: 0 bytes/workgroup (compile time only)
; SGPRBlocks: 2
; VGPRBlocks: 9
; NumSGPRsForWavesPerEU: 20
; NumVGPRsForWavesPerEU: 38
; Occupancy: 6
; WaveLimiterHint : 1
; COMPUTE_PGM_RSRC2:SCRATCH_EN: 0
; COMPUTE_PGM_RSRC2:USER_SGPR: 6
; COMPUTE_PGM_RSRC2:TRAP_HANDLER: 0
; COMPUTE_PGM_RSRC2:TGID_X_EN: 1
; COMPUTE_PGM_RSRC2:TGID_Y_EN: 0
; COMPUTE_PGM_RSRC2:TGID_Z_EN: 0
; COMPUTE_PGM_RSRC2:TIDIG_COMP_CNT: 0
	.section	.text._ZN9rocsparseL19gebsrmvn_2xn_kernelILj128ELj5ELj8E21rocsparse_complex_numIfEEEvi20rocsparse_direction_NS_24const_host_device_scalarIT2_EEPKiS8_PKS5_SA_S6_PS5_21rocsparse_index_base_b,"axG",@progbits,_ZN9rocsparseL19gebsrmvn_2xn_kernelILj128ELj5ELj8E21rocsparse_complex_numIfEEEvi20rocsparse_direction_NS_24const_host_device_scalarIT2_EEPKiS8_PKS5_SA_S6_PS5_21rocsparse_index_base_b,comdat
	.globl	_ZN9rocsparseL19gebsrmvn_2xn_kernelILj128ELj5ELj8E21rocsparse_complex_numIfEEEvi20rocsparse_direction_NS_24const_host_device_scalarIT2_EEPKiS8_PKS5_SA_S6_PS5_21rocsparse_index_base_b ; -- Begin function _ZN9rocsparseL19gebsrmvn_2xn_kernelILj128ELj5ELj8E21rocsparse_complex_numIfEEEvi20rocsparse_direction_NS_24const_host_device_scalarIT2_EEPKiS8_PKS5_SA_S6_PS5_21rocsparse_index_base_b
	.p2align	8
	.type	_ZN9rocsparseL19gebsrmvn_2xn_kernelILj128ELj5ELj8E21rocsparse_complex_numIfEEEvi20rocsparse_direction_NS_24const_host_device_scalarIT2_EEPKiS8_PKS5_SA_S6_PS5_21rocsparse_index_base_b,@function
_ZN9rocsparseL19gebsrmvn_2xn_kernelILj128ELj5ELj8E21rocsparse_complex_numIfEEEvi20rocsparse_direction_NS_24const_host_device_scalarIT2_EEPKiS8_PKS5_SA_S6_PS5_21rocsparse_index_base_b: ; @_ZN9rocsparseL19gebsrmvn_2xn_kernelILj128ELj5ELj8E21rocsparse_complex_numIfEEEvi20rocsparse_direction_NS_24const_host_device_scalarIT2_EEPKiS8_PKS5_SA_S6_PS5_21rocsparse_index_base_b
; %bb.0:
	s_load_dwordx2 s[0:1], s[4:5], 0x8
	s_load_dwordx2 s[8:9], s[4:5], 0x30
	;; [unrolled: 1-line block ×3, first 2 shown]
	s_add_u32 s7, s4, 8
	s_addc_u32 s10, s5, 0
	s_add_u32 s11, s4, 48
	s_addc_u32 s12, s5, 0
	s_waitcnt lgkmcnt(0)
	s_bitcmp1_b32 s3, 0
	s_cselect_b32 s1, s10, s1
	s_cselect_b32 s0, s7, s0
	v_mov_b32_e32 v1, s0
	v_mov_b32_e32 v2, s1
	flat_load_dwordx2 v[1:2], v[1:2]
	s_cselect_b32 s0, s12, s9
	s_cselect_b32 s1, s11, s8
	v_mov_b32_e32 v3, s1
	v_mov_b32_e32 v4, s0
	flat_load_dwordx2 v[3:4], v[3:4]
	s_waitcnt vmcnt(0) lgkmcnt(0)
	v_cmp_eq_f32_e32 vcc, 0, v1
	v_cmp_eq_f32_e64 s[0:1], 0, v2
	s_and_b64 s[10:11], vcc, s[0:1]
	s_mov_b64 s[0:1], -1
	s_and_saveexec_b64 s[8:9], s[10:11]
; %bb.1:
	v_cmp_neq_f32_e32 vcc, 1.0, v3
	v_cmp_neq_f32_e64 s[0:1], 0, v4
	s_or_b64 s[0:1], vcc, s[0:1]
	s_orn2_b64 s[0:1], s[0:1], exec
; %bb.2:
	s_or_b64 exec, exec, s[8:9]
	s_and_saveexec_b64 s[8:9], s[0:1]
	s_cbranch_execz .LBB168_21
; %bb.3:
	s_load_dwordx2 s[0:1], s[4:5], 0x0
	v_lshrrev_b32_e32 v5, 3, v0
	v_lshl_or_b32 v5, s6, 4, v5
	s_waitcnt lgkmcnt(0)
	v_cmp_gt_i32_e32 vcc, s0, v5
	s_and_b64 exec, exec, vcc
	s_cbranch_execz .LBB168_21
; %bb.4:
	s_load_dwordx8 s[8:15], s[4:5], 0x10
	v_ashrrev_i32_e32 v6, 31, v5
	v_lshlrev_b64 v[6:7], 2, v[5:6]
	v_and_b32_e32 v0, 7, v0
	s_cmp_lg_u32 s1, 0
	s_waitcnt lgkmcnt(0)
	v_mov_b32_e32 v8, s9
	v_add_co_u32_e32 v6, vcc, s8, v6
	v_addc_co_u32_e32 v7, vcc, v8, v7, vcc
	global_load_dwordx2 v[6:7], v[6:7], off
	s_waitcnt vmcnt(0)
	v_subrev_u32_e32 v6, s2, v6
	v_subrev_u32_e32 v13, s2, v7
	v_add_u32_e32 v6, v6, v0
	v_cmp_lt_i32_e64 s[0:1], v6, v13
	s_cbranch_scc0 .LBB168_10
; %bb.5:
	v_mov_b32_e32 v14, 0
	v_mov_b32_e32 v16, 0
	v_mov_b32_e32 v17, 0
	v_mov_b32_e32 v15, 0
	s_and_saveexec_b64 s[6:7], s[0:1]
	s_cbranch_execz .LBB168_9
; %bb.6:
	v_mad_u64_u32 v[7:8], s[8:9], v6, 10, 8
	v_mov_b32_e32 v10, 0
	s_mov_b64 s[8:9], 0
	v_mov_b32_e32 v18, s11
	v_mov_b32_e32 v19, s13
	;; [unrolled: 1-line block ×8, first 2 shown]
.LBB168_7:                              ; =>This Inner Loop Header: Depth=1
	v_ashrrev_i32_e32 v12, 31, v11
	v_lshlrev_b64 v[21:22], 2, v[11:12]
	v_add_u32_e32 v9, -8, v7
	v_lshlrev_b64 v[23:24], 3, v[9:10]
	v_add_co_u32_e32 v27, vcc, s10, v21
	v_addc_co_u32_e32 v28, vcc, v18, v22, vcc
	v_add_co_u32_e32 v31, vcc, s12, v23
	v_addc_co_u32_e32 v32, vcc, v19, v24, vcc
	global_load_dword v12, v[27:28], off
	global_load_dwordx4 v[21:24], v[31:32], off
	v_mov_b32_e32 v8, v10
	v_lshlrev_b64 v[25:26], 3, v[7:8]
	v_add_u32_e32 v9, -6, v7
	v_lshlrev_b64 v[8:9], 3, v[9:10]
	v_add_co_u32_e32 v33, vcc, s12, v25
	v_mov_b32_e32 v30, v10
	v_addc_co_u32_e32 v34, vcc, v19, v26, vcc
	v_add_co_u32_e32 v8, vcc, s12, v8
	v_addc_co_u32_e32 v9, vcc, v19, v9, vcc
	v_add_u32_e32 v11, 8, v11
	s_waitcnt vmcnt(1)
	v_subrev_u32_e32 v12, s2, v12
	v_lshl_add_u32 v29, v12, 2, v12
	v_lshlrev_b64 v[25:26], 3, v[29:30]
	v_add_co_u32_e32 v30, vcc, s14, v25
	v_addc_co_u32_e32 v31, vcc, v20, v26, vcc
	global_load_dwordx4 v[25:28], v[33:34], off
	global_load_dwordx2 v[35:36], v[30:31], off
	s_waitcnt vmcnt(0)
	v_fmac_f32_e32 v16, v21, v35
	v_fmac_f32_e32 v14, v22, v35
	;; [unrolled: 1-line block ×4, first 2 shown]
	v_fma_f32 v12, -v22, v36, v16
	v_fmac_f32_e32 v14, v21, v36
	v_fma_f32 v32, -v24, v36, v17
	v_fmac_f32_e32 v15, v23, v36
	global_load_dwordx4 v[21:24], v[8:9], off
	v_add_u32_e32 v9, 1, v29
	v_lshlrev_b64 v[16:17], 3, v[9:10]
	v_add_u32_e32 v9, -4, v7
	v_add_co_u32_e32 v16, vcc, s14, v16
	v_addc_co_u32_e32 v17, vcc, v20, v17, vcc
	global_load_dwordx2 v[16:17], v[16:17], off
	v_lshlrev_b64 v[30:31], 3, v[9:10]
	v_add_u32_e32 v9, 2, v29
	v_add_co_u32_e32 v30, vcc, s12, v30
	v_addc_co_u32_e32 v31, vcc, v19, v31, vcc
	s_waitcnt vmcnt(0)
	v_fmac_f32_e32 v12, v21, v16
	v_fmac_f32_e32 v14, v22, v16
	;; [unrolled: 1-line block ×4, first 2 shown]
	v_fma_f32 v8, -v22, v17, v12
	v_fmac_f32_e32 v14, v21, v17
	v_fma_f32 v12, -v24, v17, v32
	v_fmac_f32_e32 v15, v23, v17
	v_lshlrev_b64 v[16:17], 3, v[9:10]
	v_add_u32_e32 v9, -2, v7
	v_lshlrev_b64 v[21:22], 3, v[9:10]
	v_add_co_u32_e32 v16, vcc, s14, v16
	v_addc_co_u32_e32 v17, vcc, v20, v17, vcc
	v_add_co_u32_e32 v34, vcc, s12, v21
	v_addc_co_u32_e32 v35, vcc, v19, v22, vcc
	global_load_dwordx4 v[21:24], v[30:31], off
	global_load_dwordx2 v[36:37], v[16:17], off
	v_add_u32_e32 v9, 3, v29
	v_lshlrev_b64 v[32:33], 3, v[9:10]
	v_add_u32_e32 v9, 4, v29
	v_add_co_u32_e32 v16, vcc, s14, v32
	v_addc_co_u32_e32 v17, vcc, v20, v33, vcc
	v_add_u32_e32 v7, 0x50, v7
	s_waitcnt vmcnt(0)
	v_fmac_f32_e32 v8, v21, v36
	v_fma_f32 v31, -v22, v37, v8
	v_lshlrev_b64 v[8:9], 3, v[9:10]
	v_fmac_f32_e32 v14, v22, v36
	v_fmac_f32_e32 v12, v23, v36
	;; [unrolled: 1-line block ×4, first 2 shown]
	v_fma_f32 v12, -v24, v37, v12
	v_fmac_f32_e32 v15, v23, v37
	global_load_dwordx4 v[21:24], v[34:35], off
	global_load_dwordx2 v[29:30], v[16:17], off
	v_add_co_u32_e32 v8, vcc, s14, v8
	v_addc_co_u32_e32 v9, vcc, v20, v9, vcc
	global_load_dwordx2 v[8:9], v[8:9], off
	v_cmp_ge_i32_e32 vcc, v11, v13
	s_or_b64 s[8:9], vcc, s[8:9]
	s_waitcnt vmcnt(1)
	v_fmac_f32_e32 v31, v21, v29
	v_fmac_f32_e32 v14, v22, v29
	;; [unrolled: 1-line block ×4, first 2 shown]
	v_fma_f32 v16, -v22, v30, v31
	v_fmac_f32_e32 v14, v21, v30
	v_fma_f32 v12, -v24, v30, v12
	v_fmac_f32_e32 v15, v23, v30
	s_waitcnt vmcnt(0)
	v_fmac_f32_e32 v16, v25, v8
	v_fmac_f32_e32 v14, v26, v8
	;; [unrolled: 1-line block ×4, first 2 shown]
	v_fma_f32 v16, -v26, v9, v16
	v_fmac_f32_e32 v14, v25, v9
	v_fma_f32 v17, -v28, v9, v12
	v_fmac_f32_e32 v15, v27, v9
	s_andn2_b64 exec, exec, s[8:9]
	s_cbranch_execnz .LBB168_7
; %bb.8:
	s_or_b64 exec, exec, s[8:9]
.LBB168_9:
	s_or_b64 exec, exec, s[6:7]
	s_cbranch_execz .LBB168_11
	s_branch .LBB168_16
.LBB168_10:
                                        ; implicit-def: $vgpr14
                                        ; implicit-def: $vgpr16
                                        ; implicit-def: $vgpr17
                                        ; implicit-def: $vgpr15
.LBB168_11:
	v_mov_b32_e32 v14, 0
	v_mov_b32_e32 v16, 0
	;; [unrolled: 1-line block ×4, first 2 shown]
	s_and_saveexec_b64 s[6:7], s[0:1]
	s_cbranch_execz .LBB168_15
; %bb.12:
	v_mad_u64_u32 v[8:9], s[0:1], v6, 10, 9
	v_mov_b32_e32 v11, 0
	s_mov_b64 s[0:1], 0
	v_mov_b32_e32 v12, s11
	v_mov_b32_e32 v18, s13
	;; [unrolled: 1-line block ×7, first 2 shown]
.LBB168_13:                             ; =>This Inner Loop Header: Depth=1
	v_ashrrev_i32_e32 v7, 31, v6
	v_lshlrev_b64 v[22:23], 2, v[6:7]
	v_add_u32_e32 v10, -9, v8
	v_add_co_u32_e32 v22, vcc, s10, v22
	v_addc_co_u32_e32 v23, vcc, v12, v23, vcc
	global_load_dword v7, v[22:23], off
	v_lshlrev_b64 v[24:25], 3, v[10:11]
	v_add_u32_e32 v20, -4, v8
	v_mov_b32_e32 v21, v11
	v_lshlrev_b64 v[20:21], 3, v[20:21]
	v_add_co_u32_e32 v24, vcc, s12, v24
	v_mov_b32_e32 v9, v11
	v_addc_co_u32_e32 v25, vcc, v18, v25, vcc
	v_lshlrev_b64 v[9:10], 3, v[8:9]
	v_add_co_u32_e32 v20, vcc, s12, v20
	v_addc_co_u32_e32 v21, vcc, v18, v21, vcc
	v_add_co_u32_e32 v26, vcc, s12, v9
	v_addc_co_u32_e32 v27, vcc, v18, v10, vcc
	v_mov_b32_e32 v10, v11
	v_add_u32_e32 v6, 8, v6
	s_waitcnt vmcnt(0)
	v_subrev_u32_e32 v7, s2, v7
	v_lshl_add_u32 v9, v7, 2, v7
	v_lshlrev_b64 v[22:23], 3, v[9:10]
	v_add_u32_e32 v10, 1, v9
	v_add_co_u32_e32 v22, vcc, s14, v22
	v_addc_co_u32_e32 v23, vcc, v19, v23, vcc
	global_load_dwordx2 v[30:31], v[20:21], off
	global_load_dwordx2 v[32:33], v[22:23], off
	v_lshlrev_b64 v[28:29], 3, v[10:11]
	global_load_dwordx4 v[20:23], v[24:25], off
	v_add_co_u32_e32 v28, vcc, s14, v28
	v_addc_co_u32_e32 v29, vcc, v19, v29, vcc
	v_add_u32_e32 v10, -3, v8
	s_waitcnt vmcnt(1)
	v_fmac_f32_e32 v17, v30, v32
	v_fma_f32 v7, -v31, v33, v17
	s_waitcnt vmcnt(0)
	v_fmac_f32_e32 v16, v20, v32
	v_fmac_f32_e32 v14, v21, v32
	v_fma_f32 v21, -v21, v33, v16
	global_load_dwordx2 v[16:17], v[28:29], off
	v_fmac_f32_e32 v15, v31, v32
	v_fmac_f32_e32 v15, v30, v33
	;; [unrolled: 1-line block ×3, first 2 shown]
	s_waitcnt vmcnt(0)
	v_fmac_f32_e32 v21, v22, v16
	v_fma_f32 v30, -v23, v17, v21
	v_lshlrev_b64 v[20:21], 3, v[10:11]
	v_fmac_f32_e32 v14, v23, v16
	v_add_u32_e32 v10, -7, v8
	v_fmac_f32_e32 v14, v22, v17
	v_add_co_u32_e32 v20, vcc, s12, v20
	v_lshlrev_b64 v[22:23], 3, v[10:11]
	v_addc_co_u32_e32 v21, vcc, v18, v21, vcc
	v_add_co_u32_e32 v22, vcc, s12, v22
	v_addc_co_u32_e32 v23, vcc, v18, v23, vcc
	global_load_dwordx2 v[24:25], v[20:21], off
	global_load_dwordx2 v[28:29], v[22:23], off
	v_add_u32_e32 v10, 2, v9
	s_waitcnt vmcnt(1)
	v_fmac_f32_e32 v7, v24, v16
	v_fmac_f32_e32 v15, v25, v16
	v_fma_f32 v7, -v25, v17, v7
	v_fmac_f32_e32 v15, v24, v17
	v_lshlrev_b64 v[16:17], 3, v[10:11]
	v_add_u32_e32 v10, -2, v8
	v_add_co_u32_e32 v16, vcc, s14, v16
	v_addc_co_u32_e32 v17, vcc, v19, v17, vcc
	global_load_dwordx2 v[16:17], v[16:17], off
	v_lshlrev_b64 v[20:21], 3, v[10:11]
	v_add_u32_e32 v10, -6, v8
	v_add_co_u32_e32 v20, vcc, s12, v20
	v_lshlrev_b64 v[22:23], 3, v[10:11]
	v_addc_co_u32_e32 v21, vcc, v18, v21, vcc
	v_add_co_u32_e32 v22, vcc, s12, v22
	v_addc_co_u32_e32 v23, vcc, v18, v23, vcc
	v_add_u32_e32 v10, 3, v9
	s_waitcnt vmcnt(0)
	v_fmac_f32_e32 v30, v28, v16
	v_fmac_f32_e32 v14, v29, v16
	v_fma_f32 v30, -v29, v17, v30
	v_fmac_f32_e32 v14, v28, v17
	global_load_dwordx2 v[24:25], v[20:21], off
	global_load_dwordx2 v[28:29], v[22:23], off
	s_waitcnt vmcnt(1)
	v_fmac_f32_e32 v7, v24, v16
	v_fmac_f32_e32 v15, v25, v16
	v_fma_f32 v7, -v25, v17, v7
	v_fmac_f32_e32 v15, v24, v17
	v_lshlrev_b64 v[16:17], 3, v[10:11]
	v_add_u32_e32 v10, -1, v8
	v_add_co_u32_e32 v16, vcc, s14, v16
	v_addc_co_u32_e32 v17, vcc, v19, v17, vcc
	global_load_dwordx2 v[16:17], v[16:17], off
	v_lshlrev_b64 v[20:21], 3, v[10:11]
	v_add_u32_e32 v10, -5, v8
	v_lshlrev_b64 v[22:23], 3, v[10:11]
	v_add_co_u32_e32 v20, vcc, s12, v20
	v_add_u32_e32 v10, 4, v9
	v_addc_co_u32_e32 v21, vcc, v18, v21, vcc
	v_add_co_u32_e32 v22, vcc, s12, v22
	v_lshlrev_b64 v[9:10], 3, v[10:11]
	v_addc_co_u32_e32 v23, vcc, v18, v23, vcc
	v_add_co_u32_e32 v9, vcc, s14, v9
	v_addc_co_u32_e32 v10, vcc, v19, v10, vcc
	v_cmp_ge_i32_e32 vcc, v6, v13
	s_or_b64 s[0:1], vcc, s[0:1]
	v_add_u32_e32 v8, 0x50, v8
	s_waitcnt vmcnt(0)
	v_fmac_f32_e32 v30, v28, v16
	v_fmac_f32_e32 v14, v29, v16
	v_fma_f32 v34, -v29, v17, v30
	v_fmac_f32_e32 v14, v28, v17
	global_load_dwordx2 v[24:25], v[26:27], off
	global_load_dwordx2 v[28:29], v[20:21], off
	;; [unrolled: 1-line block ×4, first 2 shown]
	s_waitcnt vmcnt(2)
	v_fmac_f32_e32 v7, v28, v16
	v_fmac_f32_e32 v15, v29, v16
	v_fma_f32 v7, -v29, v17, v7
	v_fmac_f32_e32 v15, v28, v17
	s_waitcnt vmcnt(0)
	v_fmac_f32_e32 v34, v30, v32
	v_fmac_f32_e32 v14, v31, v32
	;; [unrolled: 1-line block ×4, first 2 shown]
	v_fma_f32 v16, -v31, v33, v34
	v_fmac_f32_e32 v14, v30, v33
	v_fma_f32 v17, -v25, v33, v7
	v_fmac_f32_e32 v15, v24, v33
	s_andn2_b64 exec, exec, s[0:1]
	s_cbranch_execnz .LBB168_13
; %bb.14:
	s_or_b64 exec, exec, s[0:1]
.LBB168_15:
	s_or_b64 exec, exec, s[6:7]
.LBB168_16:
	v_mov_b32_dpp v6, v16 row_shr:1 row_mask:0xf bank_mask:0xf
	v_mov_b32_dpp v8, v14 row_shr:1 row_mask:0xf bank_mask:0xf
	;; [unrolled: 1-line block ×4, first 2 shown]
	v_add_f32_e32 v6, v16, v6
	v_add_f32_e32 v8, v14, v8
	;; [unrolled: 1-line block ×4, first 2 shown]
	v_mov_b32_dpp v7, v6 row_shr:2 row_mask:0xf bank_mask:0xf
	v_mov_b32_dpp v9, v8 row_shr:2 row_mask:0xf bank_mask:0xf
	;; [unrolled: 1-line block ×4, first 2 shown]
	v_add_f32_e32 v6, v6, v7
	v_add_f32_e32 v8, v8, v9
	;; [unrolled: 1-line block ×4, first 2 shown]
	v_mov_b32_dpp v7, v6 row_shr:4 row_mask:0xf bank_mask:0xe
	v_mov_b32_dpp v9, v8 row_shr:4 row_mask:0xf bank_mask:0xe
	;; [unrolled: 1-line block ×4, first 2 shown]
	v_cmp_eq_u32_e32 vcc, 7, v0
	s_and_b64 exec, exec, vcc
	s_cbranch_execz .LBB168_21
; %bb.17:
	s_load_dwordx2 s[2:3], s[4:5], 0x38
	v_cmp_eq_f32_e32 vcc, 0, v3
	v_cmp_eq_f32_e64 s[0:1], 0, v4
	v_add_f32_e32 v7, v6, v7
	v_add_f32_e32 v8, v8, v9
	;; [unrolled: 1-line block ×4, first 2 shown]
	s_and_b64 s[0:1], vcc, s[0:1]
	s_and_saveexec_b64 s[4:5], s[0:1]
	s_xor_b64 s[0:1], exec, s[4:5]
	s_cbranch_execz .LBB168_19
; %bb.18:
	v_mul_f32_e64 v3, v8, -v2
	v_mul_f32_e32 v4, v1, v8
	v_fmac_f32_e32 v3, v1, v7
	v_fmac_f32_e32 v4, v2, v7
	v_lshlrev_b32_e32 v7, 1, v5
	v_ashrrev_i32_e32 v8, 31, v7
	v_lshlrev_b64 v[7:8], 3, v[7:8]
	s_waitcnt lgkmcnt(0)
	v_mov_b32_e32 v5, s3
	v_add_co_u32_e32 v7, vcc, s2, v7
	v_addc_co_u32_e32 v8, vcc, v5, v8, vcc
	v_mul_f32_e64 v5, v6, -v2
	v_mul_f32_e32 v6, v1, v6
	v_fmac_f32_e32 v5, v1, v0
	v_fmac_f32_e32 v6, v2, v0
	global_store_dwordx4 v[7:8], v[3:6], off
                                        ; implicit-def: $vgpr5
                                        ; implicit-def: $vgpr1_vgpr2
                                        ; implicit-def: $vgpr8
                                        ; implicit-def: $vgpr7
                                        ; implicit-def: $vgpr3_vgpr4
                                        ; implicit-def: $vgpr6
                                        ; implicit-def: $vgpr0
.LBB168_19:
	s_andn2_saveexec_b64 s[0:1], s[0:1]
	s_cbranch_execz .LBB168_21
; %bb.20:
	v_lshlrev_b32_e32 v9, 1, v5
	v_ashrrev_i32_e32 v10, 31, v9
	v_lshlrev_b64 v[9:10], 3, v[9:10]
	s_waitcnt lgkmcnt(0)
	v_mov_b32_e32 v5, s3
	v_add_co_u32_e32 v17, vcc, s2, v9
	v_addc_co_u32_e32 v18, vcc, v5, v10, vcc
	global_load_dwordx4 v[9:12], v[17:18], off
	v_mul_f32_e64 v5, v8, -v2
	v_mul_f32_e32 v14, v1, v8
	v_mul_f32_e64 v8, v6, -v2
	v_mul_f32_e32 v16, v1, v6
	v_fmac_f32_e32 v5, v1, v7
	v_fmac_f32_e32 v14, v2, v7
	;; [unrolled: 1-line block ×4, first 2 shown]
	s_waitcnt vmcnt(0)
	v_fmac_f32_e32 v5, v3, v9
	v_fmac_f32_e32 v14, v4, v9
	;; [unrolled: 1-line block ×4, first 2 shown]
	v_fma_f32 v13, -v4, v10, v5
	v_fmac_f32_e32 v14, v3, v10
	v_fma_f32 v15, -v4, v12, v8
	v_fmac_f32_e32 v16, v3, v12
	global_store_dwordx4 v[17:18], v[13:16], off
.LBB168_21:
	s_endpgm
	.section	.rodata,"a",@progbits
	.p2align	6, 0x0
	.amdhsa_kernel _ZN9rocsparseL19gebsrmvn_2xn_kernelILj128ELj5ELj8E21rocsparse_complex_numIfEEEvi20rocsparse_direction_NS_24const_host_device_scalarIT2_EEPKiS8_PKS5_SA_S6_PS5_21rocsparse_index_base_b
		.amdhsa_group_segment_fixed_size 0
		.amdhsa_private_segment_fixed_size 0
		.amdhsa_kernarg_size 72
		.amdhsa_user_sgpr_count 6
		.amdhsa_user_sgpr_private_segment_buffer 1
		.amdhsa_user_sgpr_dispatch_ptr 0
		.amdhsa_user_sgpr_queue_ptr 0
		.amdhsa_user_sgpr_kernarg_segment_ptr 1
		.amdhsa_user_sgpr_dispatch_id 0
		.amdhsa_user_sgpr_flat_scratch_init 0
		.amdhsa_user_sgpr_private_segment_size 0
		.amdhsa_uses_dynamic_stack 0
		.amdhsa_system_sgpr_private_segment_wavefront_offset 0
		.amdhsa_system_sgpr_workgroup_id_x 1
		.amdhsa_system_sgpr_workgroup_id_y 0
		.amdhsa_system_sgpr_workgroup_id_z 0
		.amdhsa_system_sgpr_workgroup_info 0
		.amdhsa_system_vgpr_workitem_id 0
		.amdhsa_next_free_vgpr 38
		.amdhsa_next_free_sgpr 16
		.amdhsa_reserve_vcc 1
		.amdhsa_reserve_flat_scratch 0
		.amdhsa_float_round_mode_32 0
		.amdhsa_float_round_mode_16_64 0
		.amdhsa_float_denorm_mode_32 3
		.amdhsa_float_denorm_mode_16_64 3
		.amdhsa_dx10_clamp 1
		.amdhsa_ieee_mode 1
		.amdhsa_fp16_overflow 0
		.amdhsa_exception_fp_ieee_invalid_op 0
		.amdhsa_exception_fp_denorm_src 0
		.amdhsa_exception_fp_ieee_div_zero 0
		.amdhsa_exception_fp_ieee_overflow 0
		.amdhsa_exception_fp_ieee_underflow 0
		.amdhsa_exception_fp_ieee_inexact 0
		.amdhsa_exception_int_div_zero 0
	.end_amdhsa_kernel
	.section	.text._ZN9rocsparseL19gebsrmvn_2xn_kernelILj128ELj5ELj8E21rocsparse_complex_numIfEEEvi20rocsparse_direction_NS_24const_host_device_scalarIT2_EEPKiS8_PKS5_SA_S6_PS5_21rocsparse_index_base_b,"axG",@progbits,_ZN9rocsparseL19gebsrmvn_2xn_kernelILj128ELj5ELj8E21rocsparse_complex_numIfEEEvi20rocsparse_direction_NS_24const_host_device_scalarIT2_EEPKiS8_PKS5_SA_S6_PS5_21rocsparse_index_base_b,comdat
.Lfunc_end168:
	.size	_ZN9rocsparseL19gebsrmvn_2xn_kernelILj128ELj5ELj8E21rocsparse_complex_numIfEEEvi20rocsparse_direction_NS_24const_host_device_scalarIT2_EEPKiS8_PKS5_SA_S6_PS5_21rocsparse_index_base_b, .Lfunc_end168-_ZN9rocsparseL19gebsrmvn_2xn_kernelILj128ELj5ELj8E21rocsparse_complex_numIfEEEvi20rocsparse_direction_NS_24const_host_device_scalarIT2_EEPKiS8_PKS5_SA_S6_PS5_21rocsparse_index_base_b
                                        ; -- End function
	.set _ZN9rocsparseL19gebsrmvn_2xn_kernelILj128ELj5ELj8E21rocsparse_complex_numIfEEEvi20rocsparse_direction_NS_24const_host_device_scalarIT2_EEPKiS8_PKS5_SA_S6_PS5_21rocsparse_index_base_b.num_vgpr, 38
	.set _ZN9rocsparseL19gebsrmvn_2xn_kernelILj128ELj5ELj8E21rocsparse_complex_numIfEEEvi20rocsparse_direction_NS_24const_host_device_scalarIT2_EEPKiS8_PKS5_SA_S6_PS5_21rocsparse_index_base_b.num_agpr, 0
	.set _ZN9rocsparseL19gebsrmvn_2xn_kernelILj128ELj5ELj8E21rocsparse_complex_numIfEEEvi20rocsparse_direction_NS_24const_host_device_scalarIT2_EEPKiS8_PKS5_SA_S6_PS5_21rocsparse_index_base_b.numbered_sgpr, 16
	.set _ZN9rocsparseL19gebsrmvn_2xn_kernelILj128ELj5ELj8E21rocsparse_complex_numIfEEEvi20rocsparse_direction_NS_24const_host_device_scalarIT2_EEPKiS8_PKS5_SA_S6_PS5_21rocsparse_index_base_b.num_named_barrier, 0
	.set _ZN9rocsparseL19gebsrmvn_2xn_kernelILj128ELj5ELj8E21rocsparse_complex_numIfEEEvi20rocsparse_direction_NS_24const_host_device_scalarIT2_EEPKiS8_PKS5_SA_S6_PS5_21rocsparse_index_base_b.private_seg_size, 0
	.set _ZN9rocsparseL19gebsrmvn_2xn_kernelILj128ELj5ELj8E21rocsparse_complex_numIfEEEvi20rocsparse_direction_NS_24const_host_device_scalarIT2_EEPKiS8_PKS5_SA_S6_PS5_21rocsparse_index_base_b.uses_vcc, 1
	.set _ZN9rocsparseL19gebsrmvn_2xn_kernelILj128ELj5ELj8E21rocsparse_complex_numIfEEEvi20rocsparse_direction_NS_24const_host_device_scalarIT2_EEPKiS8_PKS5_SA_S6_PS5_21rocsparse_index_base_b.uses_flat_scratch, 0
	.set _ZN9rocsparseL19gebsrmvn_2xn_kernelILj128ELj5ELj8E21rocsparse_complex_numIfEEEvi20rocsparse_direction_NS_24const_host_device_scalarIT2_EEPKiS8_PKS5_SA_S6_PS5_21rocsparse_index_base_b.has_dyn_sized_stack, 0
	.set _ZN9rocsparseL19gebsrmvn_2xn_kernelILj128ELj5ELj8E21rocsparse_complex_numIfEEEvi20rocsparse_direction_NS_24const_host_device_scalarIT2_EEPKiS8_PKS5_SA_S6_PS5_21rocsparse_index_base_b.has_recursion, 0
	.set _ZN9rocsparseL19gebsrmvn_2xn_kernelILj128ELj5ELj8E21rocsparse_complex_numIfEEEvi20rocsparse_direction_NS_24const_host_device_scalarIT2_EEPKiS8_PKS5_SA_S6_PS5_21rocsparse_index_base_b.has_indirect_call, 0
	.section	.AMDGPU.csdata,"",@progbits
; Kernel info:
; codeLenInByte = 2128
; TotalNumSgprs: 20
; NumVgprs: 38
; ScratchSize: 0
; MemoryBound: 0
; FloatMode: 240
; IeeeMode: 1
; LDSByteSize: 0 bytes/workgroup (compile time only)
; SGPRBlocks: 2
; VGPRBlocks: 9
; NumSGPRsForWavesPerEU: 20
; NumVGPRsForWavesPerEU: 38
; Occupancy: 6
; WaveLimiterHint : 1
; COMPUTE_PGM_RSRC2:SCRATCH_EN: 0
; COMPUTE_PGM_RSRC2:USER_SGPR: 6
; COMPUTE_PGM_RSRC2:TRAP_HANDLER: 0
; COMPUTE_PGM_RSRC2:TGID_X_EN: 1
; COMPUTE_PGM_RSRC2:TGID_Y_EN: 0
; COMPUTE_PGM_RSRC2:TGID_Z_EN: 0
; COMPUTE_PGM_RSRC2:TIDIG_COMP_CNT: 0
	.section	.text._ZN9rocsparseL19gebsrmvn_2xn_kernelILj128ELj5ELj16E21rocsparse_complex_numIfEEEvi20rocsparse_direction_NS_24const_host_device_scalarIT2_EEPKiS8_PKS5_SA_S6_PS5_21rocsparse_index_base_b,"axG",@progbits,_ZN9rocsparseL19gebsrmvn_2xn_kernelILj128ELj5ELj16E21rocsparse_complex_numIfEEEvi20rocsparse_direction_NS_24const_host_device_scalarIT2_EEPKiS8_PKS5_SA_S6_PS5_21rocsparse_index_base_b,comdat
	.globl	_ZN9rocsparseL19gebsrmvn_2xn_kernelILj128ELj5ELj16E21rocsparse_complex_numIfEEEvi20rocsparse_direction_NS_24const_host_device_scalarIT2_EEPKiS8_PKS5_SA_S6_PS5_21rocsparse_index_base_b ; -- Begin function _ZN9rocsparseL19gebsrmvn_2xn_kernelILj128ELj5ELj16E21rocsparse_complex_numIfEEEvi20rocsparse_direction_NS_24const_host_device_scalarIT2_EEPKiS8_PKS5_SA_S6_PS5_21rocsparse_index_base_b
	.p2align	8
	.type	_ZN9rocsparseL19gebsrmvn_2xn_kernelILj128ELj5ELj16E21rocsparse_complex_numIfEEEvi20rocsparse_direction_NS_24const_host_device_scalarIT2_EEPKiS8_PKS5_SA_S6_PS5_21rocsparse_index_base_b,@function
_ZN9rocsparseL19gebsrmvn_2xn_kernelILj128ELj5ELj16E21rocsparse_complex_numIfEEEvi20rocsparse_direction_NS_24const_host_device_scalarIT2_EEPKiS8_PKS5_SA_S6_PS5_21rocsparse_index_base_b: ; @_ZN9rocsparseL19gebsrmvn_2xn_kernelILj128ELj5ELj16E21rocsparse_complex_numIfEEEvi20rocsparse_direction_NS_24const_host_device_scalarIT2_EEPKiS8_PKS5_SA_S6_PS5_21rocsparse_index_base_b
; %bb.0:
	s_load_dwordx2 s[0:1], s[4:5], 0x8
	s_load_dwordx2 s[8:9], s[4:5], 0x30
	;; [unrolled: 1-line block ×3, first 2 shown]
	s_add_u32 s7, s4, 8
	s_addc_u32 s10, s5, 0
	s_add_u32 s11, s4, 48
	s_addc_u32 s12, s5, 0
	s_waitcnt lgkmcnt(0)
	s_bitcmp1_b32 s3, 0
	s_cselect_b32 s1, s10, s1
	s_cselect_b32 s0, s7, s0
	v_mov_b32_e32 v1, s0
	v_mov_b32_e32 v2, s1
	flat_load_dwordx2 v[1:2], v[1:2]
	s_cselect_b32 s0, s12, s9
	s_cselect_b32 s1, s11, s8
	v_mov_b32_e32 v3, s1
	v_mov_b32_e32 v4, s0
	flat_load_dwordx2 v[3:4], v[3:4]
	s_waitcnt vmcnt(0) lgkmcnt(0)
	v_cmp_eq_f32_e32 vcc, 0, v1
	v_cmp_eq_f32_e64 s[0:1], 0, v2
	s_and_b64 s[10:11], vcc, s[0:1]
	s_mov_b64 s[0:1], -1
	s_and_saveexec_b64 s[8:9], s[10:11]
; %bb.1:
	v_cmp_neq_f32_e32 vcc, 1.0, v3
	v_cmp_neq_f32_e64 s[0:1], 0, v4
	s_or_b64 s[0:1], vcc, s[0:1]
	s_orn2_b64 s[0:1], s[0:1], exec
; %bb.2:
	s_or_b64 exec, exec, s[8:9]
	s_and_saveexec_b64 s[8:9], s[0:1]
	s_cbranch_execz .LBB169_21
; %bb.3:
	s_load_dwordx2 s[0:1], s[4:5], 0x0
	v_lshrrev_b32_e32 v5, 4, v0
	v_lshl_or_b32 v5, s6, 3, v5
	s_waitcnt lgkmcnt(0)
	v_cmp_gt_i32_e32 vcc, s0, v5
	s_and_b64 exec, exec, vcc
	s_cbranch_execz .LBB169_21
; %bb.4:
	s_load_dwordx8 s[8:15], s[4:5], 0x10
	v_ashrrev_i32_e32 v6, 31, v5
	v_lshlrev_b64 v[6:7], 2, v[5:6]
	v_and_b32_e32 v0, 15, v0
	s_cmp_lg_u32 s1, 0
	s_waitcnt lgkmcnt(0)
	v_mov_b32_e32 v8, s9
	v_add_co_u32_e32 v6, vcc, s8, v6
	v_addc_co_u32_e32 v7, vcc, v8, v7, vcc
	global_load_dwordx2 v[6:7], v[6:7], off
	s_waitcnt vmcnt(0)
	v_subrev_u32_e32 v6, s2, v6
	v_subrev_u32_e32 v13, s2, v7
	v_add_u32_e32 v6, v6, v0
	v_cmp_lt_i32_e64 s[0:1], v6, v13
	s_cbranch_scc0 .LBB169_10
; %bb.5:
	v_mov_b32_e32 v14, 0
	v_mov_b32_e32 v17, 0
	;; [unrolled: 1-line block ×4, first 2 shown]
	s_and_saveexec_b64 s[6:7], s[0:1]
	s_cbranch_execz .LBB169_9
; %bb.6:
	v_mad_u64_u32 v[7:8], s[8:9], v6, 10, 8
	v_mov_b32_e32 v10, 0
	s_mov_b64 s[8:9], 0
	v_mov_b32_e32 v18, s11
	v_mov_b32_e32 v19, s13
	;; [unrolled: 1-line block ×8, first 2 shown]
.LBB169_7:                              ; =>This Inner Loop Header: Depth=1
	v_ashrrev_i32_e32 v12, 31, v11
	v_lshlrev_b64 v[21:22], 2, v[11:12]
	v_add_u32_e32 v9, -8, v7
	v_lshlrev_b64 v[23:24], 3, v[9:10]
	v_add_co_u32_e32 v27, vcc, s10, v21
	v_addc_co_u32_e32 v28, vcc, v18, v22, vcc
	v_add_co_u32_e32 v31, vcc, s12, v23
	v_addc_co_u32_e32 v32, vcc, v19, v24, vcc
	global_load_dword v12, v[27:28], off
	global_load_dwordx4 v[21:24], v[31:32], off
	v_mov_b32_e32 v8, v10
	v_lshlrev_b64 v[25:26], 3, v[7:8]
	v_add_u32_e32 v9, -6, v7
	v_lshlrev_b64 v[8:9], 3, v[9:10]
	v_add_co_u32_e32 v33, vcc, s12, v25
	v_mov_b32_e32 v30, v10
	v_addc_co_u32_e32 v34, vcc, v19, v26, vcc
	v_add_co_u32_e32 v8, vcc, s12, v8
	v_addc_co_u32_e32 v9, vcc, v19, v9, vcc
	v_add_u32_e32 v11, 16, v11
	s_waitcnt vmcnt(1)
	v_subrev_u32_e32 v12, s2, v12
	v_lshl_add_u32 v29, v12, 2, v12
	v_lshlrev_b64 v[25:26], 3, v[29:30]
	v_add_co_u32_e32 v30, vcc, s14, v25
	v_addc_co_u32_e32 v31, vcc, v20, v26, vcc
	global_load_dwordx4 v[25:28], v[33:34], off
	global_load_dwordx2 v[35:36], v[30:31], off
	s_waitcnt vmcnt(0)
	v_fmac_f32_e32 v17, v21, v35
	v_fmac_f32_e32 v14, v22, v35
	;; [unrolled: 1-line block ×4, first 2 shown]
	v_fma_f32 v12, -v22, v36, v17
	v_fmac_f32_e32 v14, v21, v36
	v_fma_f32 v32, -v24, v36, v16
	v_fmac_f32_e32 v15, v23, v36
	global_load_dwordx4 v[21:24], v[8:9], off
	v_add_u32_e32 v9, 1, v29
	v_lshlrev_b64 v[16:17], 3, v[9:10]
	v_add_u32_e32 v9, -4, v7
	v_add_co_u32_e32 v16, vcc, s14, v16
	v_addc_co_u32_e32 v17, vcc, v20, v17, vcc
	global_load_dwordx2 v[16:17], v[16:17], off
	v_lshlrev_b64 v[30:31], 3, v[9:10]
	v_add_u32_e32 v9, 2, v29
	v_add_co_u32_e32 v30, vcc, s12, v30
	v_addc_co_u32_e32 v31, vcc, v19, v31, vcc
	s_waitcnt vmcnt(0)
	v_fmac_f32_e32 v12, v21, v16
	v_fmac_f32_e32 v14, v22, v16
	;; [unrolled: 1-line block ×4, first 2 shown]
	v_fma_f32 v8, -v22, v17, v12
	v_fmac_f32_e32 v14, v21, v17
	v_fma_f32 v12, -v24, v17, v32
	v_fmac_f32_e32 v15, v23, v17
	v_lshlrev_b64 v[16:17], 3, v[9:10]
	v_add_u32_e32 v9, -2, v7
	v_lshlrev_b64 v[21:22], 3, v[9:10]
	v_add_co_u32_e32 v16, vcc, s14, v16
	v_addc_co_u32_e32 v17, vcc, v20, v17, vcc
	v_add_co_u32_e32 v34, vcc, s12, v21
	v_addc_co_u32_e32 v35, vcc, v19, v22, vcc
	global_load_dwordx4 v[21:24], v[30:31], off
	global_load_dwordx2 v[36:37], v[16:17], off
	v_add_u32_e32 v9, 3, v29
	v_lshlrev_b64 v[32:33], 3, v[9:10]
	v_add_u32_e32 v9, 4, v29
	v_add_co_u32_e32 v16, vcc, s14, v32
	v_addc_co_u32_e32 v17, vcc, v20, v33, vcc
	v_add_u32_e32 v7, 0xa0, v7
	s_waitcnt vmcnt(0)
	v_fmac_f32_e32 v8, v21, v36
	v_fma_f32 v31, -v22, v37, v8
	v_lshlrev_b64 v[8:9], 3, v[9:10]
	v_fmac_f32_e32 v14, v22, v36
	v_fmac_f32_e32 v12, v23, v36
	;; [unrolled: 1-line block ×4, first 2 shown]
	v_fma_f32 v12, -v24, v37, v12
	v_fmac_f32_e32 v15, v23, v37
	global_load_dwordx4 v[21:24], v[34:35], off
	global_load_dwordx2 v[29:30], v[16:17], off
	v_add_co_u32_e32 v8, vcc, s14, v8
	v_addc_co_u32_e32 v9, vcc, v20, v9, vcc
	global_load_dwordx2 v[8:9], v[8:9], off
	v_cmp_ge_i32_e32 vcc, v11, v13
	s_or_b64 s[8:9], vcc, s[8:9]
	s_waitcnt vmcnt(1)
	v_fmac_f32_e32 v31, v21, v29
	v_fmac_f32_e32 v14, v22, v29
	;; [unrolled: 1-line block ×4, first 2 shown]
	v_fma_f32 v16, -v22, v30, v31
	v_fmac_f32_e32 v14, v21, v30
	v_fma_f32 v12, -v24, v30, v12
	v_fmac_f32_e32 v15, v23, v30
	s_waitcnt vmcnt(0)
	v_fmac_f32_e32 v16, v25, v8
	v_fmac_f32_e32 v14, v26, v8
	v_fmac_f32_e32 v12, v27, v8
	v_fmac_f32_e32 v15, v28, v8
	v_fma_f32 v17, -v26, v9, v16
	v_fmac_f32_e32 v14, v25, v9
	v_fma_f32 v16, -v28, v9, v12
	v_fmac_f32_e32 v15, v27, v9
	s_andn2_b64 exec, exec, s[8:9]
	s_cbranch_execnz .LBB169_7
; %bb.8:
	s_or_b64 exec, exec, s[8:9]
.LBB169_9:
	s_or_b64 exec, exec, s[6:7]
	s_cbranch_execz .LBB169_11
	s_branch .LBB169_16
.LBB169_10:
                                        ; implicit-def: $vgpr14
                                        ; implicit-def: $vgpr17
                                        ; implicit-def: $vgpr16
                                        ; implicit-def: $vgpr15
.LBB169_11:
	v_mov_b32_e32 v14, 0
	v_mov_b32_e32 v17, 0
	;; [unrolled: 1-line block ×4, first 2 shown]
	s_and_saveexec_b64 s[6:7], s[0:1]
	s_cbranch_execz .LBB169_15
; %bb.12:
	v_mad_u64_u32 v[8:9], s[0:1], v6, 10, 9
	v_mov_b32_e32 v11, 0
	s_mov_b64 s[0:1], 0
	v_mov_b32_e32 v12, s11
	v_mov_b32_e32 v18, s13
	;; [unrolled: 1-line block ×7, first 2 shown]
.LBB169_13:                             ; =>This Inner Loop Header: Depth=1
	v_ashrrev_i32_e32 v7, 31, v6
	v_lshlrev_b64 v[22:23], 2, v[6:7]
	v_add_u32_e32 v10, -9, v8
	v_add_co_u32_e32 v22, vcc, s10, v22
	v_addc_co_u32_e32 v23, vcc, v12, v23, vcc
	global_load_dword v7, v[22:23], off
	v_lshlrev_b64 v[24:25], 3, v[10:11]
	v_add_u32_e32 v20, -4, v8
	v_mov_b32_e32 v21, v11
	v_lshlrev_b64 v[20:21], 3, v[20:21]
	v_add_co_u32_e32 v24, vcc, s12, v24
	v_mov_b32_e32 v9, v11
	v_addc_co_u32_e32 v25, vcc, v18, v25, vcc
	v_lshlrev_b64 v[9:10], 3, v[8:9]
	v_add_co_u32_e32 v20, vcc, s12, v20
	v_addc_co_u32_e32 v21, vcc, v18, v21, vcc
	v_add_co_u32_e32 v26, vcc, s12, v9
	v_addc_co_u32_e32 v27, vcc, v18, v10, vcc
	v_mov_b32_e32 v10, v11
	v_add_u32_e32 v6, 16, v6
	s_waitcnt vmcnt(0)
	v_subrev_u32_e32 v7, s2, v7
	v_lshl_add_u32 v9, v7, 2, v7
	v_lshlrev_b64 v[22:23], 3, v[9:10]
	v_add_u32_e32 v10, 1, v9
	v_add_co_u32_e32 v22, vcc, s14, v22
	v_addc_co_u32_e32 v23, vcc, v19, v23, vcc
	global_load_dwordx2 v[30:31], v[20:21], off
	global_load_dwordx2 v[32:33], v[22:23], off
	v_lshlrev_b64 v[28:29], 3, v[10:11]
	global_load_dwordx4 v[20:23], v[24:25], off
	v_add_co_u32_e32 v28, vcc, s14, v28
	v_addc_co_u32_e32 v29, vcc, v19, v29, vcc
	v_add_u32_e32 v10, -3, v8
	s_waitcnt vmcnt(1)
	v_fmac_f32_e32 v16, v30, v32
	v_fma_f32 v7, -v31, v33, v16
	s_waitcnt vmcnt(0)
	v_fmac_f32_e32 v17, v20, v32
	v_fmac_f32_e32 v14, v21, v32
	v_fma_f32 v21, -v21, v33, v17
	global_load_dwordx2 v[16:17], v[28:29], off
	v_fmac_f32_e32 v15, v31, v32
	v_fmac_f32_e32 v15, v30, v33
	;; [unrolled: 1-line block ×3, first 2 shown]
	s_waitcnt vmcnt(0)
	v_fmac_f32_e32 v21, v22, v16
	v_fma_f32 v30, -v23, v17, v21
	v_lshlrev_b64 v[20:21], 3, v[10:11]
	v_fmac_f32_e32 v14, v23, v16
	v_add_u32_e32 v10, -7, v8
	v_fmac_f32_e32 v14, v22, v17
	v_add_co_u32_e32 v20, vcc, s12, v20
	v_lshlrev_b64 v[22:23], 3, v[10:11]
	v_addc_co_u32_e32 v21, vcc, v18, v21, vcc
	v_add_co_u32_e32 v22, vcc, s12, v22
	v_addc_co_u32_e32 v23, vcc, v18, v23, vcc
	global_load_dwordx2 v[24:25], v[20:21], off
	global_load_dwordx2 v[28:29], v[22:23], off
	v_add_u32_e32 v10, 2, v9
	s_waitcnt vmcnt(1)
	v_fmac_f32_e32 v7, v24, v16
	v_fmac_f32_e32 v15, v25, v16
	v_fma_f32 v7, -v25, v17, v7
	v_fmac_f32_e32 v15, v24, v17
	v_lshlrev_b64 v[16:17], 3, v[10:11]
	v_add_u32_e32 v10, -2, v8
	v_add_co_u32_e32 v16, vcc, s14, v16
	v_addc_co_u32_e32 v17, vcc, v19, v17, vcc
	global_load_dwordx2 v[16:17], v[16:17], off
	v_lshlrev_b64 v[20:21], 3, v[10:11]
	v_add_u32_e32 v10, -6, v8
	v_add_co_u32_e32 v20, vcc, s12, v20
	v_lshlrev_b64 v[22:23], 3, v[10:11]
	v_addc_co_u32_e32 v21, vcc, v18, v21, vcc
	v_add_co_u32_e32 v22, vcc, s12, v22
	v_addc_co_u32_e32 v23, vcc, v18, v23, vcc
	v_add_u32_e32 v10, 3, v9
	s_waitcnt vmcnt(0)
	v_fmac_f32_e32 v30, v28, v16
	v_fmac_f32_e32 v14, v29, v16
	v_fma_f32 v30, -v29, v17, v30
	v_fmac_f32_e32 v14, v28, v17
	global_load_dwordx2 v[24:25], v[20:21], off
	global_load_dwordx2 v[28:29], v[22:23], off
	s_waitcnt vmcnt(1)
	v_fmac_f32_e32 v7, v24, v16
	v_fmac_f32_e32 v15, v25, v16
	v_fma_f32 v7, -v25, v17, v7
	v_fmac_f32_e32 v15, v24, v17
	v_lshlrev_b64 v[16:17], 3, v[10:11]
	v_add_u32_e32 v10, -1, v8
	v_add_co_u32_e32 v16, vcc, s14, v16
	v_addc_co_u32_e32 v17, vcc, v19, v17, vcc
	global_load_dwordx2 v[16:17], v[16:17], off
	v_lshlrev_b64 v[20:21], 3, v[10:11]
	v_add_u32_e32 v10, -5, v8
	v_lshlrev_b64 v[22:23], 3, v[10:11]
	v_add_co_u32_e32 v20, vcc, s12, v20
	v_add_u32_e32 v10, 4, v9
	v_addc_co_u32_e32 v21, vcc, v18, v21, vcc
	v_add_co_u32_e32 v22, vcc, s12, v22
	v_lshlrev_b64 v[9:10], 3, v[10:11]
	v_addc_co_u32_e32 v23, vcc, v18, v23, vcc
	v_add_co_u32_e32 v9, vcc, s14, v9
	v_addc_co_u32_e32 v10, vcc, v19, v10, vcc
	v_cmp_ge_i32_e32 vcc, v6, v13
	s_or_b64 s[0:1], vcc, s[0:1]
	v_add_u32_e32 v8, 0xa0, v8
	s_waitcnt vmcnt(0)
	v_fmac_f32_e32 v30, v28, v16
	v_fmac_f32_e32 v14, v29, v16
	v_fma_f32 v34, -v29, v17, v30
	v_fmac_f32_e32 v14, v28, v17
	global_load_dwordx2 v[24:25], v[26:27], off
	global_load_dwordx2 v[28:29], v[20:21], off
	;; [unrolled: 1-line block ×4, first 2 shown]
	s_waitcnt vmcnt(2)
	v_fmac_f32_e32 v7, v28, v16
	v_fmac_f32_e32 v15, v29, v16
	v_fma_f32 v7, -v29, v17, v7
	v_fmac_f32_e32 v15, v28, v17
	s_waitcnt vmcnt(0)
	v_fmac_f32_e32 v34, v30, v32
	v_fmac_f32_e32 v14, v31, v32
	;; [unrolled: 1-line block ×4, first 2 shown]
	v_fma_f32 v17, -v31, v33, v34
	v_fmac_f32_e32 v14, v30, v33
	v_fma_f32 v16, -v25, v33, v7
	v_fmac_f32_e32 v15, v24, v33
	s_andn2_b64 exec, exec, s[0:1]
	s_cbranch_execnz .LBB169_13
; %bb.14:
	s_or_b64 exec, exec, s[0:1]
.LBB169_15:
	s_or_b64 exec, exec, s[6:7]
.LBB169_16:
	v_mov_b32_dpp v6, v17 row_shr:1 row_mask:0xf bank_mask:0xf
	v_mov_b32_dpp v8, v14 row_shr:1 row_mask:0xf bank_mask:0xf
	v_mov_b32_dpp v10, v16 row_shr:1 row_mask:0xf bank_mask:0xf
	v_mov_b32_dpp v12, v15 row_shr:1 row_mask:0xf bank_mask:0xf
	v_add_f32_e32 v6, v17, v6
	v_add_f32_e32 v8, v14, v8
	v_add_f32_e32 v10, v16, v10
	v_add_f32_e32 v12, v15, v12
	v_mov_b32_dpp v7, v6 row_shr:2 row_mask:0xf bank_mask:0xf
	v_mov_b32_dpp v9, v8 row_shr:2 row_mask:0xf bank_mask:0xf
	v_mov_b32_dpp v11, v10 row_shr:2 row_mask:0xf bank_mask:0xf
	v_mov_b32_dpp v13, v12 row_shr:2 row_mask:0xf bank_mask:0xf
	v_add_f32_e32 v6, v6, v7
	v_add_f32_e32 v8, v8, v9
	v_add_f32_e32 v10, v10, v11
	v_add_f32_e32 v12, v12, v13
	;; [unrolled: 8-line block ×3, first 2 shown]
	v_mov_b32_dpp v7, v6 row_shr:8 row_mask:0xf bank_mask:0xc
	v_mov_b32_dpp v9, v8 row_shr:8 row_mask:0xf bank_mask:0xc
	;; [unrolled: 1-line block ×4, first 2 shown]
	v_cmp_eq_u32_e32 vcc, 15, v0
	s_and_b64 exec, exec, vcc
	s_cbranch_execz .LBB169_21
; %bb.17:
	s_load_dwordx2 s[2:3], s[4:5], 0x38
	v_cmp_eq_f32_e32 vcc, 0, v3
	v_cmp_eq_f32_e64 s[0:1], 0, v4
	v_add_f32_e32 v7, v6, v7
	v_add_f32_e32 v8, v8, v9
	;; [unrolled: 1-line block ×4, first 2 shown]
	s_and_b64 s[0:1], vcc, s[0:1]
	s_and_saveexec_b64 s[4:5], s[0:1]
	s_xor_b64 s[0:1], exec, s[4:5]
	s_cbranch_execz .LBB169_19
; %bb.18:
	v_mul_f32_e64 v3, v8, -v2
	v_mul_f32_e32 v4, v1, v8
	v_fmac_f32_e32 v3, v1, v7
	v_fmac_f32_e32 v4, v2, v7
	v_lshlrev_b32_e32 v7, 1, v5
	v_ashrrev_i32_e32 v8, 31, v7
	v_lshlrev_b64 v[7:8], 3, v[7:8]
	s_waitcnt lgkmcnt(0)
	v_mov_b32_e32 v5, s3
	v_add_co_u32_e32 v7, vcc, s2, v7
	v_addc_co_u32_e32 v8, vcc, v5, v8, vcc
	v_mul_f32_e64 v5, v6, -v2
	v_mul_f32_e32 v6, v1, v6
	v_fmac_f32_e32 v5, v1, v0
	v_fmac_f32_e32 v6, v2, v0
	global_store_dwordx4 v[7:8], v[3:6], off
                                        ; implicit-def: $vgpr5
                                        ; implicit-def: $vgpr1_vgpr2
                                        ; implicit-def: $vgpr8
                                        ; implicit-def: $vgpr7
                                        ; implicit-def: $vgpr3_vgpr4
                                        ; implicit-def: $vgpr6
                                        ; implicit-def: $vgpr0
.LBB169_19:
	s_andn2_saveexec_b64 s[0:1], s[0:1]
	s_cbranch_execz .LBB169_21
; %bb.20:
	v_lshlrev_b32_e32 v9, 1, v5
	v_ashrrev_i32_e32 v10, 31, v9
	v_lshlrev_b64 v[9:10], 3, v[9:10]
	s_waitcnt lgkmcnt(0)
	v_mov_b32_e32 v5, s3
	v_add_co_u32_e32 v17, vcc, s2, v9
	v_addc_co_u32_e32 v18, vcc, v5, v10, vcc
	global_load_dwordx4 v[9:12], v[17:18], off
	v_mul_f32_e64 v5, v8, -v2
	v_mul_f32_e32 v14, v1, v8
	v_mul_f32_e64 v8, v6, -v2
	v_mul_f32_e32 v16, v1, v6
	v_fmac_f32_e32 v5, v1, v7
	v_fmac_f32_e32 v14, v2, v7
	;; [unrolled: 1-line block ×4, first 2 shown]
	s_waitcnt vmcnt(0)
	v_fmac_f32_e32 v5, v3, v9
	v_fmac_f32_e32 v14, v4, v9
	;; [unrolled: 1-line block ×4, first 2 shown]
	v_fma_f32 v13, -v4, v10, v5
	v_fmac_f32_e32 v14, v3, v10
	v_fma_f32 v15, -v4, v12, v8
	v_fmac_f32_e32 v16, v3, v12
	global_store_dwordx4 v[17:18], v[13:16], off
.LBB169_21:
	s_endpgm
	.section	.rodata,"a",@progbits
	.p2align	6, 0x0
	.amdhsa_kernel _ZN9rocsparseL19gebsrmvn_2xn_kernelILj128ELj5ELj16E21rocsparse_complex_numIfEEEvi20rocsparse_direction_NS_24const_host_device_scalarIT2_EEPKiS8_PKS5_SA_S6_PS5_21rocsparse_index_base_b
		.amdhsa_group_segment_fixed_size 0
		.amdhsa_private_segment_fixed_size 0
		.amdhsa_kernarg_size 72
		.amdhsa_user_sgpr_count 6
		.amdhsa_user_sgpr_private_segment_buffer 1
		.amdhsa_user_sgpr_dispatch_ptr 0
		.amdhsa_user_sgpr_queue_ptr 0
		.amdhsa_user_sgpr_kernarg_segment_ptr 1
		.amdhsa_user_sgpr_dispatch_id 0
		.amdhsa_user_sgpr_flat_scratch_init 0
		.amdhsa_user_sgpr_private_segment_size 0
		.amdhsa_uses_dynamic_stack 0
		.amdhsa_system_sgpr_private_segment_wavefront_offset 0
		.amdhsa_system_sgpr_workgroup_id_x 1
		.amdhsa_system_sgpr_workgroup_id_y 0
		.amdhsa_system_sgpr_workgroup_id_z 0
		.amdhsa_system_sgpr_workgroup_info 0
		.amdhsa_system_vgpr_workitem_id 0
		.amdhsa_next_free_vgpr 38
		.amdhsa_next_free_sgpr 16
		.amdhsa_reserve_vcc 1
		.amdhsa_reserve_flat_scratch 0
		.amdhsa_float_round_mode_32 0
		.amdhsa_float_round_mode_16_64 0
		.amdhsa_float_denorm_mode_32 3
		.amdhsa_float_denorm_mode_16_64 3
		.amdhsa_dx10_clamp 1
		.amdhsa_ieee_mode 1
		.amdhsa_fp16_overflow 0
		.amdhsa_exception_fp_ieee_invalid_op 0
		.amdhsa_exception_fp_denorm_src 0
		.amdhsa_exception_fp_ieee_div_zero 0
		.amdhsa_exception_fp_ieee_overflow 0
		.amdhsa_exception_fp_ieee_underflow 0
		.amdhsa_exception_fp_ieee_inexact 0
		.amdhsa_exception_int_div_zero 0
	.end_amdhsa_kernel
	.section	.text._ZN9rocsparseL19gebsrmvn_2xn_kernelILj128ELj5ELj16E21rocsparse_complex_numIfEEEvi20rocsparse_direction_NS_24const_host_device_scalarIT2_EEPKiS8_PKS5_SA_S6_PS5_21rocsparse_index_base_b,"axG",@progbits,_ZN9rocsparseL19gebsrmvn_2xn_kernelILj128ELj5ELj16E21rocsparse_complex_numIfEEEvi20rocsparse_direction_NS_24const_host_device_scalarIT2_EEPKiS8_PKS5_SA_S6_PS5_21rocsparse_index_base_b,comdat
.Lfunc_end169:
	.size	_ZN9rocsparseL19gebsrmvn_2xn_kernelILj128ELj5ELj16E21rocsparse_complex_numIfEEEvi20rocsparse_direction_NS_24const_host_device_scalarIT2_EEPKiS8_PKS5_SA_S6_PS5_21rocsparse_index_base_b, .Lfunc_end169-_ZN9rocsparseL19gebsrmvn_2xn_kernelILj128ELj5ELj16E21rocsparse_complex_numIfEEEvi20rocsparse_direction_NS_24const_host_device_scalarIT2_EEPKiS8_PKS5_SA_S6_PS5_21rocsparse_index_base_b
                                        ; -- End function
	.set _ZN9rocsparseL19gebsrmvn_2xn_kernelILj128ELj5ELj16E21rocsparse_complex_numIfEEEvi20rocsparse_direction_NS_24const_host_device_scalarIT2_EEPKiS8_PKS5_SA_S6_PS5_21rocsparse_index_base_b.num_vgpr, 38
	.set _ZN9rocsparseL19gebsrmvn_2xn_kernelILj128ELj5ELj16E21rocsparse_complex_numIfEEEvi20rocsparse_direction_NS_24const_host_device_scalarIT2_EEPKiS8_PKS5_SA_S6_PS5_21rocsparse_index_base_b.num_agpr, 0
	.set _ZN9rocsparseL19gebsrmvn_2xn_kernelILj128ELj5ELj16E21rocsparse_complex_numIfEEEvi20rocsparse_direction_NS_24const_host_device_scalarIT2_EEPKiS8_PKS5_SA_S6_PS5_21rocsparse_index_base_b.numbered_sgpr, 16
	.set _ZN9rocsparseL19gebsrmvn_2xn_kernelILj128ELj5ELj16E21rocsparse_complex_numIfEEEvi20rocsparse_direction_NS_24const_host_device_scalarIT2_EEPKiS8_PKS5_SA_S6_PS5_21rocsparse_index_base_b.num_named_barrier, 0
	.set _ZN9rocsparseL19gebsrmvn_2xn_kernelILj128ELj5ELj16E21rocsparse_complex_numIfEEEvi20rocsparse_direction_NS_24const_host_device_scalarIT2_EEPKiS8_PKS5_SA_S6_PS5_21rocsparse_index_base_b.private_seg_size, 0
	.set _ZN9rocsparseL19gebsrmvn_2xn_kernelILj128ELj5ELj16E21rocsparse_complex_numIfEEEvi20rocsparse_direction_NS_24const_host_device_scalarIT2_EEPKiS8_PKS5_SA_S6_PS5_21rocsparse_index_base_b.uses_vcc, 1
	.set _ZN9rocsparseL19gebsrmvn_2xn_kernelILj128ELj5ELj16E21rocsparse_complex_numIfEEEvi20rocsparse_direction_NS_24const_host_device_scalarIT2_EEPKiS8_PKS5_SA_S6_PS5_21rocsparse_index_base_b.uses_flat_scratch, 0
	.set _ZN9rocsparseL19gebsrmvn_2xn_kernelILj128ELj5ELj16E21rocsparse_complex_numIfEEEvi20rocsparse_direction_NS_24const_host_device_scalarIT2_EEPKiS8_PKS5_SA_S6_PS5_21rocsparse_index_base_b.has_dyn_sized_stack, 0
	.set _ZN9rocsparseL19gebsrmvn_2xn_kernelILj128ELj5ELj16E21rocsparse_complex_numIfEEEvi20rocsparse_direction_NS_24const_host_device_scalarIT2_EEPKiS8_PKS5_SA_S6_PS5_21rocsparse_index_base_b.has_recursion, 0
	.set _ZN9rocsparseL19gebsrmvn_2xn_kernelILj128ELj5ELj16E21rocsparse_complex_numIfEEEvi20rocsparse_direction_NS_24const_host_device_scalarIT2_EEPKiS8_PKS5_SA_S6_PS5_21rocsparse_index_base_b.has_indirect_call, 0
	.section	.AMDGPU.csdata,"",@progbits
; Kernel info:
; codeLenInByte = 2176
; TotalNumSgprs: 20
; NumVgprs: 38
; ScratchSize: 0
; MemoryBound: 0
; FloatMode: 240
; IeeeMode: 1
; LDSByteSize: 0 bytes/workgroup (compile time only)
; SGPRBlocks: 2
; VGPRBlocks: 9
; NumSGPRsForWavesPerEU: 20
; NumVGPRsForWavesPerEU: 38
; Occupancy: 6
; WaveLimiterHint : 1
; COMPUTE_PGM_RSRC2:SCRATCH_EN: 0
; COMPUTE_PGM_RSRC2:USER_SGPR: 6
; COMPUTE_PGM_RSRC2:TRAP_HANDLER: 0
; COMPUTE_PGM_RSRC2:TGID_X_EN: 1
; COMPUTE_PGM_RSRC2:TGID_Y_EN: 0
; COMPUTE_PGM_RSRC2:TGID_Z_EN: 0
; COMPUTE_PGM_RSRC2:TIDIG_COMP_CNT: 0
	.section	.text._ZN9rocsparseL19gebsrmvn_2xn_kernelILj128ELj5ELj32E21rocsparse_complex_numIfEEEvi20rocsparse_direction_NS_24const_host_device_scalarIT2_EEPKiS8_PKS5_SA_S6_PS5_21rocsparse_index_base_b,"axG",@progbits,_ZN9rocsparseL19gebsrmvn_2xn_kernelILj128ELj5ELj32E21rocsparse_complex_numIfEEEvi20rocsparse_direction_NS_24const_host_device_scalarIT2_EEPKiS8_PKS5_SA_S6_PS5_21rocsparse_index_base_b,comdat
	.globl	_ZN9rocsparseL19gebsrmvn_2xn_kernelILj128ELj5ELj32E21rocsparse_complex_numIfEEEvi20rocsparse_direction_NS_24const_host_device_scalarIT2_EEPKiS8_PKS5_SA_S6_PS5_21rocsparse_index_base_b ; -- Begin function _ZN9rocsparseL19gebsrmvn_2xn_kernelILj128ELj5ELj32E21rocsparse_complex_numIfEEEvi20rocsparse_direction_NS_24const_host_device_scalarIT2_EEPKiS8_PKS5_SA_S6_PS5_21rocsparse_index_base_b
	.p2align	8
	.type	_ZN9rocsparseL19gebsrmvn_2xn_kernelILj128ELj5ELj32E21rocsparse_complex_numIfEEEvi20rocsparse_direction_NS_24const_host_device_scalarIT2_EEPKiS8_PKS5_SA_S6_PS5_21rocsparse_index_base_b,@function
_ZN9rocsparseL19gebsrmvn_2xn_kernelILj128ELj5ELj32E21rocsparse_complex_numIfEEEvi20rocsparse_direction_NS_24const_host_device_scalarIT2_EEPKiS8_PKS5_SA_S6_PS5_21rocsparse_index_base_b: ; @_ZN9rocsparseL19gebsrmvn_2xn_kernelILj128ELj5ELj32E21rocsparse_complex_numIfEEEvi20rocsparse_direction_NS_24const_host_device_scalarIT2_EEPKiS8_PKS5_SA_S6_PS5_21rocsparse_index_base_b
; %bb.0:
	s_load_dwordx2 s[0:1], s[4:5], 0x8
	s_load_dwordx2 s[8:9], s[4:5], 0x30
	;; [unrolled: 1-line block ×3, first 2 shown]
	s_add_u32 s7, s4, 8
	s_addc_u32 s10, s5, 0
	s_add_u32 s11, s4, 48
	s_addc_u32 s12, s5, 0
	s_waitcnt lgkmcnt(0)
	s_bitcmp1_b32 s3, 0
	s_cselect_b32 s1, s10, s1
	s_cselect_b32 s0, s7, s0
	v_mov_b32_e32 v1, s0
	v_mov_b32_e32 v2, s1
	flat_load_dwordx2 v[1:2], v[1:2]
	s_cselect_b32 s0, s12, s9
	s_cselect_b32 s1, s11, s8
	v_mov_b32_e32 v3, s1
	v_mov_b32_e32 v4, s0
	flat_load_dwordx2 v[3:4], v[3:4]
	s_waitcnt vmcnt(0) lgkmcnt(0)
	v_cmp_eq_f32_e32 vcc, 0, v1
	v_cmp_eq_f32_e64 s[0:1], 0, v2
	s_and_b64 s[10:11], vcc, s[0:1]
	s_mov_b64 s[0:1], -1
	s_and_saveexec_b64 s[8:9], s[10:11]
; %bb.1:
	v_cmp_neq_f32_e32 vcc, 1.0, v3
	v_cmp_neq_f32_e64 s[0:1], 0, v4
	s_or_b64 s[0:1], vcc, s[0:1]
	s_orn2_b64 s[0:1], s[0:1], exec
; %bb.2:
	s_or_b64 exec, exec, s[8:9]
	s_and_saveexec_b64 s[8:9], s[0:1]
	s_cbranch_execz .LBB170_21
; %bb.3:
	s_load_dwordx2 s[0:1], s[4:5], 0x0
	v_lshrrev_b32_e32 v5, 5, v0
	v_lshl_or_b32 v5, s6, 2, v5
	s_waitcnt lgkmcnt(0)
	v_cmp_gt_i32_e32 vcc, s0, v5
	s_and_b64 exec, exec, vcc
	s_cbranch_execz .LBB170_21
; %bb.4:
	s_load_dwordx8 s[8:15], s[4:5], 0x10
	v_ashrrev_i32_e32 v6, 31, v5
	v_lshlrev_b64 v[6:7], 2, v[5:6]
	v_and_b32_e32 v0, 31, v0
	s_cmp_lg_u32 s1, 0
	s_waitcnt lgkmcnt(0)
	v_mov_b32_e32 v8, s9
	v_add_co_u32_e32 v6, vcc, s8, v6
	v_addc_co_u32_e32 v7, vcc, v8, v7, vcc
	global_load_dwordx2 v[6:7], v[6:7], off
	s_waitcnt vmcnt(0)
	v_subrev_u32_e32 v6, s2, v6
	v_subrev_u32_e32 v15, s2, v7
	v_add_u32_e32 v6, v6, v0
	v_cmp_lt_i32_e64 s[0:1], v6, v15
	s_cbranch_scc0 .LBB170_10
; %bb.5:
	v_mov_b32_e32 v14, 0
	v_mov_b32_e32 v17, 0
	;; [unrolled: 1-line block ×4, first 2 shown]
	s_and_saveexec_b64 s[6:7], s[0:1]
	s_cbranch_execz .LBB170_9
; %bb.6:
	v_mad_u64_u32 v[7:8], s[8:9], v6, 10, 8
	v_mov_b32_e32 v10, 0
	s_mov_b64 s[8:9], 0
	v_mov_b32_e32 v18, s11
	v_mov_b32_e32 v19, s13
	;; [unrolled: 1-line block ×8, first 2 shown]
.LBB170_7:                              ; =>This Inner Loop Header: Depth=1
	v_ashrrev_i32_e32 v12, 31, v11
	v_lshlrev_b64 v[21:22], 2, v[11:12]
	v_add_u32_e32 v9, -8, v7
	v_lshlrev_b64 v[23:24], 3, v[9:10]
	v_add_co_u32_e32 v27, vcc, s10, v21
	v_addc_co_u32_e32 v28, vcc, v18, v22, vcc
	v_add_co_u32_e32 v31, vcc, s12, v23
	v_addc_co_u32_e32 v32, vcc, v19, v24, vcc
	global_load_dword v12, v[27:28], off
	global_load_dwordx4 v[21:24], v[31:32], off
	v_mov_b32_e32 v8, v10
	v_lshlrev_b64 v[25:26], 3, v[7:8]
	v_add_u32_e32 v9, -6, v7
	v_lshlrev_b64 v[8:9], 3, v[9:10]
	v_add_co_u32_e32 v33, vcc, s12, v25
	v_mov_b32_e32 v30, v10
	v_addc_co_u32_e32 v34, vcc, v19, v26, vcc
	v_add_co_u32_e32 v8, vcc, s12, v8
	v_addc_co_u32_e32 v9, vcc, v19, v9, vcc
	v_add_u32_e32 v11, 32, v11
	s_waitcnt vmcnt(1)
	v_subrev_u32_e32 v12, s2, v12
	v_lshl_add_u32 v29, v12, 2, v12
	v_lshlrev_b64 v[25:26], 3, v[29:30]
	v_add_co_u32_e32 v30, vcc, s14, v25
	v_addc_co_u32_e32 v31, vcc, v20, v26, vcc
	global_load_dwordx4 v[25:28], v[33:34], off
	global_load_dwordx2 v[35:36], v[30:31], off
	s_waitcnt vmcnt(0)
	v_fmac_f32_e32 v17, v21, v35
	v_fmac_f32_e32 v14, v22, v35
	;; [unrolled: 1-line block ×4, first 2 shown]
	v_fma_f32 v12, -v22, v36, v17
	v_fmac_f32_e32 v14, v21, v36
	v_fma_f32 v32, -v24, v36, v16
	v_fmac_f32_e32 v13, v23, v36
	global_load_dwordx4 v[21:24], v[8:9], off
	v_add_u32_e32 v9, 1, v29
	v_lshlrev_b64 v[16:17], 3, v[9:10]
	v_add_u32_e32 v9, -4, v7
	v_add_co_u32_e32 v16, vcc, s14, v16
	v_addc_co_u32_e32 v17, vcc, v20, v17, vcc
	global_load_dwordx2 v[16:17], v[16:17], off
	v_lshlrev_b64 v[30:31], 3, v[9:10]
	v_add_u32_e32 v9, 2, v29
	v_add_co_u32_e32 v30, vcc, s12, v30
	v_addc_co_u32_e32 v31, vcc, v19, v31, vcc
	s_waitcnt vmcnt(0)
	v_fmac_f32_e32 v12, v21, v16
	v_fmac_f32_e32 v14, v22, v16
	;; [unrolled: 1-line block ×4, first 2 shown]
	v_fma_f32 v8, -v22, v17, v12
	v_fmac_f32_e32 v14, v21, v17
	v_fma_f32 v12, -v24, v17, v32
	v_fmac_f32_e32 v13, v23, v17
	v_lshlrev_b64 v[16:17], 3, v[9:10]
	v_add_u32_e32 v9, -2, v7
	v_lshlrev_b64 v[21:22], 3, v[9:10]
	v_add_co_u32_e32 v16, vcc, s14, v16
	v_addc_co_u32_e32 v17, vcc, v20, v17, vcc
	v_add_co_u32_e32 v34, vcc, s12, v21
	v_addc_co_u32_e32 v35, vcc, v19, v22, vcc
	global_load_dwordx4 v[21:24], v[30:31], off
	global_load_dwordx2 v[36:37], v[16:17], off
	v_add_u32_e32 v9, 3, v29
	v_lshlrev_b64 v[32:33], 3, v[9:10]
	v_add_u32_e32 v9, 4, v29
	v_add_co_u32_e32 v16, vcc, s14, v32
	v_addc_co_u32_e32 v17, vcc, v20, v33, vcc
	v_add_u32_e32 v7, 0x140, v7
	s_waitcnt vmcnt(0)
	v_fmac_f32_e32 v8, v21, v36
	v_fma_f32 v31, -v22, v37, v8
	v_lshlrev_b64 v[8:9], 3, v[9:10]
	v_fmac_f32_e32 v14, v22, v36
	v_fmac_f32_e32 v12, v23, v36
	;; [unrolled: 1-line block ×4, first 2 shown]
	v_fma_f32 v12, -v24, v37, v12
	v_fmac_f32_e32 v13, v23, v37
	global_load_dwordx4 v[21:24], v[34:35], off
	global_load_dwordx2 v[29:30], v[16:17], off
	v_add_co_u32_e32 v8, vcc, s14, v8
	v_addc_co_u32_e32 v9, vcc, v20, v9, vcc
	global_load_dwordx2 v[8:9], v[8:9], off
	v_cmp_ge_i32_e32 vcc, v11, v15
	s_or_b64 s[8:9], vcc, s[8:9]
	s_waitcnt vmcnt(1)
	v_fmac_f32_e32 v31, v21, v29
	v_fmac_f32_e32 v14, v22, v29
	;; [unrolled: 1-line block ×4, first 2 shown]
	v_fma_f32 v16, -v22, v30, v31
	v_fmac_f32_e32 v14, v21, v30
	v_fma_f32 v12, -v24, v30, v12
	v_fmac_f32_e32 v13, v23, v30
	s_waitcnt vmcnt(0)
	v_fmac_f32_e32 v16, v25, v8
	v_fmac_f32_e32 v14, v26, v8
	;; [unrolled: 1-line block ×4, first 2 shown]
	v_fma_f32 v17, -v26, v9, v16
	v_fmac_f32_e32 v14, v25, v9
	v_fma_f32 v16, -v28, v9, v12
	v_fmac_f32_e32 v13, v27, v9
	s_andn2_b64 exec, exec, s[8:9]
	s_cbranch_execnz .LBB170_7
; %bb.8:
	s_or_b64 exec, exec, s[8:9]
.LBB170_9:
	s_or_b64 exec, exec, s[6:7]
	s_cbranch_execz .LBB170_11
	s_branch .LBB170_16
.LBB170_10:
                                        ; implicit-def: $vgpr14
                                        ; implicit-def: $vgpr17
                                        ; implicit-def: $vgpr16
                                        ; implicit-def: $vgpr13
.LBB170_11:
	v_mov_b32_e32 v14, 0
	v_mov_b32_e32 v17, 0
	;; [unrolled: 1-line block ×4, first 2 shown]
	s_and_saveexec_b64 s[6:7], s[0:1]
	s_cbranch_execz .LBB170_15
; %bb.12:
	v_mad_u64_u32 v[8:9], s[0:1], v6, 10, 9
	v_mov_b32_e32 v11, 0
	s_mov_b64 s[0:1], 0
	v_mov_b32_e32 v12, s11
	v_mov_b32_e32 v18, s13
	;; [unrolled: 1-line block ×7, first 2 shown]
.LBB170_13:                             ; =>This Inner Loop Header: Depth=1
	v_ashrrev_i32_e32 v7, 31, v6
	v_lshlrev_b64 v[22:23], 2, v[6:7]
	v_add_u32_e32 v10, -9, v8
	v_add_co_u32_e32 v22, vcc, s10, v22
	v_addc_co_u32_e32 v23, vcc, v12, v23, vcc
	global_load_dword v7, v[22:23], off
	v_lshlrev_b64 v[24:25], 3, v[10:11]
	v_add_u32_e32 v20, -4, v8
	v_mov_b32_e32 v21, v11
	v_lshlrev_b64 v[20:21], 3, v[20:21]
	v_add_co_u32_e32 v24, vcc, s12, v24
	v_mov_b32_e32 v9, v11
	v_addc_co_u32_e32 v25, vcc, v18, v25, vcc
	v_lshlrev_b64 v[9:10], 3, v[8:9]
	v_add_co_u32_e32 v20, vcc, s12, v20
	v_addc_co_u32_e32 v21, vcc, v18, v21, vcc
	v_add_co_u32_e32 v26, vcc, s12, v9
	v_addc_co_u32_e32 v27, vcc, v18, v10, vcc
	v_mov_b32_e32 v10, v11
	v_add_u32_e32 v6, 32, v6
	s_waitcnt vmcnt(0)
	v_subrev_u32_e32 v7, s2, v7
	v_lshl_add_u32 v9, v7, 2, v7
	v_lshlrev_b64 v[22:23], 3, v[9:10]
	v_add_u32_e32 v10, 1, v9
	v_add_co_u32_e32 v22, vcc, s14, v22
	v_addc_co_u32_e32 v23, vcc, v19, v23, vcc
	global_load_dwordx2 v[30:31], v[20:21], off
	global_load_dwordx2 v[32:33], v[22:23], off
	v_lshlrev_b64 v[28:29], 3, v[10:11]
	global_load_dwordx4 v[20:23], v[24:25], off
	v_add_co_u32_e32 v28, vcc, s14, v28
	v_addc_co_u32_e32 v29, vcc, v19, v29, vcc
	v_add_u32_e32 v10, -3, v8
	s_waitcnt vmcnt(1)
	v_fmac_f32_e32 v16, v30, v32
	v_fma_f32 v7, -v31, v33, v16
	s_waitcnt vmcnt(0)
	v_fmac_f32_e32 v17, v20, v32
	v_fmac_f32_e32 v14, v21, v32
	v_fma_f32 v21, -v21, v33, v17
	global_load_dwordx2 v[16:17], v[28:29], off
	v_fmac_f32_e32 v13, v31, v32
	v_fmac_f32_e32 v13, v30, v33
	v_fmac_f32_e32 v14, v20, v33
	s_waitcnt vmcnt(0)
	v_fmac_f32_e32 v21, v22, v16
	v_fma_f32 v30, -v23, v17, v21
	v_lshlrev_b64 v[20:21], 3, v[10:11]
	v_fmac_f32_e32 v14, v23, v16
	v_add_u32_e32 v10, -7, v8
	v_fmac_f32_e32 v14, v22, v17
	v_add_co_u32_e32 v20, vcc, s12, v20
	v_lshlrev_b64 v[22:23], 3, v[10:11]
	v_addc_co_u32_e32 v21, vcc, v18, v21, vcc
	v_add_co_u32_e32 v22, vcc, s12, v22
	v_addc_co_u32_e32 v23, vcc, v18, v23, vcc
	global_load_dwordx2 v[24:25], v[20:21], off
	global_load_dwordx2 v[28:29], v[22:23], off
	v_add_u32_e32 v10, 2, v9
	s_waitcnt vmcnt(1)
	v_fmac_f32_e32 v7, v24, v16
	v_fmac_f32_e32 v13, v25, v16
	v_fma_f32 v7, -v25, v17, v7
	v_fmac_f32_e32 v13, v24, v17
	v_lshlrev_b64 v[16:17], 3, v[10:11]
	v_add_u32_e32 v10, -2, v8
	v_add_co_u32_e32 v16, vcc, s14, v16
	v_addc_co_u32_e32 v17, vcc, v19, v17, vcc
	global_load_dwordx2 v[16:17], v[16:17], off
	v_lshlrev_b64 v[20:21], 3, v[10:11]
	v_add_u32_e32 v10, -6, v8
	v_add_co_u32_e32 v20, vcc, s12, v20
	v_lshlrev_b64 v[22:23], 3, v[10:11]
	v_addc_co_u32_e32 v21, vcc, v18, v21, vcc
	v_add_co_u32_e32 v22, vcc, s12, v22
	v_addc_co_u32_e32 v23, vcc, v18, v23, vcc
	v_add_u32_e32 v10, 3, v9
	s_waitcnt vmcnt(0)
	v_fmac_f32_e32 v30, v28, v16
	v_fmac_f32_e32 v14, v29, v16
	v_fma_f32 v30, -v29, v17, v30
	v_fmac_f32_e32 v14, v28, v17
	global_load_dwordx2 v[24:25], v[20:21], off
	global_load_dwordx2 v[28:29], v[22:23], off
	s_waitcnt vmcnt(1)
	v_fmac_f32_e32 v7, v24, v16
	v_fmac_f32_e32 v13, v25, v16
	v_fma_f32 v7, -v25, v17, v7
	v_fmac_f32_e32 v13, v24, v17
	v_lshlrev_b64 v[16:17], 3, v[10:11]
	v_add_u32_e32 v10, -1, v8
	v_add_co_u32_e32 v16, vcc, s14, v16
	v_addc_co_u32_e32 v17, vcc, v19, v17, vcc
	global_load_dwordx2 v[16:17], v[16:17], off
	v_lshlrev_b64 v[20:21], 3, v[10:11]
	v_add_u32_e32 v10, -5, v8
	v_lshlrev_b64 v[22:23], 3, v[10:11]
	v_add_co_u32_e32 v20, vcc, s12, v20
	v_add_u32_e32 v10, 4, v9
	v_addc_co_u32_e32 v21, vcc, v18, v21, vcc
	v_add_co_u32_e32 v22, vcc, s12, v22
	v_lshlrev_b64 v[9:10], 3, v[10:11]
	v_addc_co_u32_e32 v23, vcc, v18, v23, vcc
	v_add_co_u32_e32 v9, vcc, s14, v9
	v_addc_co_u32_e32 v10, vcc, v19, v10, vcc
	v_cmp_ge_i32_e32 vcc, v6, v15
	s_or_b64 s[0:1], vcc, s[0:1]
	v_add_u32_e32 v8, 0x140, v8
	s_waitcnt vmcnt(0)
	v_fmac_f32_e32 v30, v28, v16
	v_fmac_f32_e32 v14, v29, v16
	v_fma_f32 v34, -v29, v17, v30
	v_fmac_f32_e32 v14, v28, v17
	global_load_dwordx2 v[24:25], v[26:27], off
	global_load_dwordx2 v[28:29], v[20:21], off
	;; [unrolled: 1-line block ×4, first 2 shown]
	s_waitcnt vmcnt(2)
	v_fmac_f32_e32 v7, v28, v16
	v_fmac_f32_e32 v13, v29, v16
	v_fma_f32 v7, -v29, v17, v7
	v_fmac_f32_e32 v13, v28, v17
	s_waitcnt vmcnt(0)
	v_fmac_f32_e32 v34, v30, v32
	v_fmac_f32_e32 v14, v31, v32
	;; [unrolled: 1-line block ×4, first 2 shown]
	v_fma_f32 v17, -v31, v33, v34
	v_fmac_f32_e32 v14, v30, v33
	v_fma_f32 v16, -v25, v33, v7
	v_fmac_f32_e32 v13, v24, v33
	s_andn2_b64 exec, exec, s[0:1]
	s_cbranch_execnz .LBB170_13
; %bb.14:
	s_or_b64 exec, exec, s[0:1]
.LBB170_15:
	s_or_b64 exec, exec, s[6:7]
.LBB170_16:
	v_mov_b32_dpp v6, v17 row_shr:1 row_mask:0xf bank_mask:0xf
	v_mov_b32_dpp v8, v14 row_shr:1 row_mask:0xf bank_mask:0xf
	v_mov_b32_dpp v10, v16 row_shr:1 row_mask:0xf bank_mask:0xf
	v_mov_b32_dpp v12, v13 row_shr:1 row_mask:0xf bank_mask:0xf
	v_add_f32_e32 v6, v17, v6
	v_add_f32_e32 v8, v14, v8
	v_add_f32_e32 v10, v16, v10
	v_add_f32_e32 v12, v13, v12
	v_mov_b32_dpp v7, v6 row_shr:2 row_mask:0xf bank_mask:0xf
	v_mov_b32_dpp v9, v8 row_shr:2 row_mask:0xf bank_mask:0xf
	v_mov_b32_dpp v11, v10 row_shr:2 row_mask:0xf bank_mask:0xf
	v_mov_b32_dpp v13, v12 row_shr:2 row_mask:0xf bank_mask:0xf
	v_add_f32_e32 v6, v6, v7
	v_add_f32_e32 v8, v8, v9
	v_add_f32_e32 v10, v10, v11
	v_add_f32_e32 v12, v12, v13
	;; [unrolled: 8-line block ×4, first 2 shown]
	v_mov_b32_dpp v7, v6 row_bcast:15 row_mask:0xa bank_mask:0xf
	v_mov_b32_dpp v9, v8 row_bcast:15 row_mask:0xa bank_mask:0xf
	;; [unrolled: 1-line block ×4, first 2 shown]
	v_cmp_eq_u32_e32 vcc, 31, v0
	s_and_b64 exec, exec, vcc
	s_cbranch_execz .LBB170_21
; %bb.17:
	s_load_dwordx2 s[2:3], s[4:5], 0x38
	v_cmp_eq_f32_e32 vcc, 0, v3
	v_cmp_eq_f32_e64 s[0:1], 0, v4
	v_add_f32_e32 v7, v6, v7
	v_add_f32_e32 v8, v8, v9
	;; [unrolled: 1-line block ×4, first 2 shown]
	s_and_b64 s[0:1], vcc, s[0:1]
	s_and_saveexec_b64 s[4:5], s[0:1]
	s_xor_b64 s[0:1], exec, s[4:5]
	s_cbranch_execz .LBB170_19
; %bb.18:
	v_mul_f32_e64 v3, v8, -v2
	v_mul_f32_e32 v4, v1, v8
	v_fmac_f32_e32 v3, v1, v7
	v_fmac_f32_e32 v4, v2, v7
	v_lshlrev_b32_e32 v7, 1, v5
	v_ashrrev_i32_e32 v8, 31, v7
	v_lshlrev_b64 v[7:8], 3, v[7:8]
	s_waitcnt lgkmcnt(0)
	v_mov_b32_e32 v5, s3
	v_add_co_u32_e32 v7, vcc, s2, v7
	v_addc_co_u32_e32 v8, vcc, v5, v8, vcc
	v_mul_f32_e64 v5, v6, -v2
	v_mul_f32_e32 v6, v1, v6
	v_fmac_f32_e32 v5, v1, v0
	v_fmac_f32_e32 v6, v2, v0
	global_store_dwordx4 v[7:8], v[3:6], off
                                        ; implicit-def: $vgpr5
                                        ; implicit-def: $vgpr1_vgpr2
                                        ; implicit-def: $vgpr8
                                        ; implicit-def: $vgpr7
                                        ; implicit-def: $vgpr3_vgpr4
                                        ; implicit-def: $vgpr6
                                        ; implicit-def: $vgpr0
.LBB170_19:
	s_andn2_saveexec_b64 s[0:1], s[0:1]
	s_cbranch_execz .LBB170_21
; %bb.20:
	v_lshlrev_b32_e32 v9, 1, v5
	v_ashrrev_i32_e32 v10, 31, v9
	v_lshlrev_b64 v[9:10], 3, v[9:10]
	s_waitcnt lgkmcnt(0)
	v_mov_b32_e32 v5, s3
	v_add_co_u32_e32 v17, vcc, s2, v9
	v_addc_co_u32_e32 v18, vcc, v5, v10, vcc
	global_load_dwordx4 v[9:12], v[17:18], off
	v_mul_f32_e64 v5, v8, -v2
	v_mul_f32_e32 v14, v1, v8
	v_mul_f32_e64 v8, v6, -v2
	v_mul_f32_e32 v16, v1, v6
	v_fmac_f32_e32 v5, v1, v7
	v_fmac_f32_e32 v14, v2, v7
	;; [unrolled: 1-line block ×4, first 2 shown]
	s_waitcnt vmcnt(0)
	v_fmac_f32_e32 v5, v3, v9
	v_fmac_f32_e32 v14, v4, v9
	;; [unrolled: 1-line block ×4, first 2 shown]
	v_fma_f32 v13, -v4, v10, v5
	v_fmac_f32_e32 v14, v3, v10
	v_fma_f32 v15, -v4, v12, v8
	v_fmac_f32_e32 v16, v3, v12
	global_store_dwordx4 v[17:18], v[13:16], off
.LBB170_21:
	s_endpgm
	.section	.rodata,"a",@progbits
	.p2align	6, 0x0
	.amdhsa_kernel _ZN9rocsparseL19gebsrmvn_2xn_kernelILj128ELj5ELj32E21rocsparse_complex_numIfEEEvi20rocsparse_direction_NS_24const_host_device_scalarIT2_EEPKiS8_PKS5_SA_S6_PS5_21rocsparse_index_base_b
		.amdhsa_group_segment_fixed_size 0
		.amdhsa_private_segment_fixed_size 0
		.amdhsa_kernarg_size 72
		.amdhsa_user_sgpr_count 6
		.amdhsa_user_sgpr_private_segment_buffer 1
		.amdhsa_user_sgpr_dispatch_ptr 0
		.amdhsa_user_sgpr_queue_ptr 0
		.amdhsa_user_sgpr_kernarg_segment_ptr 1
		.amdhsa_user_sgpr_dispatch_id 0
		.amdhsa_user_sgpr_flat_scratch_init 0
		.amdhsa_user_sgpr_private_segment_size 0
		.amdhsa_uses_dynamic_stack 0
		.amdhsa_system_sgpr_private_segment_wavefront_offset 0
		.amdhsa_system_sgpr_workgroup_id_x 1
		.amdhsa_system_sgpr_workgroup_id_y 0
		.amdhsa_system_sgpr_workgroup_id_z 0
		.amdhsa_system_sgpr_workgroup_info 0
		.amdhsa_system_vgpr_workitem_id 0
		.amdhsa_next_free_vgpr 38
		.amdhsa_next_free_sgpr 16
		.amdhsa_reserve_vcc 1
		.amdhsa_reserve_flat_scratch 0
		.amdhsa_float_round_mode_32 0
		.amdhsa_float_round_mode_16_64 0
		.amdhsa_float_denorm_mode_32 3
		.amdhsa_float_denorm_mode_16_64 3
		.amdhsa_dx10_clamp 1
		.amdhsa_ieee_mode 1
		.amdhsa_fp16_overflow 0
		.amdhsa_exception_fp_ieee_invalid_op 0
		.amdhsa_exception_fp_denorm_src 0
		.amdhsa_exception_fp_ieee_div_zero 0
		.amdhsa_exception_fp_ieee_overflow 0
		.amdhsa_exception_fp_ieee_underflow 0
		.amdhsa_exception_fp_ieee_inexact 0
		.amdhsa_exception_int_div_zero 0
	.end_amdhsa_kernel
	.section	.text._ZN9rocsparseL19gebsrmvn_2xn_kernelILj128ELj5ELj32E21rocsparse_complex_numIfEEEvi20rocsparse_direction_NS_24const_host_device_scalarIT2_EEPKiS8_PKS5_SA_S6_PS5_21rocsparse_index_base_b,"axG",@progbits,_ZN9rocsparseL19gebsrmvn_2xn_kernelILj128ELj5ELj32E21rocsparse_complex_numIfEEEvi20rocsparse_direction_NS_24const_host_device_scalarIT2_EEPKiS8_PKS5_SA_S6_PS5_21rocsparse_index_base_b,comdat
.Lfunc_end170:
	.size	_ZN9rocsparseL19gebsrmvn_2xn_kernelILj128ELj5ELj32E21rocsparse_complex_numIfEEEvi20rocsparse_direction_NS_24const_host_device_scalarIT2_EEPKiS8_PKS5_SA_S6_PS5_21rocsparse_index_base_b, .Lfunc_end170-_ZN9rocsparseL19gebsrmvn_2xn_kernelILj128ELj5ELj32E21rocsparse_complex_numIfEEEvi20rocsparse_direction_NS_24const_host_device_scalarIT2_EEPKiS8_PKS5_SA_S6_PS5_21rocsparse_index_base_b
                                        ; -- End function
	.set _ZN9rocsparseL19gebsrmvn_2xn_kernelILj128ELj5ELj32E21rocsparse_complex_numIfEEEvi20rocsparse_direction_NS_24const_host_device_scalarIT2_EEPKiS8_PKS5_SA_S6_PS5_21rocsparse_index_base_b.num_vgpr, 38
	.set _ZN9rocsparseL19gebsrmvn_2xn_kernelILj128ELj5ELj32E21rocsparse_complex_numIfEEEvi20rocsparse_direction_NS_24const_host_device_scalarIT2_EEPKiS8_PKS5_SA_S6_PS5_21rocsparse_index_base_b.num_agpr, 0
	.set _ZN9rocsparseL19gebsrmvn_2xn_kernelILj128ELj5ELj32E21rocsparse_complex_numIfEEEvi20rocsparse_direction_NS_24const_host_device_scalarIT2_EEPKiS8_PKS5_SA_S6_PS5_21rocsparse_index_base_b.numbered_sgpr, 16
	.set _ZN9rocsparseL19gebsrmvn_2xn_kernelILj128ELj5ELj32E21rocsparse_complex_numIfEEEvi20rocsparse_direction_NS_24const_host_device_scalarIT2_EEPKiS8_PKS5_SA_S6_PS5_21rocsparse_index_base_b.num_named_barrier, 0
	.set _ZN9rocsparseL19gebsrmvn_2xn_kernelILj128ELj5ELj32E21rocsparse_complex_numIfEEEvi20rocsparse_direction_NS_24const_host_device_scalarIT2_EEPKiS8_PKS5_SA_S6_PS5_21rocsparse_index_base_b.private_seg_size, 0
	.set _ZN9rocsparseL19gebsrmvn_2xn_kernelILj128ELj5ELj32E21rocsparse_complex_numIfEEEvi20rocsparse_direction_NS_24const_host_device_scalarIT2_EEPKiS8_PKS5_SA_S6_PS5_21rocsparse_index_base_b.uses_vcc, 1
	.set _ZN9rocsparseL19gebsrmvn_2xn_kernelILj128ELj5ELj32E21rocsparse_complex_numIfEEEvi20rocsparse_direction_NS_24const_host_device_scalarIT2_EEPKiS8_PKS5_SA_S6_PS5_21rocsparse_index_base_b.uses_flat_scratch, 0
	.set _ZN9rocsparseL19gebsrmvn_2xn_kernelILj128ELj5ELj32E21rocsparse_complex_numIfEEEvi20rocsparse_direction_NS_24const_host_device_scalarIT2_EEPKiS8_PKS5_SA_S6_PS5_21rocsparse_index_base_b.has_dyn_sized_stack, 0
	.set _ZN9rocsparseL19gebsrmvn_2xn_kernelILj128ELj5ELj32E21rocsparse_complex_numIfEEEvi20rocsparse_direction_NS_24const_host_device_scalarIT2_EEPKiS8_PKS5_SA_S6_PS5_21rocsparse_index_base_b.has_recursion, 0
	.set _ZN9rocsparseL19gebsrmvn_2xn_kernelILj128ELj5ELj32E21rocsparse_complex_numIfEEEvi20rocsparse_direction_NS_24const_host_device_scalarIT2_EEPKiS8_PKS5_SA_S6_PS5_21rocsparse_index_base_b.has_indirect_call, 0
	.section	.AMDGPU.csdata,"",@progbits
; Kernel info:
; codeLenInByte = 2224
; TotalNumSgprs: 20
; NumVgprs: 38
; ScratchSize: 0
; MemoryBound: 0
; FloatMode: 240
; IeeeMode: 1
; LDSByteSize: 0 bytes/workgroup (compile time only)
; SGPRBlocks: 2
; VGPRBlocks: 9
; NumSGPRsForWavesPerEU: 20
; NumVGPRsForWavesPerEU: 38
; Occupancy: 6
; WaveLimiterHint : 1
; COMPUTE_PGM_RSRC2:SCRATCH_EN: 0
; COMPUTE_PGM_RSRC2:USER_SGPR: 6
; COMPUTE_PGM_RSRC2:TRAP_HANDLER: 0
; COMPUTE_PGM_RSRC2:TGID_X_EN: 1
; COMPUTE_PGM_RSRC2:TGID_Y_EN: 0
; COMPUTE_PGM_RSRC2:TGID_Z_EN: 0
; COMPUTE_PGM_RSRC2:TIDIG_COMP_CNT: 0
	.section	.text._ZN9rocsparseL19gebsrmvn_2xn_kernelILj128ELj5ELj64E21rocsparse_complex_numIfEEEvi20rocsparse_direction_NS_24const_host_device_scalarIT2_EEPKiS8_PKS5_SA_S6_PS5_21rocsparse_index_base_b,"axG",@progbits,_ZN9rocsparseL19gebsrmvn_2xn_kernelILj128ELj5ELj64E21rocsparse_complex_numIfEEEvi20rocsparse_direction_NS_24const_host_device_scalarIT2_EEPKiS8_PKS5_SA_S6_PS5_21rocsparse_index_base_b,comdat
	.globl	_ZN9rocsparseL19gebsrmvn_2xn_kernelILj128ELj5ELj64E21rocsparse_complex_numIfEEEvi20rocsparse_direction_NS_24const_host_device_scalarIT2_EEPKiS8_PKS5_SA_S6_PS5_21rocsparse_index_base_b ; -- Begin function _ZN9rocsparseL19gebsrmvn_2xn_kernelILj128ELj5ELj64E21rocsparse_complex_numIfEEEvi20rocsparse_direction_NS_24const_host_device_scalarIT2_EEPKiS8_PKS5_SA_S6_PS5_21rocsparse_index_base_b
	.p2align	8
	.type	_ZN9rocsparseL19gebsrmvn_2xn_kernelILj128ELj5ELj64E21rocsparse_complex_numIfEEEvi20rocsparse_direction_NS_24const_host_device_scalarIT2_EEPKiS8_PKS5_SA_S6_PS5_21rocsparse_index_base_b,@function
_ZN9rocsparseL19gebsrmvn_2xn_kernelILj128ELj5ELj64E21rocsparse_complex_numIfEEEvi20rocsparse_direction_NS_24const_host_device_scalarIT2_EEPKiS8_PKS5_SA_S6_PS5_21rocsparse_index_base_b: ; @_ZN9rocsparseL19gebsrmvn_2xn_kernelILj128ELj5ELj64E21rocsparse_complex_numIfEEEvi20rocsparse_direction_NS_24const_host_device_scalarIT2_EEPKiS8_PKS5_SA_S6_PS5_21rocsparse_index_base_b
; %bb.0:
	s_load_dwordx2 s[0:1], s[4:5], 0x8
	s_load_dwordx2 s[8:9], s[4:5], 0x30
	;; [unrolled: 1-line block ×3, first 2 shown]
	s_add_u32 s7, s4, 8
	s_addc_u32 s10, s5, 0
	s_add_u32 s11, s4, 48
	s_addc_u32 s12, s5, 0
	s_waitcnt lgkmcnt(0)
	s_bitcmp1_b32 s3, 0
	s_cselect_b32 s1, s10, s1
	s_cselect_b32 s0, s7, s0
	v_mov_b32_e32 v1, s0
	v_mov_b32_e32 v2, s1
	flat_load_dwordx2 v[1:2], v[1:2]
	s_cselect_b32 s0, s12, s9
	s_cselect_b32 s1, s11, s8
	v_mov_b32_e32 v3, s1
	v_mov_b32_e32 v4, s0
	flat_load_dwordx2 v[3:4], v[3:4]
	s_waitcnt vmcnt(0) lgkmcnt(0)
	v_cmp_eq_f32_e32 vcc, 0, v1
	v_cmp_eq_f32_e64 s[0:1], 0, v2
	s_and_b64 s[10:11], vcc, s[0:1]
	s_mov_b64 s[0:1], -1
	s_and_saveexec_b64 s[8:9], s[10:11]
; %bb.1:
	v_cmp_neq_f32_e32 vcc, 1.0, v3
	v_cmp_neq_f32_e64 s[0:1], 0, v4
	s_or_b64 s[0:1], vcc, s[0:1]
	s_orn2_b64 s[0:1], s[0:1], exec
; %bb.2:
	s_or_b64 exec, exec, s[8:9]
	s_and_saveexec_b64 s[8:9], s[0:1]
	s_cbranch_execz .LBB171_21
; %bb.3:
	s_load_dwordx2 s[0:1], s[4:5], 0x0
	v_lshrrev_b32_e32 v5, 6, v0
	v_lshl_or_b32 v5, s6, 1, v5
	s_waitcnt lgkmcnt(0)
	v_cmp_gt_i32_e32 vcc, s0, v5
	s_and_b64 exec, exec, vcc
	s_cbranch_execz .LBB171_21
; %bb.4:
	s_load_dwordx8 s[8:15], s[4:5], 0x10
	v_ashrrev_i32_e32 v6, 31, v5
	v_lshlrev_b64 v[6:7], 2, v[5:6]
	v_and_b32_e32 v0, 63, v0
	s_cmp_lg_u32 s1, 0
	s_waitcnt lgkmcnt(0)
	v_mov_b32_e32 v8, s9
	v_add_co_u32_e32 v6, vcc, s8, v6
	v_addc_co_u32_e32 v7, vcc, v8, v7, vcc
	global_load_dwordx2 v[6:7], v[6:7], off
	s_waitcnt vmcnt(0)
	v_subrev_u32_e32 v6, s2, v6
	v_subrev_u32_e32 v15, s2, v7
	v_add_u32_e32 v6, v6, v0
	v_cmp_lt_i32_e64 s[0:1], v6, v15
	s_cbranch_scc0 .LBB171_10
; %bb.5:
	v_mov_b32_e32 v14, 0
	v_mov_b32_e32 v17, 0
	;; [unrolled: 1-line block ×4, first 2 shown]
	s_and_saveexec_b64 s[6:7], s[0:1]
	s_cbranch_execz .LBB171_9
; %bb.6:
	v_mad_u64_u32 v[7:8], s[8:9], v6, 10, 8
	v_mov_b32_e32 v10, 0
	s_mov_b64 s[8:9], 0
	v_mov_b32_e32 v18, s11
	v_mov_b32_e32 v19, s13
	;; [unrolled: 1-line block ×8, first 2 shown]
.LBB171_7:                              ; =>This Inner Loop Header: Depth=1
	v_ashrrev_i32_e32 v12, 31, v11
	v_lshlrev_b64 v[21:22], 2, v[11:12]
	v_add_u32_e32 v9, -8, v7
	v_lshlrev_b64 v[23:24], 3, v[9:10]
	v_add_co_u32_e32 v27, vcc, s10, v21
	v_addc_co_u32_e32 v28, vcc, v18, v22, vcc
	v_add_co_u32_e32 v31, vcc, s12, v23
	v_addc_co_u32_e32 v32, vcc, v19, v24, vcc
	global_load_dword v12, v[27:28], off
	global_load_dwordx4 v[21:24], v[31:32], off
	v_mov_b32_e32 v8, v10
	v_lshlrev_b64 v[25:26], 3, v[7:8]
	v_add_u32_e32 v9, -6, v7
	v_lshlrev_b64 v[8:9], 3, v[9:10]
	v_add_co_u32_e32 v33, vcc, s12, v25
	v_mov_b32_e32 v30, v10
	v_addc_co_u32_e32 v34, vcc, v19, v26, vcc
	v_add_co_u32_e32 v8, vcc, s12, v8
	v_addc_co_u32_e32 v9, vcc, v19, v9, vcc
	v_add_u32_e32 v11, 64, v11
	s_waitcnt vmcnt(1)
	v_subrev_u32_e32 v12, s2, v12
	v_lshl_add_u32 v29, v12, 2, v12
	v_lshlrev_b64 v[25:26], 3, v[29:30]
	v_add_co_u32_e32 v30, vcc, s14, v25
	v_addc_co_u32_e32 v31, vcc, v20, v26, vcc
	global_load_dwordx4 v[25:28], v[33:34], off
	global_load_dwordx2 v[35:36], v[30:31], off
	s_waitcnt vmcnt(0)
	v_fmac_f32_e32 v17, v21, v35
	v_fmac_f32_e32 v14, v22, v35
	;; [unrolled: 1-line block ×4, first 2 shown]
	v_fma_f32 v12, -v22, v36, v17
	v_fmac_f32_e32 v14, v21, v36
	v_fma_f32 v32, -v24, v36, v16
	v_fmac_f32_e32 v13, v23, v36
	global_load_dwordx4 v[21:24], v[8:9], off
	v_add_u32_e32 v9, 1, v29
	v_lshlrev_b64 v[16:17], 3, v[9:10]
	v_add_u32_e32 v9, -4, v7
	v_add_co_u32_e32 v16, vcc, s14, v16
	v_addc_co_u32_e32 v17, vcc, v20, v17, vcc
	global_load_dwordx2 v[16:17], v[16:17], off
	v_lshlrev_b64 v[30:31], 3, v[9:10]
	v_add_u32_e32 v9, 2, v29
	v_add_co_u32_e32 v30, vcc, s12, v30
	v_addc_co_u32_e32 v31, vcc, v19, v31, vcc
	s_waitcnt vmcnt(0)
	v_fmac_f32_e32 v12, v21, v16
	v_fmac_f32_e32 v14, v22, v16
	;; [unrolled: 1-line block ×4, first 2 shown]
	v_fma_f32 v8, -v22, v17, v12
	v_fmac_f32_e32 v14, v21, v17
	v_fma_f32 v12, -v24, v17, v32
	v_fmac_f32_e32 v13, v23, v17
	v_lshlrev_b64 v[16:17], 3, v[9:10]
	v_add_u32_e32 v9, -2, v7
	v_lshlrev_b64 v[21:22], 3, v[9:10]
	v_add_co_u32_e32 v16, vcc, s14, v16
	v_addc_co_u32_e32 v17, vcc, v20, v17, vcc
	v_add_co_u32_e32 v34, vcc, s12, v21
	v_addc_co_u32_e32 v35, vcc, v19, v22, vcc
	global_load_dwordx4 v[21:24], v[30:31], off
	global_load_dwordx2 v[36:37], v[16:17], off
	v_add_u32_e32 v9, 3, v29
	v_lshlrev_b64 v[32:33], 3, v[9:10]
	v_add_u32_e32 v9, 4, v29
	v_add_co_u32_e32 v16, vcc, s14, v32
	v_addc_co_u32_e32 v17, vcc, v20, v33, vcc
	v_add_u32_e32 v7, 0x280, v7
	s_waitcnt vmcnt(0)
	v_fmac_f32_e32 v8, v21, v36
	v_fma_f32 v31, -v22, v37, v8
	v_lshlrev_b64 v[8:9], 3, v[9:10]
	v_fmac_f32_e32 v14, v22, v36
	v_fmac_f32_e32 v12, v23, v36
	;; [unrolled: 1-line block ×4, first 2 shown]
	v_fma_f32 v12, -v24, v37, v12
	v_fmac_f32_e32 v13, v23, v37
	global_load_dwordx4 v[21:24], v[34:35], off
	global_load_dwordx2 v[29:30], v[16:17], off
	v_add_co_u32_e32 v8, vcc, s14, v8
	v_addc_co_u32_e32 v9, vcc, v20, v9, vcc
	global_load_dwordx2 v[8:9], v[8:9], off
	v_cmp_ge_i32_e32 vcc, v11, v15
	s_or_b64 s[8:9], vcc, s[8:9]
	s_waitcnt vmcnt(1)
	v_fmac_f32_e32 v31, v21, v29
	v_fmac_f32_e32 v14, v22, v29
	;; [unrolled: 1-line block ×4, first 2 shown]
	v_fma_f32 v16, -v22, v30, v31
	v_fmac_f32_e32 v14, v21, v30
	v_fma_f32 v12, -v24, v30, v12
	v_fmac_f32_e32 v13, v23, v30
	s_waitcnt vmcnt(0)
	v_fmac_f32_e32 v16, v25, v8
	v_fmac_f32_e32 v14, v26, v8
	;; [unrolled: 1-line block ×4, first 2 shown]
	v_fma_f32 v17, -v26, v9, v16
	v_fmac_f32_e32 v14, v25, v9
	v_fma_f32 v16, -v28, v9, v12
	v_fmac_f32_e32 v13, v27, v9
	s_andn2_b64 exec, exec, s[8:9]
	s_cbranch_execnz .LBB171_7
; %bb.8:
	s_or_b64 exec, exec, s[8:9]
.LBB171_9:
	s_or_b64 exec, exec, s[6:7]
	s_cbranch_execz .LBB171_11
	s_branch .LBB171_16
.LBB171_10:
                                        ; implicit-def: $vgpr14
                                        ; implicit-def: $vgpr17
                                        ; implicit-def: $vgpr16
                                        ; implicit-def: $vgpr13
.LBB171_11:
	v_mov_b32_e32 v14, 0
	v_mov_b32_e32 v17, 0
	;; [unrolled: 1-line block ×4, first 2 shown]
	s_and_saveexec_b64 s[6:7], s[0:1]
	s_cbranch_execz .LBB171_15
; %bb.12:
	v_mad_u64_u32 v[8:9], s[0:1], v6, 10, 9
	v_mov_b32_e32 v11, 0
	s_mov_b64 s[0:1], 0
	v_mov_b32_e32 v12, s11
	v_mov_b32_e32 v18, s13
	;; [unrolled: 1-line block ×7, first 2 shown]
.LBB171_13:                             ; =>This Inner Loop Header: Depth=1
	v_ashrrev_i32_e32 v7, 31, v6
	v_lshlrev_b64 v[22:23], 2, v[6:7]
	v_add_u32_e32 v10, -9, v8
	v_add_co_u32_e32 v22, vcc, s10, v22
	v_addc_co_u32_e32 v23, vcc, v12, v23, vcc
	global_load_dword v7, v[22:23], off
	v_lshlrev_b64 v[24:25], 3, v[10:11]
	v_add_u32_e32 v20, -4, v8
	v_mov_b32_e32 v21, v11
	v_lshlrev_b64 v[20:21], 3, v[20:21]
	v_add_co_u32_e32 v24, vcc, s12, v24
	v_mov_b32_e32 v9, v11
	v_addc_co_u32_e32 v25, vcc, v18, v25, vcc
	v_lshlrev_b64 v[9:10], 3, v[8:9]
	v_add_co_u32_e32 v20, vcc, s12, v20
	v_addc_co_u32_e32 v21, vcc, v18, v21, vcc
	v_add_co_u32_e32 v26, vcc, s12, v9
	v_addc_co_u32_e32 v27, vcc, v18, v10, vcc
	v_mov_b32_e32 v10, v11
	v_add_u32_e32 v6, 64, v6
	s_waitcnt vmcnt(0)
	v_subrev_u32_e32 v7, s2, v7
	v_lshl_add_u32 v9, v7, 2, v7
	v_lshlrev_b64 v[22:23], 3, v[9:10]
	v_add_u32_e32 v10, 1, v9
	v_add_co_u32_e32 v22, vcc, s14, v22
	v_addc_co_u32_e32 v23, vcc, v19, v23, vcc
	global_load_dwordx2 v[30:31], v[20:21], off
	global_load_dwordx2 v[32:33], v[22:23], off
	v_lshlrev_b64 v[28:29], 3, v[10:11]
	global_load_dwordx4 v[20:23], v[24:25], off
	v_add_co_u32_e32 v28, vcc, s14, v28
	v_addc_co_u32_e32 v29, vcc, v19, v29, vcc
	v_add_u32_e32 v10, -3, v8
	s_waitcnt vmcnt(1)
	v_fmac_f32_e32 v16, v30, v32
	v_fma_f32 v7, -v31, v33, v16
	s_waitcnt vmcnt(0)
	v_fmac_f32_e32 v17, v20, v32
	v_fmac_f32_e32 v14, v21, v32
	v_fma_f32 v21, -v21, v33, v17
	global_load_dwordx2 v[16:17], v[28:29], off
	v_fmac_f32_e32 v13, v31, v32
	v_fmac_f32_e32 v13, v30, v33
	v_fmac_f32_e32 v14, v20, v33
	s_waitcnt vmcnt(0)
	v_fmac_f32_e32 v21, v22, v16
	v_fma_f32 v30, -v23, v17, v21
	v_lshlrev_b64 v[20:21], 3, v[10:11]
	v_fmac_f32_e32 v14, v23, v16
	v_add_u32_e32 v10, -7, v8
	v_fmac_f32_e32 v14, v22, v17
	v_add_co_u32_e32 v20, vcc, s12, v20
	v_lshlrev_b64 v[22:23], 3, v[10:11]
	v_addc_co_u32_e32 v21, vcc, v18, v21, vcc
	v_add_co_u32_e32 v22, vcc, s12, v22
	v_addc_co_u32_e32 v23, vcc, v18, v23, vcc
	global_load_dwordx2 v[24:25], v[20:21], off
	global_load_dwordx2 v[28:29], v[22:23], off
	v_add_u32_e32 v10, 2, v9
	s_waitcnt vmcnt(1)
	v_fmac_f32_e32 v7, v24, v16
	v_fmac_f32_e32 v13, v25, v16
	v_fma_f32 v7, -v25, v17, v7
	v_fmac_f32_e32 v13, v24, v17
	v_lshlrev_b64 v[16:17], 3, v[10:11]
	v_add_u32_e32 v10, -2, v8
	v_add_co_u32_e32 v16, vcc, s14, v16
	v_addc_co_u32_e32 v17, vcc, v19, v17, vcc
	global_load_dwordx2 v[16:17], v[16:17], off
	v_lshlrev_b64 v[20:21], 3, v[10:11]
	v_add_u32_e32 v10, -6, v8
	v_add_co_u32_e32 v20, vcc, s12, v20
	v_lshlrev_b64 v[22:23], 3, v[10:11]
	v_addc_co_u32_e32 v21, vcc, v18, v21, vcc
	v_add_co_u32_e32 v22, vcc, s12, v22
	v_addc_co_u32_e32 v23, vcc, v18, v23, vcc
	v_add_u32_e32 v10, 3, v9
	s_waitcnt vmcnt(0)
	v_fmac_f32_e32 v30, v28, v16
	v_fmac_f32_e32 v14, v29, v16
	v_fma_f32 v30, -v29, v17, v30
	v_fmac_f32_e32 v14, v28, v17
	global_load_dwordx2 v[24:25], v[20:21], off
	global_load_dwordx2 v[28:29], v[22:23], off
	s_waitcnt vmcnt(1)
	v_fmac_f32_e32 v7, v24, v16
	v_fmac_f32_e32 v13, v25, v16
	v_fma_f32 v7, -v25, v17, v7
	v_fmac_f32_e32 v13, v24, v17
	v_lshlrev_b64 v[16:17], 3, v[10:11]
	v_add_u32_e32 v10, -1, v8
	v_add_co_u32_e32 v16, vcc, s14, v16
	v_addc_co_u32_e32 v17, vcc, v19, v17, vcc
	global_load_dwordx2 v[16:17], v[16:17], off
	v_lshlrev_b64 v[20:21], 3, v[10:11]
	v_add_u32_e32 v10, -5, v8
	v_lshlrev_b64 v[22:23], 3, v[10:11]
	v_add_co_u32_e32 v20, vcc, s12, v20
	v_add_u32_e32 v10, 4, v9
	v_addc_co_u32_e32 v21, vcc, v18, v21, vcc
	v_add_co_u32_e32 v22, vcc, s12, v22
	v_lshlrev_b64 v[9:10], 3, v[10:11]
	v_addc_co_u32_e32 v23, vcc, v18, v23, vcc
	v_add_co_u32_e32 v9, vcc, s14, v9
	v_addc_co_u32_e32 v10, vcc, v19, v10, vcc
	v_cmp_ge_i32_e32 vcc, v6, v15
	s_or_b64 s[0:1], vcc, s[0:1]
	v_add_u32_e32 v8, 0x280, v8
	s_waitcnt vmcnt(0)
	v_fmac_f32_e32 v30, v28, v16
	v_fmac_f32_e32 v14, v29, v16
	v_fma_f32 v34, -v29, v17, v30
	v_fmac_f32_e32 v14, v28, v17
	global_load_dwordx2 v[24:25], v[26:27], off
	global_load_dwordx2 v[28:29], v[20:21], off
	;; [unrolled: 1-line block ×4, first 2 shown]
	s_waitcnt vmcnt(2)
	v_fmac_f32_e32 v7, v28, v16
	v_fmac_f32_e32 v13, v29, v16
	v_fma_f32 v7, -v29, v17, v7
	v_fmac_f32_e32 v13, v28, v17
	s_waitcnt vmcnt(0)
	v_fmac_f32_e32 v34, v30, v32
	v_fmac_f32_e32 v14, v31, v32
	;; [unrolled: 1-line block ×4, first 2 shown]
	v_fma_f32 v17, -v31, v33, v34
	v_fmac_f32_e32 v14, v30, v33
	v_fma_f32 v16, -v25, v33, v7
	v_fmac_f32_e32 v13, v24, v33
	s_andn2_b64 exec, exec, s[0:1]
	s_cbranch_execnz .LBB171_13
; %bb.14:
	s_or_b64 exec, exec, s[0:1]
.LBB171_15:
	s_or_b64 exec, exec, s[6:7]
.LBB171_16:
	v_mov_b32_dpp v6, v17 row_shr:1 row_mask:0xf bank_mask:0xf
	v_mov_b32_dpp v8, v14 row_shr:1 row_mask:0xf bank_mask:0xf
	v_mov_b32_dpp v10, v16 row_shr:1 row_mask:0xf bank_mask:0xf
	v_mov_b32_dpp v12, v13 row_shr:1 row_mask:0xf bank_mask:0xf
	v_add_f32_e32 v6, v17, v6
	v_add_f32_e32 v8, v14, v8
	v_add_f32_e32 v10, v16, v10
	v_add_f32_e32 v12, v13, v12
	v_mov_b32_dpp v7, v6 row_shr:2 row_mask:0xf bank_mask:0xf
	v_mov_b32_dpp v9, v8 row_shr:2 row_mask:0xf bank_mask:0xf
	v_mov_b32_dpp v11, v10 row_shr:2 row_mask:0xf bank_mask:0xf
	v_mov_b32_dpp v13, v12 row_shr:2 row_mask:0xf bank_mask:0xf
	v_add_f32_e32 v6, v6, v7
	v_add_f32_e32 v8, v8, v9
	v_add_f32_e32 v10, v10, v11
	v_add_f32_e32 v12, v12, v13
	v_mov_b32_dpp v7, v6 row_shr:4 row_mask:0xf bank_mask:0xe
	v_mov_b32_dpp v9, v8 row_shr:4 row_mask:0xf bank_mask:0xe
	v_mov_b32_dpp v11, v10 row_shr:4 row_mask:0xf bank_mask:0xe
	v_mov_b32_dpp v13, v12 row_shr:4 row_mask:0xf bank_mask:0xe
	v_add_f32_e32 v6, v6, v7
	v_add_f32_e32 v8, v8, v9
	v_add_f32_e32 v10, v10, v11
	v_add_f32_e32 v12, v12, v13
	v_mov_b32_dpp v7, v6 row_shr:8 row_mask:0xf bank_mask:0xc
	v_mov_b32_dpp v9, v8 row_shr:8 row_mask:0xf bank_mask:0xc
	v_mov_b32_dpp v11, v10 row_shr:8 row_mask:0xf bank_mask:0xc
	v_mov_b32_dpp v13, v12 row_shr:8 row_mask:0xf bank_mask:0xc
	v_add_f32_e32 v6, v6, v7
	v_add_f32_e32 v8, v8, v9
	v_add_f32_e32 v10, v10, v11
	v_add_f32_e32 v12, v12, v13
	v_mov_b32_dpp v7, v6 row_bcast:15 row_mask:0xa bank_mask:0xf
	v_mov_b32_dpp v9, v8 row_bcast:15 row_mask:0xa bank_mask:0xf
	;; [unrolled: 1-line block ×4, first 2 shown]
	v_add_f32_e32 v6, v6, v7
	v_add_f32_e32 v8, v8, v9
	;; [unrolled: 1-line block ×4, first 2 shown]
	v_mov_b32_dpp v7, v6 row_bcast:31 row_mask:0xc bank_mask:0xf
	v_mov_b32_dpp v9, v8 row_bcast:31 row_mask:0xc bank_mask:0xf
	;; [unrolled: 1-line block ×4, first 2 shown]
	v_cmp_eq_u32_e32 vcc, 63, v0
	s_and_b64 exec, exec, vcc
	s_cbranch_execz .LBB171_21
; %bb.17:
	s_load_dwordx2 s[2:3], s[4:5], 0x38
	v_cmp_eq_f32_e32 vcc, 0, v3
	v_cmp_eq_f32_e64 s[0:1], 0, v4
	v_add_f32_e32 v7, v6, v7
	v_add_f32_e32 v8, v8, v9
	v_add_f32_e32 v0, v10, v11
	v_add_f32_e32 v6, v12, v13
	s_and_b64 s[0:1], vcc, s[0:1]
	s_and_saveexec_b64 s[4:5], s[0:1]
	s_xor_b64 s[0:1], exec, s[4:5]
	s_cbranch_execz .LBB171_19
; %bb.18:
	v_mul_f32_e64 v3, v8, -v2
	v_mul_f32_e32 v4, v1, v8
	v_fmac_f32_e32 v3, v1, v7
	v_fmac_f32_e32 v4, v2, v7
	v_lshlrev_b32_e32 v7, 1, v5
	v_ashrrev_i32_e32 v8, 31, v7
	v_lshlrev_b64 v[7:8], 3, v[7:8]
	s_waitcnt lgkmcnt(0)
	v_mov_b32_e32 v5, s3
	v_add_co_u32_e32 v7, vcc, s2, v7
	v_addc_co_u32_e32 v8, vcc, v5, v8, vcc
	v_mul_f32_e64 v5, v6, -v2
	v_mul_f32_e32 v6, v1, v6
	v_fmac_f32_e32 v5, v1, v0
	v_fmac_f32_e32 v6, v2, v0
	global_store_dwordx4 v[7:8], v[3:6], off
                                        ; implicit-def: $vgpr5
                                        ; implicit-def: $vgpr1_vgpr2
                                        ; implicit-def: $vgpr8
                                        ; implicit-def: $vgpr7
                                        ; implicit-def: $vgpr3_vgpr4
                                        ; implicit-def: $vgpr6
                                        ; implicit-def: $vgpr0
.LBB171_19:
	s_andn2_saveexec_b64 s[0:1], s[0:1]
	s_cbranch_execz .LBB171_21
; %bb.20:
	v_lshlrev_b32_e32 v9, 1, v5
	v_ashrrev_i32_e32 v10, 31, v9
	v_lshlrev_b64 v[9:10], 3, v[9:10]
	s_waitcnt lgkmcnt(0)
	v_mov_b32_e32 v5, s3
	v_add_co_u32_e32 v17, vcc, s2, v9
	v_addc_co_u32_e32 v18, vcc, v5, v10, vcc
	global_load_dwordx4 v[9:12], v[17:18], off
	v_mul_f32_e64 v5, v8, -v2
	v_mul_f32_e32 v14, v1, v8
	v_mul_f32_e64 v8, v6, -v2
	v_mul_f32_e32 v16, v1, v6
	v_fmac_f32_e32 v5, v1, v7
	v_fmac_f32_e32 v14, v2, v7
	;; [unrolled: 1-line block ×4, first 2 shown]
	s_waitcnt vmcnt(0)
	v_fmac_f32_e32 v5, v3, v9
	v_fmac_f32_e32 v14, v4, v9
	v_fmac_f32_e32 v8, v3, v11
	v_fmac_f32_e32 v16, v4, v11
	v_fma_f32 v13, -v4, v10, v5
	v_fmac_f32_e32 v14, v3, v10
	v_fma_f32 v15, -v4, v12, v8
	v_fmac_f32_e32 v16, v3, v12
	global_store_dwordx4 v[17:18], v[13:16], off
.LBB171_21:
	s_endpgm
	.section	.rodata,"a",@progbits
	.p2align	6, 0x0
	.amdhsa_kernel _ZN9rocsparseL19gebsrmvn_2xn_kernelILj128ELj5ELj64E21rocsparse_complex_numIfEEEvi20rocsparse_direction_NS_24const_host_device_scalarIT2_EEPKiS8_PKS5_SA_S6_PS5_21rocsparse_index_base_b
		.amdhsa_group_segment_fixed_size 0
		.amdhsa_private_segment_fixed_size 0
		.amdhsa_kernarg_size 72
		.amdhsa_user_sgpr_count 6
		.amdhsa_user_sgpr_private_segment_buffer 1
		.amdhsa_user_sgpr_dispatch_ptr 0
		.amdhsa_user_sgpr_queue_ptr 0
		.amdhsa_user_sgpr_kernarg_segment_ptr 1
		.amdhsa_user_sgpr_dispatch_id 0
		.amdhsa_user_sgpr_flat_scratch_init 0
		.amdhsa_user_sgpr_private_segment_size 0
		.amdhsa_uses_dynamic_stack 0
		.amdhsa_system_sgpr_private_segment_wavefront_offset 0
		.amdhsa_system_sgpr_workgroup_id_x 1
		.amdhsa_system_sgpr_workgroup_id_y 0
		.amdhsa_system_sgpr_workgroup_id_z 0
		.amdhsa_system_sgpr_workgroup_info 0
		.amdhsa_system_vgpr_workitem_id 0
		.amdhsa_next_free_vgpr 38
		.amdhsa_next_free_sgpr 16
		.amdhsa_reserve_vcc 1
		.amdhsa_reserve_flat_scratch 0
		.amdhsa_float_round_mode_32 0
		.amdhsa_float_round_mode_16_64 0
		.amdhsa_float_denorm_mode_32 3
		.amdhsa_float_denorm_mode_16_64 3
		.amdhsa_dx10_clamp 1
		.amdhsa_ieee_mode 1
		.amdhsa_fp16_overflow 0
		.amdhsa_exception_fp_ieee_invalid_op 0
		.amdhsa_exception_fp_denorm_src 0
		.amdhsa_exception_fp_ieee_div_zero 0
		.amdhsa_exception_fp_ieee_overflow 0
		.amdhsa_exception_fp_ieee_underflow 0
		.amdhsa_exception_fp_ieee_inexact 0
		.amdhsa_exception_int_div_zero 0
	.end_amdhsa_kernel
	.section	.text._ZN9rocsparseL19gebsrmvn_2xn_kernelILj128ELj5ELj64E21rocsparse_complex_numIfEEEvi20rocsparse_direction_NS_24const_host_device_scalarIT2_EEPKiS8_PKS5_SA_S6_PS5_21rocsparse_index_base_b,"axG",@progbits,_ZN9rocsparseL19gebsrmvn_2xn_kernelILj128ELj5ELj64E21rocsparse_complex_numIfEEEvi20rocsparse_direction_NS_24const_host_device_scalarIT2_EEPKiS8_PKS5_SA_S6_PS5_21rocsparse_index_base_b,comdat
.Lfunc_end171:
	.size	_ZN9rocsparseL19gebsrmvn_2xn_kernelILj128ELj5ELj64E21rocsparse_complex_numIfEEEvi20rocsparse_direction_NS_24const_host_device_scalarIT2_EEPKiS8_PKS5_SA_S6_PS5_21rocsparse_index_base_b, .Lfunc_end171-_ZN9rocsparseL19gebsrmvn_2xn_kernelILj128ELj5ELj64E21rocsparse_complex_numIfEEEvi20rocsparse_direction_NS_24const_host_device_scalarIT2_EEPKiS8_PKS5_SA_S6_PS5_21rocsparse_index_base_b
                                        ; -- End function
	.set _ZN9rocsparseL19gebsrmvn_2xn_kernelILj128ELj5ELj64E21rocsparse_complex_numIfEEEvi20rocsparse_direction_NS_24const_host_device_scalarIT2_EEPKiS8_PKS5_SA_S6_PS5_21rocsparse_index_base_b.num_vgpr, 38
	.set _ZN9rocsparseL19gebsrmvn_2xn_kernelILj128ELj5ELj64E21rocsparse_complex_numIfEEEvi20rocsparse_direction_NS_24const_host_device_scalarIT2_EEPKiS8_PKS5_SA_S6_PS5_21rocsparse_index_base_b.num_agpr, 0
	.set _ZN9rocsparseL19gebsrmvn_2xn_kernelILj128ELj5ELj64E21rocsparse_complex_numIfEEEvi20rocsparse_direction_NS_24const_host_device_scalarIT2_EEPKiS8_PKS5_SA_S6_PS5_21rocsparse_index_base_b.numbered_sgpr, 16
	.set _ZN9rocsparseL19gebsrmvn_2xn_kernelILj128ELj5ELj64E21rocsparse_complex_numIfEEEvi20rocsparse_direction_NS_24const_host_device_scalarIT2_EEPKiS8_PKS5_SA_S6_PS5_21rocsparse_index_base_b.num_named_barrier, 0
	.set _ZN9rocsparseL19gebsrmvn_2xn_kernelILj128ELj5ELj64E21rocsparse_complex_numIfEEEvi20rocsparse_direction_NS_24const_host_device_scalarIT2_EEPKiS8_PKS5_SA_S6_PS5_21rocsparse_index_base_b.private_seg_size, 0
	.set _ZN9rocsparseL19gebsrmvn_2xn_kernelILj128ELj5ELj64E21rocsparse_complex_numIfEEEvi20rocsparse_direction_NS_24const_host_device_scalarIT2_EEPKiS8_PKS5_SA_S6_PS5_21rocsparse_index_base_b.uses_vcc, 1
	.set _ZN9rocsparseL19gebsrmvn_2xn_kernelILj128ELj5ELj64E21rocsparse_complex_numIfEEEvi20rocsparse_direction_NS_24const_host_device_scalarIT2_EEPKiS8_PKS5_SA_S6_PS5_21rocsparse_index_base_b.uses_flat_scratch, 0
	.set _ZN9rocsparseL19gebsrmvn_2xn_kernelILj128ELj5ELj64E21rocsparse_complex_numIfEEEvi20rocsparse_direction_NS_24const_host_device_scalarIT2_EEPKiS8_PKS5_SA_S6_PS5_21rocsparse_index_base_b.has_dyn_sized_stack, 0
	.set _ZN9rocsparseL19gebsrmvn_2xn_kernelILj128ELj5ELj64E21rocsparse_complex_numIfEEEvi20rocsparse_direction_NS_24const_host_device_scalarIT2_EEPKiS8_PKS5_SA_S6_PS5_21rocsparse_index_base_b.has_recursion, 0
	.set _ZN9rocsparseL19gebsrmvn_2xn_kernelILj128ELj5ELj64E21rocsparse_complex_numIfEEEvi20rocsparse_direction_NS_24const_host_device_scalarIT2_EEPKiS8_PKS5_SA_S6_PS5_21rocsparse_index_base_b.has_indirect_call, 0
	.section	.AMDGPU.csdata,"",@progbits
; Kernel info:
; codeLenInByte = 2272
; TotalNumSgprs: 20
; NumVgprs: 38
; ScratchSize: 0
; MemoryBound: 0
; FloatMode: 240
; IeeeMode: 1
; LDSByteSize: 0 bytes/workgroup (compile time only)
; SGPRBlocks: 2
; VGPRBlocks: 9
; NumSGPRsForWavesPerEU: 20
; NumVGPRsForWavesPerEU: 38
; Occupancy: 6
; WaveLimiterHint : 1
; COMPUTE_PGM_RSRC2:SCRATCH_EN: 0
; COMPUTE_PGM_RSRC2:USER_SGPR: 6
; COMPUTE_PGM_RSRC2:TRAP_HANDLER: 0
; COMPUTE_PGM_RSRC2:TGID_X_EN: 1
; COMPUTE_PGM_RSRC2:TGID_Y_EN: 0
; COMPUTE_PGM_RSRC2:TGID_Z_EN: 0
; COMPUTE_PGM_RSRC2:TIDIG_COMP_CNT: 0
	.section	.text._ZN9rocsparseL19gebsrmvn_2xn_kernelILj128ELj6ELj4E21rocsparse_complex_numIfEEEvi20rocsparse_direction_NS_24const_host_device_scalarIT2_EEPKiS8_PKS5_SA_S6_PS5_21rocsparse_index_base_b,"axG",@progbits,_ZN9rocsparseL19gebsrmvn_2xn_kernelILj128ELj6ELj4E21rocsparse_complex_numIfEEEvi20rocsparse_direction_NS_24const_host_device_scalarIT2_EEPKiS8_PKS5_SA_S6_PS5_21rocsparse_index_base_b,comdat
	.globl	_ZN9rocsparseL19gebsrmvn_2xn_kernelILj128ELj6ELj4E21rocsparse_complex_numIfEEEvi20rocsparse_direction_NS_24const_host_device_scalarIT2_EEPKiS8_PKS5_SA_S6_PS5_21rocsparse_index_base_b ; -- Begin function _ZN9rocsparseL19gebsrmvn_2xn_kernelILj128ELj6ELj4E21rocsparse_complex_numIfEEEvi20rocsparse_direction_NS_24const_host_device_scalarIT2_EEPKiS8_PKS5_SA_S6_PS5_21rocsparse_index_base_b
	.p2align	8
	.type	_ZN9rocsparseL19gebsrmvn_2xn_kernelILj128ELj6ELj4E21rocsparse_complex_numIfEEEvi20rocsparse_direction_NS_24const_host_device_scalarIT2_EEPKiS8_PKS5_SA_S6_PS5_21rocsparse_index_base_b,@function
_ZN9rocsparseL19gebsrmvn_2xn_kernelILj128ELj6ELj4E21rocsparse_complex_numIfEEEvi20rocsparse_direction_NS_24const_host_device_scalarIT2_EEPKiS8_PKS5_SA_S6_PS5_21rocsparse_index_base_b: ; @_ZN9rocsparseL19gebsrmvn_2xn_kernelILj128ELj6ELj4E21rocsparse_complex_numIfEEEvi20rocsparse_direction_NS_24const_host_device_scalarIT2_EEPKiS8_PKS5_SA_S6_PS5_21rocsparse_index_base_b
; %bb.0:
	s_load_dwordx2 s[0:1], s[4:5], 0x8
	s_load_dwordx2 s[8:9], s[4:5], 0x30
	;; [unrolled: 1-line block ×3, first 2 shown]
	s_add_u32 s7, s4, 8
	s_addc_u32 s10, s5, 0
	s_add_u32 s11, s4, 48
	s_addc_u32 s12, s5, 0
	s_waitcnt lgkmcnt(0)
	s_bitcmp1_b32 s3, 0
	s_cselect_b32 s1, s10, s1
	s_cselect_b32 s0, s7, s0
	v_mov_b32_e32 v1, s0
	v_mov_b32_e32 v2, s1
	flat_load_dwordx2 v[1:2], v[1:2]
	s_cselect_b32 s0, s12, s9
	s_cselect_b32 s1, s11, s8
	v_mov_b32_e32 v3, s1
	v_mov_b32_e32 v4, s0
	flat_load_dwordx2 v[3:4], v[3:4]
	s_waitcnt vmcnt(0) lgkmcnt(0)
	v_cmp_eq_f32_e32 vcc, 0, v1
	v_cmp_eq_f32_e64 s[0:1], 0, v2
	s_and_b64 s[10:11], vcc, s[0:1]
	s_mov_b64 s[0:1], -1
	s_and_saveexec_b64 s[8:9], s[10:11]
; %bb.1:
	v_cmp_neq_f32_e32 vcc, 1.0, v3
	v_cmp_neq_f32_e64 s[0:1], 0, v4
	s_or_b64 s[0:1], vcc, s[0:1]
	s_orn2_b64 s[0:1], s[0:1], exec
; %bb.2:
	s_or_b64 exec, exec, s[8:9]
	s_and_saveexec_b64 s[8:9], s[0:1]
	s_cbranch_execz .LBB172_21
; %bb.3:
	s_load_dwordx2 s[0:1], s[4:5], 0x0
	v_lshrrev_b32_e32 v5, 2, v0
	v_lshl_or_b32 v5, s6, 5, v5
	s_waitcnt lgkmcnt(0)
	v_cmp_gt_i32_e32 vcc, s0, v5
	s_and_b64 exec, exec, vcc
	s_cbranch_execz .LBB172_21
; %bb.4:
	s_load_dwordx8 s[8:15], s[4:5], 0x10
	v_ashrrev_i32_e32 v6, 31, v5
	v_lshlrev_b64 v[6:7], 2, v[5:6]
	v_and_b32_e32 v0, 3, v0
	s_cmp_lg_u32 s1, 0
	s_waitcnt lgkmcnt(0)
	v_mov_b32_e32 v8, s9
	v_add_co_u32_e32 v6, vcc, s8, v6
	v_addc_co_u32_e32 v7, vcc, v8, v7, vcc
	global_load_dwordx2 v[6:7], v[6:7], off
	s_waitcnt vmcnt(0)
	v_subrev_u32_e32 v6, s2, v6
	v_subrev_u32_e32 v13, s2, v7
	v_add_u32_e32 v6, v6, v0
	v_cmp_lt_i32_e64 s[0:1], v6, v13
	s_cbranch_scc0 .LBB172_10
; %bb.5:
	v_mov_b32_e32 v14, 0
	v_mov_b32_e32 v17, 0
	;; [unrolled: 1-line block ×4, first 2 shown]
	s_and_saveexec_b64 s[6:7], s[0:1]
	s_cbranch_execz .LBB172_9
; %bb.6:
	v_mad_u64_u32 v[7:8], s[8:9], v6, 12, 10
	v_mov_b32_e32 v10, 0
	s_mov_b64 s[8:9], 0
	v_mov_b32_e32 v18, s11
	v_mov_b32_e32 v19, s13
	v_mov_b32_e32 v20, s15
	v_mov_b32_e32 v11, v6
	v_mov_b32_e32 v14, 0
	v_mov_b32_e32 v17, 0
	v_mov_b32_e32 v16, 0
	v_mov_b32_e32 v15, 0
.LBB172_7:                              ; =>This Inner Loop Header: Depth=1
	v_ashrrev_i32_e32 v12, 31, v11
	v_lshlrev_b64 v[21:22], 2, v[11:12]
	v_add_u32_e32 v9, -10, v7
	v_lshlrev_b64 v[23:24], 3, v[9:10]
	v_add_co_u32_e32 v29, vcc, s10, v21
	v_mov_b32_e32 v8, v10
	v_addc_co_u32_e32 v30, vcc, v18, v22, vcc
	v_lshlrev_b64 v[25:26], 3, v[7:8]
	v_add_co_u32_e32 v31, vcc, s12, v23
	v_addc_co_u32_e32 v32, vcc, v19, v24, vcc
	v_add_co_u32_e32 v37, vcc, s12, v25
	v_addc_co_u32_e32 v38, vcc, v19, v26, vcc
	global_load_dword v12, v[29:30], off
	global_load_dwordx4 v[21:24], v[31:32], off
	global_load_dwordx4 v[25:28], v[31:32], off offset:16
	v_add_u32_e32 v9, -6, v7
	v_lshlrev_b64 v[8:9], 3, v[9:10]
	v_mov_b32_e32 v34, v10
	v_add_co_u32_e32 v8, vcc, s12, v8
	v_addc_co_u32_e32 v9, vcc, v19, v9, vcc
	v_add_u32_e32 v11, 4, v11
	s_waitcnt vmcnt(2)
	v_subrev_u32_e32 v12, s2, v12
	v_mul_lo_u32 v33, v12, 6
	v_lshlrev_b64 v[29:30], 3, v[33:34]
	v_add_co_u32_e32 v29, vcc, s14, v29
	v_addc_co_u32_e32 v30, vcc, v20, v30, vcc
	global_load_dwordx4 v[29:32], v[29:30], off
	s_waitcnt vmcnt(0)
	v_fmac_f32_e32 v17, v21, v29
	v_fmac_f32_e32 v14, v22, v29
	;; [unrolled: 1-line block ×4, first 2 shown]
	v_fma_f32 v12, -v22, v30, v17
	v_fmac_f32_e32 v14, v21, v30
	v_fma_f32 v29, -v24, v30, v16
	v_fmac_f32_e32 v15, v23, v30
	global_load_dwordx4 v[21:24], v[8:9], off
	v_add_u32_e32 v9, 2, v33
	v_lshlrev_b64 v[16:17], 3, v[9:10]
	v_add_u32_e32 v9, -4, v7
	v_fmac_f32_e32 v29, v27, v31
	v_fma_f32 v34, -v28, v32, v29
	v_lshlrev_b64 v[29:30], 3, v[9:10]
	v_add_co_u32_e32 v16, vcc, s14, v16
	v_fmac_f32_e32 v12, v25, v31
	v_fmac_f32_e32 v14, v26, v31
	;; [unrolled: 1-line block ×3, first 2 shown]
	v_add_u32_e32 v9, -2, v7
	v_addc_co_u32_e32 v17, vcc, v20, v17, vcc
	v_fma_f32 v12, -v26, v32, v12
	v_fmac_f32_e32 v14, v25, v32
	v_fmac_f32_e32 v15, v27, v32
	v_lshlrev_b64 v[31:32], 3, v[9:10]
	global_load_dwordx4 v[25:28], v[16:17], off
	v_add_co_u32_e32 v16, vcc, s12, v29
	v_addc_co_u32_e32 v17, vcc, v19, v30, vcc
	v_add_co_u32_e32 v39, vcc, s12, v31
	v_addc_co_u32_e32 v40, vcc, v19, v32, vcc
	global_load_dwordx4 v[29:32], v[16:17], off
	v_add_u32_e32 v9, 4, v33
	v_lshlrev_b64 v[8:9], 3, v[9:10]
	v_add_u32_e32 v7, 48, v7
	v_add_co_u32_e32 v8, vcc, s14, v8
	v_addc_co_u32_e32 v9, vcc, v20, v9, vcc
	v_cmp_ge_i32_e32 vcc, v11, v13
	s_or_b64 s[8:9], vcc, s[8:9]
	s_waitcnt vmcnt(1)
	v_fmac_f32_e32 v12, v21, v25
	v_fmac_f32_e32 v14, v22, v25
	;; [unrolled: 1-line block ×4, first 2 shown]
	v_fma_f32 v12, -v22, v26, v12
	v_fmac_f32_e32 v14, v21, v26
	v_fma_f32 v16, -v24, v26, v34
	v_fmac_f32_e32 v15, v23, v26
	global_load_dwordx4 v[21:24], v[39:40], off
	global_load_dwordx4 v[33:36], v[8:9], off
	s_waitcnt vmcnt(2)
	v_fmac_f32_e32 v12, v29, v27
	v_fmac_f32_e32 v14, v30, v27
	;; [unrolled: 1-line block ×4, first 2 shown]
	v_fma_f32 v8, -v30, v28, v12
	v_fmac_f32_e32 v14, v29, v28
	v_fma_f32 v9, -v32, v28, v16
	v_fmac_f32_e32 v15, v31, v28
	global_load_dwordx4 v[25:28], v[37:38], off
	s_waitcnt vmcnt(1)
	v_fmac_f32_e32 v8, v21, v33
	v_fmac_f32_e32 v14, v22, v33
	;; [unrolled: 1-line block ×4, first 2 shown]
	v_fma_f32 v8, -v22, v34, v8
	v_fmac_f32_e32 v14, v21, v34
	v_fma_f32 v9, -v24, v34, v9
	v_fmac_f32_e32 v15, v23, v34
	s_waitcnt vmcnt(0)
	v_fmac_f32_e32 v8, v25, v35
	v_fmac_f32_e32 v14, v26, v35
	;; [unrolled: 1-line block ×4, first 2 shown]
	v_fma_f32 v17, -v26, v36, v8
	v_fmac_f32_e32 v14, v25, v36
	v_fma_f32 v16, -v28, v36, v9
	v_fmac_f32_e32 v15, v27, v36
	s_andn2_b64 exec, exec, s[8:9]
	s_cbranch_execnz .LBB172_7
; %bb.8:
	s_or_b64 exec, exec, s[8:9]
.LBB172_9:
	s_or_b64 exec, exec, s[6:7]
	s_cbranch_execz .LBB172_11
	s_branch .LBB172_16
.LBB172_10:
                                        ; implicit-def: $vgpr14
                                        ; implicit-def: $vgpr17
                                        ; implicit-def: $vgpr16
                                        ; implicit-def: $vgpr15
.LBB172_11:
	v_mov_b32_e32 v14, 0
	v_mov_b32_e32 v17, 0
	;; [unrolled: 1-line block ×4, first 2 shown]
	s_and_saveexec_b64 s[6:7], s[0:1]
	s_cbranch_execz .LBB172_15
; %bb.12:
	v_mad_u64_u32 v[8:9], s[0:1], v6, 12, 11
	v_mov_b32_e32 v10, 0
	s_mov_b64 s[0:1], 0
	v_mov_b32_e32 v11, s11
	v_mov_b32_e32 v12, s13
	;; [unrolled: 1-line block ×7, first 2 shown]
.LBB172_13:                             ; =>This Inner Loop Header: Depth=1
	v_ashrrev_i32_e32 v7, 31, v6
	v_lshlrev_b64 v[19:20], 2, v[6:7]
	v_add_u32_e32 v9, -11, v8
	v_lshlrev_b64 v[21:22], 3, v[9:10]
	v_add_co_u32_e32 v27, vcc, s10, v19
	v_addc_co_u32_e32 v28, vcc, v11, v20, vcc
	v_add_co_u32_e32 v29, vcc, s12, v21
	v_addc_co_u32_e32 v30, vcc, v12, v22, vcc
	global_load_dword v7, v[27:28], off
	global_load_dwordx4 v[19:22], v[29:30], off
	global_load_dwordx4 v[23:26], v[29:30], off offset:16
	v_mov_b32_e32 v32, v10
	v_mov_b32_e32 v9, v10
	v_add_u32_e32 v6, 4, v6
	s_waitcnt vmcnt(2)
	v_subrev_u32_e32 v7, s2, v7
	v_mul_lo_u32 v31, v7, 6
	v_lshlrev_b64 v[27:28], 3, v[31:32]
	v_add_co_u32_e32 v27, vcc, s14, v27
	v_addc_co_u32_e32 v28, vcc, v18, v28, vcc
	global_load_dwordx4 v[27:30], v[27:28], off
	s_waitcnt vmcnt(0)
	v_fmac_f32_e32 v17, v19, v27
	v_fmac_f32_e32 v14, v20, v27
	v_fma_f32 v7, -v20, v28, v17
	v_fmac_f32_e32 v14, v19, v28
	v_add_u32_e32 v19, -5, v8
	v_mov_b32_e32 v20, v10
	v_lshlrev_b64 v[19:20], 3, v[19:20]
	v_fmac_f32_e32 v7, v21, v29
	v_fmac_f32_e32 v14, v22, v29
	v_fma_f32 v7, -v22, v30, v7
	v_fmac_f32_e32 v14, v21, v30
	v_add_co_u32_e32 v19, vcc, s12, v19
	v_lshlrev_b64 v[21:22], 3, v[8:9]
	v_addc_co_u32_e32 v20, vcc, v12, v20, vcc
	v_add_co_u32_e32 v32, vcc, s12, v21
	v_add_u32_e32 v9, -4, v8
	v_addc_co_u32_e32 v33, vcc, v12, v22, vcc
	v_lshlrev_b64 v[21:22], 3, v[9:10]
	v_add_u32_e32 v9, 2, v31
	v_add_co_u32_e32 v21, vcc, s12, v21
	v_addc_co_u32_e32 v22, vcc, v12, v22, vcc
	global_load_dwordx2 v[34:35], v[19:20], off
	global_load_dwordx2 v[36:37], v[21:22], off
	s_waitcnt vmcnt(1)
	v_fmac_f32_e32 v16, v34, v27
	v_fmac_f32_e32 v15, v35, v27
	v_fma_f32 v16, -v35, v28, v16
	v_fmac_f32_e32 v15, v34, v28
	s_waitcnt vmcnt(0)
	v_fmac_f32_e32 v16, v36, v29
	v_fmac_f32_e32 v15, v37, v29
	v_fma_f32 v37, -v37, v30, v16
	v_lshlrev_b64 v[16:17], 3, v[9:10]
	v_add_u32_e32 v9, -3, v8
	v_add_co_u32_e32 v16, vcc, s14, v16
	v_addc_co_u32_e32 v17, vcc, v18, v17, vcc
	global_load_dwordx4 v[19:22], v[16:17], off
	v_lshlrev_b64 v[27:28], 3, v[9:10]
	v_add_u32_e32 v9, -2, v8
	v_lshlrev_b64 v[16:17], 3, v[9:10]
	v_add_u32_e32 v9, -7, v8
	v_fmac_f32_e32 v15, v36, v30
	s_waitcnt vmcnt(0)
	v_fmac_f32_e32 v7, v23, v19
	v_fmac_f32_e32 v14, v24, v19
	v_fma_f32 v7, -v24, v20, v7
	v_fmac_f32_e32 v14, v23, v20
	v_add_co_u32_e32 v23, vcc, s12, v27
	v_fmac_f32_e32 v7, v25, v21
	v_fmac_f32_e32 v14, v26, v21
	v_addc_co_u32_e32 v24, vcc, v12, v28, vcc
	v_fma_f32 v7, -v26, v22, v7
	v_fmac_f32_e32 v14, v25, v22
	v_lshlrev_b64 v[25:26], 3, v[9:10]
	v_add_co_u32_e32 v16, vcc, s12, v16
	global_load_dwordx2 v[23:24], v[23:24], off
	v_addc_co_u32_e32 v17, vcc, v12, v17, vcc
	v_add_co_u32_e32 v25, vcc, s12, v25
	v_addc_co_u32_e32 v26, vcc, v12, v26, vcc
	global_load_dwordx2 v[29:30], v[16:17], off
	global_load_dwordx2 v[34:35], v[25:26], off
	v_add_u32_e32 v9, 4, v31
	v_lshlrev_b64 v[27:28], 3, v[9:10]
	v_add_u32_e32 v9, -1, v8
	v_add_co_u32_e32 v27, vcc, s14, v27
	v_lshlrev_b64 v[16:17], 3, v[9:10]
	v_addc_co_u32_e32 v28, vcc, v18, v28, vcc
	v_add_u32_e32 v9, -6, v8
	v_add_co_u32_e32 v16, vcc, s12, v16
	v_addc_co_u32_e32 v17, vcc, v12, v17, vcc
	global_load_dwordx2 v[16:17], v[16:17], off
	v_add_u32_e32 v8, 48, v8
	s_waitcnt vmcnt(3)
	v_fmac_f32_e32 v37, v23, v19
	v_fmac_f32_e32 v15, v24, v19
	v_fma_f32 v19, -v24, v20, v37
	v_fmac_f32_e32 v15, v23, v20
	v_lshlrev_b64 v[23:24], 3, v[9:10]
	s_waitcnt vmcnt(2)
	v_fmac_f32_e32 v19, v29, v21
	v_fmac_f32_e32 v15, v30, v21
	v_fma_f32 v30, -v30, v22, v19
	v_fmac_f32_e32 v15, v29, v22
	global_load_dwordx4 v[19:22], v[27:28], off
	v_add_co_u32_e32 v23, vcc, s12, v23
	v_addc_co_u32_e32 v24, vcc, v12, v24, vcc
	global_load_dwordx2 v[25:26], v[23:24], off
	global_load_dwordx2 v[27:28], v[32:33], off
	v_cmp_ge_i32_e32 vcc, v6, v13
	s_or_b64 s[0:1], vcc, s[0:1]
	s_waitcnt vmcnt(2)
	v_fmac_f32_e32 v7, v34, v19
	v_fmac_f32_e32 v14, v35, v19
	;; [unrolled: 1-line block ×4, first 2 shown]
	v_fma_f32 v7, -v35, v20, v7
	v_fmac_f32_e32 v14, v34, v20
	v_fma_f32 v9, -v17, v20, v30
	v_fmac_f32_e32 v15, v16, v20
	s_waitcnt vmcnt(1)
	v_fmac_f32_e32 v7, v25, v21
	v_fmac_f32_e32 v14, v26, v21
	s_waitcnt vmcnt(0)
	v_fmac_f32_e32 v9, v27, v21
	v_fmac_f32_e32 v15, v28, v21
	v_fma_f32 v17, -v26, v22, v7
	v_fmac_f32_e32 v14, v25, v22
	v_fma_f32 v16, -v28, v22, v9
	v_fmac_f32_e32 v15, v27, v22
	s_andn2_b64 exec, exec, s[0:1]
	s_cbranch_execnz .LBB172_13
; %bb.14:
	s_or_b64 exec, exec, s[0:1]
.LBB172_15:
	s_or_b64 exec, exec, s[6:7]
.LBB172_16:
	v_mov_b32_dpp v6, v17 row_shr:1 row_mask:0xf bank_mask:0xf
	v_mov_b32_dpp v8, v14 row_shr:1 row_mask:0xf bank_mask:0xf
	;; [unrolled: 1-line block ×4, first 2 shown]
	v_add_f32_e32 v6, v17, v6
	v_add_f32_e32 v8, v14, v8
	;; [unrolled: 1-line block ×4, first 2 shown]
	v_mov_b32_dpp v7, v6 row_shr:2 row_mask:0xf bank_mask:0xf
	v_mov_b32_dpp v9, v8 row_shr:2 row_mask:0xf bank_mask:0xf
	;; [unrolled: 1-line block ×4, first 2 shown]
	v_cmp_eq_u32_e32 vcc, 3, v0
	s_and_b64 exec, exec, vcc
	s_cbranch_execz .LBB172_21
; %bb.17:
	s_load_dwordx2 s[2:3], s[4:5], 0x38
	v_cmp_eq_f32_e32 vcc, 0, v3
	v_cmp_eq_f32_e64 s[0:1], 0, v4
	v_add_f32_e32 v7, v6, v7
	v_add_f32_e32 v8, v8, v9
	;; [unrolled: 1-line block ×4, first 2 shown]
	s_and_b64 s[0:1], vcc, s[0:1]
	s_and_saveexec_b64 s[4:5], s[0:1]
	s_xor_b64 s[0:1], exec, s[4:5]
	s_cbranch_execz .LBB172_19
; %bb.18:
	v_mul_f32_e64 v3, v8, -v2
	v_mul_f32_e32 v4, v1, v8
	v_fmac_f32_e32 v3, v1, v7
	v_fmac_f32_e32 v4, v2, v7
	v_lshlrev_b32_e32 v7, 1, v5
	v_ashrrev_i32_e32 v8, 31, v7
	v_lshlrev_b64 v[7:8], 3, v[7:8]
	s_waitcnt lgkmcnt(0)
	v_mov_b32_e32 v5, s3
	v_add_co_u32_e32 v7, vcc, s2, v7
	v_addc_co_u32_e32 v8, vcc, v5, v8, vcc
	v_mul_f32_e64 v5, v6, -v2
	v_mul_f32_e32 v6, v1, v6
	v_fmac_f32_e32 v5, v1, v0
	v_fmac_f32_e32 v6, v2, v0
	global_store_dwordx4 v[7:8], v[3:6], off
                                        ; implicit-def: $vgpr5
                                        ; implicit-def: $vgpr1_vgpr2
                                        ; implicit-def: $vgpr8
                                        ; implicit-def: $vgpr7
                                        ; implicit-def: $vgpr3_vgpr4
                                        ; implicit-def: $vgpr6
                                        ; implicit-def: $vgpr0
.LBB172_19:
	s_andn2_saveexec_b64 s[0:1], s[0:1]
	s_cbranch_execz .LBB172_21
; %bb.20:
	v_lshlrev_b32_e32 v9, 1, v5
	v_ashrrev_i32_e32 v10, 31, v9
	v_lshlrev_b64 v[9:10], 3, v[9:10]
	s_waitcnt lgkmcnt(0)
	v_mov_b32_e32 v5, s3
	v_add_co_u32_e32 v17, vcc, s2, v9
	v_addc_co_u32_e32 v18, vcc, v5, v10, vcc
	global_load_dwordx4 v[9:12], v[17:18], off
	v_mul_f32_e64 v5, v8, -v2
	v_mul_f32_e32 v14, v1, v8
	v_mul_f32_e64 v8, v6, -v2
	v_mul_f32_e32 v16, v1, v6
	v_fmac_f32_e32 v5, v1, v7
	v_fmac_f32_e32 v14, v2, v7
	;; [unrolled: 1-line block ×4, first 2 shown]
	s_waitcnt vmcnt(0)
	v_fmac_f32_e32 v5, v3, v9
	v_fmac_f32_e32 v14, v4, v9
	;; [unrolled: 1-line block ×4, first 2 shown]
	v_fma_f32 v13, -v4, v10, v5
	v_fmac_f32_e32 v14, v3, v10
	v_fma_f32 v15, -v4, v12, v8
	v_fmac_f32_e32 v16, v3, v12
	global_store_dwordx4 v[17:18], v[13:16], off
.LBB172_21:
	s_endpgm
	.section	.rodata,"a",@progbits
	.p2align	6, 0x0
	.amdhsa_kernel _ZN9rocsparseL19gebsrmvn_2xn_kernelILj128ELj6ELj4E21rocsparse_complex_numIfEEEvi20rocsparse_direction_NS_24const_host_device_scalarIT2_EEPKiS8_PKS5_SA_S6_PS5_21rocsparse_index_base_b
		.amdhsa_group_segment_fixed_size 0
		.amdhsa_private_segment_fixed_size 0
		.amdhsa_kernarg_size 72
		.amdhsa_user_sgpr_count 6
		.amdhsa_user_sgpr_private_segment_buffer 1
		.amdhsa_user_sgpr_dispatch_ptr 0
		.amdhsa_user_sgpr_queue_ptr 0
		.amdhsa_user_sgpr_kernarg_segment_ptr 1
		.amdhsa_user_sgpr_dispatch_id 0
		.amdhsa_user_sgpr_flat_scratch_init 0
		.amdhsa_user_sgpr_private_segment_size 0
		.amdhsa_uses_dynamic_stack 0
		.amdhsa_system_sgpr_private_segment_wavefront_offset 0
		.amdhsa_system_sgpr_workgroup_id_x 1
		.amdhsa_system_sgpr_workgroup_id_y 0
		.amdhsa_system_sgpr_workgroup_id_z 0
		.amdhsa_system_sgpr_workgroup_info 0
		.amdhsa_system_vgpr_workitem_id 0
		.amdhsa_next_free_vgpr 41
		.amdhsa_next_free_sgpr 16
		.amdhsa_reserve_vcc 1
		.amdhsa_reserve_flat_scratch 0
		.amdhsa_float_round_mode_32 0
		.amdhsa_float_round_mode_16_64 0
		.amdhsa_float_denorm_mode_32 3
		.amdhsa_float_denorm_mode_16_64 3
		.amdhsa_dx10_clamp 1
		.amdhsa_ieee_mode 1
		.amdhsa_fp16_overflow 0
		.amdhsa_exception_fp_ieee_invalid_op 0
		.amdhsa_exception_fp_denorm_src 0
		.amdhsa_exception_fp_ieee_div_zero 0
		.amdhsa_exception_fp_ieee_overflow 0
		.amdhsa_exception_fp_ieee_underflow 0
		.amdhsa_exception_fp_ieee_inexact 0
		.amdhsa_exception_int_div_zero 0
	.end_amdhsa_kernel
	.section	.text._ZN9rocsparseL19gebsrmvn_2xn_kernelILj128ELj6ELj4E21rocsparse_complex_numIfEEEvi20rocsparse_direction_NS_24const_host_device_scalarIT2_EEPKiS8_PKS5_SA_S6_PS5_21rocsparse_index_base_b,"axG",@progbits,_ZN9rocsparseL19gebsrmvn_2xn_kernelILj128ELj6ELj4E21rocsparse_complex_numIfEEEvi20rocsparse_direction_NS_24const_host_device_scalarIT2_EEPKiS8_PKS5_SA_S6_PS5_21rocsparse_index_base_b,comdat
.Lfunc_end172:
	.size	_ZN9rocsparseL19gebsrmvn_2xn_kernelILj128ELj6ELj4E21rocsparse_complex_numIfEEEvi20rocsparse_direction_NS_24const_host_device_scalarIT2_EEPKiS8_PKS5_SA_S6_PS5_21rocsparse_index_base_b, .Lfunc_end172-_ZN9rocsparseL19gebsrmvn_2xn_kernelILj128ELj6ELj4E21rocsparse_complex_numIfEEEvi20rocsparse_direction_NS_24const_host_device_scalarIT2_EEPKiS8_PKS5_SA_S6_PS5_21rocsparse_index_base_b
                                        ; -- End function
	.set _ZN9rocsparseL19gebsrmvn_2xn_kernelILj128ELj6ELj4E21rocsparse_complex_numIfEEEvi20rocsparse_direction_NS_24const_host_device_scalarIT2_EEPKiS8_PKS5_SA_S6_PS5_21rocsparse_index_base_b.num_vgpr, 41
	.set _ZN9rocsparseL19gebsrmvn_2xn_kernelILj128ELj6ELj4E21rocsparse_complex_numIfEEEvi20rocsparse_direction_NS_24const_host_device_scalarIT2_EEPKiS8_PKS5_SA_S6_PS5_21rocsparse_index_base_b.num_agpr, 0
	.set _ZN9rocsparseL19gebsrmvn_2xn_kernelILj128ELj6ELj4E21rocsparse_complex_numIfEEEvi20rocsparse_direction_NS_24const_host_device_scalarIT2_EEPKiS8_PKS5_SA_S6_PS5_21rocsparse_index_base_b.numbered_sgpr, 16
	.set _ZN9rocsparseL19gebsrmvn_2xn_kernelILj128ELj6ELj4E21rocsparse_complex_numIfEEEvi20rocsparse_direction_NS_24const_host_device_scalarIT2_EEPKiS8_PKS5_SA_S6_PS5_21rocsparse_index_base_b.num_named_barrier, 0
	.set _ZN9rocsparseL19gebsrmvn_2xn_kernelILj128ELj6ELj4E21rocsparse_complex_numIfEEEvi20rocsparse_direction_NS_24const_host_device_scalarIT2_EEPKiS8_PKS5_SA_S6_PS5_21rocsparse_index_base_b.private_seg_size, 0
	.set _ZN9rocsparseL19gebsrmvn_2xn_kernelILj128ELj6ELj4E21rocsparse_complex_numIfEEEvi20rocsparse_direction_NS_24const_host_device_scalarIT2_EEPKiS8_PKS5_SA_S6_PS5_21rocsparse_index_base_b.uses_vcc, 1
	.set _ZN9rocsparseL19gebsrmvn_2xn_kernelILj128ELj6ELj4E21rocsparse_complex_numIfEEEvi20rocsparse_direction_NS_24const_host_device_scalarIT2_EEPKiS8_PKS5_SA_S6_PS5_21rocsparse_index_base_b.uses_flat_scratch, 0
	.set _ZN9rocsparseL19gebsrmvn_2xn_kernelILj128ELj6ELj4E21rocsparse_complex_numIfEEEvi20rocsparse_direction_NS_24const_host_device_scalarIT2_EEPKiS8_PKS5_SA_S6_PS5_21rocsparse_index_base_b.has_dyn_sized_stack, 0
	.set _ZN9rocsparseL19gebsrmvn_2xn_kernelILj128ELj6ELj4E21rocsparse_complex_numIfEEEvi20rocsparse_direction_NS_24const_host_device_scalarIT2_EEPKiS8_PKS5_SA_S6_PS5_21rocsparse_index_base_b.has_recursion, 0
	.set _ZN9rocsparseL19gebsrmvn_2xn_kernelILj128ELj6ELj4E21rocsparse_complex_numIfEEEvi20rocsparse_direction_NS_24const_host_device_scalarIT2_EEPKiS8_PKS5_SA_S6_PS5_21rocsparse_index_base_b.has_indirect_call, 0
	.section	.AMDGPU.csdata,"",@progbits
; Kernel info:
; codeLenInByte = 2056
; TotalNumSgprs: 20
; NumVgprs: 41
; ScratchSize: 0
; MemoryBound: 0
; FloatMode: 240
; IeeeMode: 1
; LDSByteSize: 0 bytes/workgroup (compile time only)
; SGPRBlocks: 2
; VGPRBlocks: 10
; NumSGPRsForWavesPerEU: 20
; NumVGPRsForWavesPerEU: 41
; Occupancy: 5
; WaveLimiterHint : 1
; COMPUTE_PGM_RSRC2:SCRATCH_EN: 0
; COMPUTE_PGM_RSRC2:USER_SGPR: 6
; COMPUTE_PGM_RSRC2:TRAP_HANDLER: 0
; COMPUTE_PGM_RSRC2:TGID_X_EN: 1
; COMPUTE_PGM_RSRC2:TGID_Y_EN: 0
; COMPUTE_PGM_RSRC2:TGID_Z_EN: 0
; COMPUTE_PGM_RSRC2:TIDIG_COMP_CNT: 0
	.section	.text._ZN9rocsparseL19gebsrmvn_2xn_kernelILj128ELj6ELj8E21rocsparse_complex_numIfEEEvi20rocsparse_direction_NS_24const_host_device_scalarIT2_EEPKiS8_PKS5_SA_S6_PS5_21rocsparse_index_base_b,"axG",@progbits,_ZN9rocsparseL19gebsrmvn_2xn_kernelILj128ELj6ELj8E21rocsparse_complex_numIfEEEvi20rocsparse_direction_NS_24const_host_device_scalarIT2_EEPKiS8_PKS5_SA_S6_PS5_21rocsparse_index_base_b,comdat
	.globl	_ZN9rocsparseL19gebsrmvn_2xn_kernelILj128ELj6ELj8E21rocsparse_complex_numIfEEEvi20rocsparse_direction_NS_24const_host_device_scalarIT2_EEPKiS8_PKS5_SA_S6_PS5_21rocsparse_index_base_b ; -- Begin function _ZN9rocsparseL19gebsrmvn_2xn_kernelILj128ELj6ELj8E21rocsparse_complex_numIfEEEvi20rocsparse_direction_NS_24const_host_device_scalarIT2_EEPKiS8_PKS5_SA_S6_PS5_21rocsparse_index_base_b
	.p2align	8
	.type	_ZN9rocsparseL19gebsrmvn_2xn_kernelILj128ELj6ELj8E21rocsparse_complex_numIfEEEvi20rocsparse_direction_NS_24const_host_device_scalarIT2_EEPKiS8_PKS5_SA_S6_PS5_21rocsparse_index_base_b,@function
_ZN9rocsparseL19gebsrmvn_2xn_kernelILj128ELj6ELj8E21rocsparse_complex_numIfEEEvi20rocsparse_direction_NS_24const_host_device_scalarIT2_EEPKiS8_PKS5_SA_S6_PS5_21rocsparse_index_base_b: ; @_ZN9rocsparseL19gebsrmvn_2xn_kernelILj128ELj6ELj8E21rocsparse_complex_numIfEEEvi20rocsparse_direction_NS_24const_host_device_scalarIT2_EEPKiS8_PKS5_SA_S6_PS5_21rocsparse_index_base_b
; %bb.0:
	s_load_dwordx2 s[0:1], s[4:5], 0x8
	s_load_dwordx2 s[8:9], s[4:5], 0x30
	;; [unrolled: 1-line block ×3, first 2 shown]
	s_add_u32 s7, s4, 8
	s_addc_u32 s10, s5, 0
	s_add_u32 s11, s4, 48
	s_addc_u32 s12, s5, 0
	s_waitcnt lgkmcnt(0)
	s_bitcmp1_b32 s3, 0
	s_cselect_b32 s1, s10, s1
	s_cselect_b32 s0, s7, s0
	v_mov_b32_e32 v1, s0
	v_mov_b32_e32 v2, s1
	flat_load_dwordx2 v[1:2], v[1:2]
	s_cselect_b32 s0, s12, s9
	s_cselect_b32 s1, s11, s8
	v_mov_b32_e32 v3, s1
	v_mov_b32_e32 v4, s0
	flat_load_dwordx2 v[3:4], v[3:4]
	s_waitcnt vmcnt(0) lgkmcnt(0)
	v_cmp_eq_f32_e32 vcc, 0, v1
	v_cmp_eq_f32_e64 s[0:1], 0, v2
	s_and_b64 s[10:11], vcc, s[0:1]
	s_mov_b64 s[0:1], -1
	s_and_saveexec_b64 s[8:9], s[10:11]
; %bb.1:
	v_cmp_neq_f32_e32 vcc, 1.0, v3
	v_cmp_neq_f32_e64 s[0:1], 0, v4
	s_or_b64 s[0:1], vcc, s[0:1]
	s_orn2_b64 s[0:1], s[0:1], exec
; %bb.2:
	s_or_b64 exec, exec, s[8:9]
	s_and_saveexec_b64 s[8:9], s[0:1]
	s_cbranch_execz .LBB173_21
; %bb.3:
	s_load_dwordx2 s[0:1], s[4:5], 0x0
	v_lshrrev_b32_e32 v5, 3, v0
	v_lshl_or_b32 v5, s6, 4, v5
	s_waitcnt lgkmcnt(0)
	v_cmp_gt_i32_e32 vcc, s0, v5
	s_and_b64 exec, exec, vcc
	s_cbranch_execz .LBB173_21
; %bb.4:
	s_load_dwordx8 s[8:15], s[4:5], 0x10
	v_ashrrev_i32_e32 v6, 31, v5
	v_lshlrev_b64 v[6:7], 2, v[5:6]
	v_and_b32_e32 v0, 7, v0
	s_cmp_lg_u32 s1, 0
	s_waitcnt lgkmcnt(0)
	v_mov_b32_e32 v8, s9
	v_add_co_u32_e32 v6, vcc, s8, v6
	v_addc_co_u32_e32 v7, vcc, v8, v7, vcc
	global_load_dwordx2 v[6:7], v[6:7], off
	s_waitcnt vmcnt(0)
	v_subrev_u32_e32 v6, s2, v6
	v_subrev_u32_e32 v13, s2, v7
	v_add_u32_e32 v6, v6, v0
	v_cmp_lt_i32_e64 s[0:1], v6, v13
	s_cbranch_scc0 .LBB173_10
; %bb.5:
	v_mov_b32_e32 v14, 0
	v_mov_b32_e32 v17, 0
	;; [unrolled: 1-line block ×4, first 2 shown]
	s_and_saveexec_b64 s[6:7], s[0:1]
	s_cbranch_execz .LBB173_9
; %bb.6:
	v_mad_u64_u32 v[7:8], s[8:9], v6, 12, 10
	v_mov_b32_e32 v10, 0
	s_mov_b64 s[8:9], 0
	v_mov_b32_e32 v18, s11
	v_mov_b32_e32 v19, s13
	;; [unrolled: 1-line block ×8, first 2 shown]
.LBB173_7:                              ; =>This Inner Loop Header: Depth=1
	v_ashrrev_i32_e32 v12, 31, v11
	v_lshlrev_b64 v[21:22], 2, v[11:12]
	v_add_u32_e32 v9, -10, v7
	v_lshlrev_b64 v[23:24], 3, v[9:10]
	v_add_co_u32_e32 v29, vcc, s10, v21
	v_mov_b32_e32 v8, v10
	v_addc_co_u32_e32 v30, vcc, v18, v22, vcc
	v_lshlrev_b64 v[25:26], 3, v[7:8]
	v_add_co_u32_e32 v31, vcc, s12, v23
	v_addc_co_u32_e32 v32, vcc, v19, v24, vcc
	v_add_co_u32_e32 v37, vcc, s12, v25
	v_addc_co_u32_e32 v38, vcc, v19, v26, vcc
	global_load_dword v12, v[29:30], off
	global_load_dwordx4 v[21:24], v[31:32], off
	global_load_dwordx4 v[25:28], v[31:32], off offset:16
	v_add_u32_e32 v9, -6, v7
	v_lshlrev_b64 v[8:9], 3, v[9:10]
	v_mov_b32_e32 v34, v10
	v_add_co_u32_e32 v8, vcc, s12, v8
	v_addc_co_u32_e32 v9, vcc, v19, v9, vcc
	v_add_u32_e32 v11, 8, v11
	s_waitcnt vmcnt(2)
	v_subrev_u32_e32 v12, s2, v12
	v_mul_lo_u32 v33, v12, 6
	v_lshlrev_b64 v[29:30], 3, v[33:34]
	v_add_co_u32_e32 v29, vcc, s14, v29
	v_addc_co_u32_e32 v30, vcc, v20, v30, vcc
	global_load_dwordx4 v[29:32], v[29:30], off
	s_waitcnt vmcnt(0)
	v_fmac_f32_e32 v17, v21, v29
	v_fmac_f32_e32 v14, v22, v29
	;; [unrolled: 1-line block ×4, first 2 shown]
	v_fma_f32 v12, -v22, v30, v17
	v_fmac_f32_e32 v14, v21, v30
	v_fma_f32 v29, -v24, v30, v16
	v_fmac_f32_e32 v15, v23, v30
	global_load_dwordx4 v[21:24], v[8:9], off
	v_add_u32_e32 v9, 2, v33
	v_lshlrev_b64 v[16:17], 3, v[9:10]
	v_add_u32_e32 v9, -4, v7
	v_fmac_f32_e32 v29, v27, v31
	v_fma_f32 v34, -v28, v32, v29
	v_lshlrev_b64 v[29:30], 3, v[9:10]
	v_add_co_u32_e32 v16, vcc, s14, v16
	v_fmac_f32_e32 v12, v25, v31
	v_fmac_f32_e32 v14, v26, v31
	;; [unrolled: 1-line block ×3, first 2 shown]
	v_add_u32_e32 v9, -2, v7
	v_addc_co_u32_e32 v17, vcc, v20, v17, vcc
	v_fma_f32 v12, -v26, v32, v12
	v_fmac_f32_e32 v14, v25, v32
	v_fmac_f32_e32 v15, v27, v32
	v_lshlrev_b64 v[31:32], 3, v[9:10]
	global_load_dwordx4 v[25:28], v[16:17], off
	v_add_co_u32_e32 v16, vcc, s12, v29
	v_addc_co_u32_e32 v17, vcc, v19, v30, vcc
	v_add_co_u32_e32 v39, vcc, s12, v31
	v_addc_co_u32_e32 v40, vcc, v19, v32, vcc
	global_load_dwordx4 v[29:32], v[16:17], off
	v_add_u32_e32 v9, 4, v33
	v_lshlrev_b64 v[8:9], 3, v[9:10]
	v_add_u32_e32 v7, 0x60, v7
	v_add_co_u32_e32 v8, vcc, s14, v8
	v_addc_co_u32_e32 v9, vcc, v20, v9, vcc
	v_cmp_ge_i32_e32 vcc, v11, v13
	s_or_b64 s[8:9], vcc, s[8:9]
	s_waitcnt vmcnt(1)
	v_fmac_f32_e32 v12, v21, v25
	v_fmac_f32_e32 v14, v22, v25
	;; [unrolled: 1-line block ×4, first 2 shown]
	v_fma_f32 v12, -v22, v26, v12
	v_fmac_f32_e32 v14, v21, v26
	v_fma_f32 v16, -v24, v26, v34
	v_fmac_f32_e32 v15, v23, v26
	global_load_dwordx4 v[21:24], v[39:40], off
	global_load_dwordx4 v[33:36], v[8:9], off
	s_waitcnt vmcnt(2)
	v_fmac_f32_e32 v12, v29, v27
	v_fmac_f32_e32 v14, v30, v27
	;; [unrolled: 1-line block ×4, first 2 shown]
	v_fma_f32 v8, -v30, v28, v12
	v_fmac_f32_e32 v14, v29, v28
	v_fma_f32 v9, -v32, v28, v16
	v_fmac_f32_e32 v15, v31, v28
	global_load_dwordx4 v[25:28], v[37:38], off
	s_waitcnt vmcnt(1)
	v_fmac_f32_e32 v8, v21, v33
	v_fmac_f32_e32 v14, v22, v33
	;; [unrolled: 1-line block ×4, first 2 shown]
	v_fma_f32 v8, -v22, v34, v8
	v_fmac_f32_e32 v14, v21, v34
	v_fma_f32 v9, -v24, v34, v9
	v_fmac_f32_e32 v15, v23, v34
	s_waitcnt vmcnt(0)
	v_fmac_f32_e32 v8, v25, v35
	v_fmac_f32_e32 v14, v26, v35
	;; [unrolled: 1-line block ×4, first 2 shown]
	v_fma_f32 v17, -v26, v36, v8
	v_fmac_f32_e32 v14, v25, v36
	v_fma_f32 v16, -v28, v36, v9
	v_fmac_f32_e32 v15, v27, v36
	s_andn2_b64 exec, exec, s[8:9]
	s_cbranch_execnz .LBB173_7
; %bb.8:
	s_or_b64 exec, exec, s[8:9]
.LBB173_9:
	s_or_b64 exec, exec, s[6:7]
	s_cbranch_execz .LBB173_11
	s_branch .LBB173_16
.LBB173_10:
                                        ; implicit-def: $vgpr14
                                        ; implicit-def: $vgpr17
                                        ; implicit-def: $vgpr16
                                        ; implicit-def: $vgpr15
.LBB173_11:
	v_mov_b32_e32 v14, 0
	v_mov_b32_e32 v17, 0
	;; [unrolled: 1-line block ×4, first 2 shown]
	s_and_saveexec_b64 s[6:7], s[0:1]
	s_cbranch_execz .LBB173_15
; %bb.12:
	v_mad_u64_u32 v[8:9], s[0:1], v6, 12, 11
	v_mov_b32_e32 v10, 0
	s_mov_b64 s[0:1], 0
	v_mov_b32_e32 v11, s11
	v_mov_b32_e32 v12, s13
	;; [unrolled: 1-line block ×7, first 2 shown]
.LBB173_13:                             ; =>This Inner Loop Header: Depth=1
	v_ashrrev_i32_e32 v7, 31, v6
	v_lshlrev_b64 v[19:20], 2, v[6:7]
	v_add_u32_e32 v9, -11, v8
	v_lshlrev_b64 v[21:22], 3, v[9:10]
	v_add_co_u32_e32 v27, vcc, s10, v19
	v_addc_co_u32_e32 v28, vcc, v11, v20, vcc
	v_add_co_u32_e32 v29, vcc, s12, v21
	v_addc_co_u32_e32 v30, vcc, v12, v22, vcc
	global_load_dword v7, v[27:28], off
	global_load_dwordx4 v[19:22], v[29:30], off
	global_load_dwordx4 v[23:26], v[29:30], off offset:16
	v_mov_b32_e32 v32, v10
	v_mov_b32_e32 v9, v10
	v_add_u32_e32 v6, 8, v6
	s_waitcnt vmcnt(2)
	v_subrev_u32_e32 v7, s2, v7
	v_mul_lo_u32 v31, v7, 6
	v_lshlrev_b64 v[27:28], 3, v[31:32]
	v_add_co_u32_e32 v27, vcc, s14, v27
	v_addc_co_u32_e32 v28, vcc, v18, v28, vcc
	global_load_dwordx4 v[27:30], v[27:28], off
	s_waitcnt vmcnt(0)
	v_fmac_f32_e32 v17, v19, v27
	v_fmac_f32_e32 v14, v20, v27
	v_fma_f32 v7, -v20, v28, v17
	v_fmac_f32_e32 v14, v19, v28
	v_add_u32_e32 v19, -5, v8
	v_mov_b32_e32 v20, v10
	v_lshlrev_b64 v[19:20], 3, v[19:20]
	v_fmac_f32_e32 v7, v21, v29
	v_fmac_f32_e32 v14, v22, v29
	v_fma_f32 v7, -v22, v30, v7
	v_fmac_f32_e32 v14, v21, v30
	v_add_co_u32_e32 v19, vcc, s12, v19
	v_lshlrev_b64 v[21:22], 3, v[8:9]
	v_addc_co_u32_e32 v20, vcc, v12, v20, vcc
	v_add_co_u32_e32 v32, vcc, s12, v21
	v_add_u32_e32 v9, -4, v8
	v_addc_co_u32_e32 v33, vcc, v12, v22, vcc
	v_lshlrev_b64 v[21:22], 3, v[9:10]
	v_add_u32_e32 v9, 2, v31
	v_add_co_u32_e32 v21, vcc, s12, v21
	v_addc_co_u32_e32 v22, vcc, v12, v22, vcc
	global_load_dwordx2 v[34:35], v[19:20], off
	global_load_dwordx2 v[36:37], v[21:22], off
	s_waitcnt vmcnt(1)
	v_fmac_f32_e32 v16, v34, v27
	v_fmac_f32_e32 v15, v35, v27
	v_fma_f32 v16, -v35, v28, v16
	v_fmac_f32_e32 v15, v34, v28
	s_waitcnt vmcnt(0)
	v_fmac_f32_e32 v16, v36, v29
	v_fmac_f32_e32 v15, v37, v29
	v_fma_f32 v37, -v37, v30, v16
	v_lshlrev_b64 v[16:17], 3, v[9:10]
	v_add_u32_e32 v9, -3, v8
	v_add_co_u32_e32 v16, vcc, s14, v16
	v_addc_co_u32_e32 v17, vcc, v18, v17, vcc
	global_load_dwordx4 v[19:22], v[16:17], off
	v_lshlrev_b64 v[27:28], 3, v[9:10]
	v_add_u32_e32 v9, -2, v8
	v_lshlrev_b64 v[16:17], 3, v[9:10]
	v_add_u32_e32 v9, -7, v8
	v_fmac_f32_e32 v15, v36, v30
	s_waitcnt vmcnt(0)
	v_fmac_f32_e32 v7, v23, v19
	v_fmac_f32_e32 v14, v24, v19
	v_fma_f32 v7, -v24, v20, v7
	v_fmac_f32_e32 v14, v23, v20
	v_add_co_u32_e32 v23, vcc, s12, v27
	v_fmac_f32_e32 v7, v25, v21
	v_fmac_f32_e32 v14, v26, v21
	v_addc_co_u32_e32 v24, vcc, v12, v28, vcc
	v_fma_f32 v7, -v26, v22, v7
	v_fmac_f32_e32 v14, v25, v22
	v_lshlrev_b64 v[25:26], 3, v[9:10]
	v_add_co_u32_e32 v16, vcc, s12, v16
	global_load_dwordx2 v[23:24], v[23:24], off
	v_addc_co_u32_e32 v17, vcc, v12, v17, vcc
	v_add_co_u32_e32 v25, vcc, s12, v25
	v_addc_co_u32_e32 v26, vcc, v12, v26, vcc
	global_load_dwordx2 v[29:30], v[16:17], off
	global_load_dwordx2 v[34:35], v[25:26], off
	v_add_u32_e32 v9, 4, v31
	v_lshlrev_b64 v[27:28], 3, v[9:10]
	v_add_u32_e32 v9, -1, v8
	v_add_co_u32_e32 v27, vcc, s14, v27
	v_lshlrev_b64 v[16:17], 3, v[9:10]
	v_addc_co_u32_e32 v28, vcc, v18, v28, vcc
	v_add_u32_e32 v9, -6, v8
	v_add_co_u32_e32 v16, vcc, s12, v16
	v_addc_co_u32_e32 v17, vcc, v12, v17, vcc
	global_load_dwordx2 v[16:17], v[16:17], off
	v_add_u32_e32 v8, 0x60, v8
	s_waitcnt vmcnt(3)
	v_fmac_f32_e32 v37, v23, v19
	v_fmac_f32_e32 v15, v24, v19
	v_fma_f32 v19, -v24, v20, v37
	v_fmac_f32_e32 v15, v23, v20
	v_lshlrev_b64 v[23:24], 3, v[9:10]
	s_waitcnt vmcnt(2)
	v_fmac_f32_e32 v19, v29, v21
	v_fmac_f32_e32 v15, v30, v21
	v_fma_f32 v30, -v30, v22, v19
	v_fmac_f32_e32 v15, v29, v22
	global_load_dwordx4 v[19:22], v[27:28], off
	v_add_co_u32_e32 v23, vcc, s12, v23
	v_addc_co_u32_e32 v24, vcc, v12, v24, vcc
	global_load_dwordx2 v[25:26], v[23:24], off
	global_load_dwordx2 v[27:28], v[32:33], off
	v_cmp_ge_i32_e32 vcc, v6, v13
	s_or_b64 s[0:1], vcc, s[0:1]
	s_waitcnt vmcnt(2)
	v_fmac_f32_e32 v7, v34, v19
	v_fmac_f32_e32 v14, v35, v19
	;; [unrolled: 1-line block ×4, first 2 shown]
	v_fma_f32 v7, -v35, v20, v7
	v_fmac_f32_e32 v14, v34, v20
	v_fma_f32 v9, -v17, v20, v30
	v_fmac_f32_e32 v15, v16, v20
	s_waitcnt vmcnt(1)
	v_fmac_f32_e32 v7, v25, v21
	v_fmac_f32_e32 v14, v26, v21
	s_waitcnt vmcnt(0)
	v_fmac_f32_e32 v9, v27, v21
	v_fmac_f32_e32 v15, v28, v21
	v_fma_f32 v17, -v26, v22, v7
	v_fmac_f32_e32 v14, v25, v22
	v_fma_f32 v16, -v28, v22, v9
	v_fmac_f32_e32 v15, v27, v22
	s_andn2_b64 exec, exec, s[0:1]
	s_cbranch_execnz .LBB173_13
; %bb.14:
	s_or_b64 exec, exec, s[0:1]
.LBB173_15:
	s_or_b64 exec, exec, s[6:7]
.LBB173_16:
	v_mov_b32_dpp v6, v17 row_shr:1 row_mask:0xf bank_mask:0xf
	v_mov_b32_dpp v8, v14 row_shr:1 row_mask:0xf bank_mask:0xf
	;; [unrolled: 1-line block ×4, first 2 shown]
	v_add_f32_e32 v6, v17, v6
	v_add_f32_e32 v8, v14, v8
	;; [unrolled: 1-line block ×4, first 2 shown]
	v_mov_b32_dpp v7, v6 row_shr:2 row_mask:0xf bank_mask:0xf
	v_mov_b32_dpp v9, v8 row_shr:2 row_mask:0xf bank_mask:0xf
	;; [unrolled: 1-line block ×4, first 2 shown]
	v_add_f32_e32 v6, v6, v7
	v_add_f32_e32 v8, v8, v9
	v_add_f32_e32 v10, v10, v11
	v_add_f32_e32 v12, v12, v13
	v_mov_b32_dpp v7, v6 row_shr:4 row_mask:0xf bank_mask:0xe
	v_mov_b32_dpp v9, v8 row_shr:4 row_mask:0xf bank_mask:0xe
	;; [unrolled: 1-line block ×4, first 2 shown]
	v_cmp_eq_u32_e32 vcc, 7, v0
	s_and_b64 exec, exec, vcc
	s_cbranch_execz .LBB173_21
; %bb.17:
	s_load_dwordx2 s[2:3], s[4:5], 0x38
	v_cmp_eq_f32_e32 vcc, 0, v3
	v_cmp_eq_f32_e64 s[0:1], 0, v4
	v_add_f32_e32 v7, v6, v7
	v_add_f32_e32 v8, v8, v9
	;; [unrolled: 1-line block ×4, first 2 shown]
	s_and_b64 s[0:1], vcc, s[0:1]
	s_and_saveexec_b64 s[4:5], s[0:1]
	s_xor_b64 s[0:1], exec, s[4:5]
	s_cbranch_execz .LBB173_19
; %bb.18:
	v_mul_f32_e64 v3, v8, -v2
	v_mul_f32_e32 v4, v1, v8
	v_fmac_f32_e32 v3, v1, v7
	v_fmac_f32_e32 v4, v2, v7
	v_lshlrev_b32_e32 v7, 1, v5
	v_ashrrev_i32_e32 v8, 31, v7
	v_lshlrev_b64 v[7:8], 3, v[7:8]
	s_waitcnt lgkmcnt(0)
	v_mov_b32_e32 v5, s3
	v_add_co_u32_e32 v7, vcc, s2, v7
	v_addc_co_u32_e32 v8, vcc, v5, v8, vcc
	v_mul_f32_e64 v5, v6, -v2
	v_mul_f32_e32 v6, v1, v6
	v_fmac_f32_e32 v5, v1, v0
	v_fmac_f32_e32 v6, v2, v0
	global_store_dwordx4 v[7:8], v[3:6], off
                                        ; implicit-def: $vgpr5
                                        ; implicit-def: $vgpr1_vgpr2
                                        ; implicit-def: $vgpr8
                                        ; implicit-def: $vgpr7
                                        ; implicit-def: $vgpr3_vgpr4
                                        ; implicit-def: $vgpr6
                                        ; implicit-def: $vgpr0
.LBB173_19:
	s_andn2_saveexec_b64 s[0:1], s[0:1]
	s_cbranch_execz .LBB173_21
; %bb.20:
	v_lshlrev_b32_e32 v9, 1, v5
	v_ashrrev_i32_e32 v10, 31, v9
	v_lshlrev_b64 v[9:10], 3, v[9:10]
	s_waitcnt lgkmcnt(0)
	v_mov_b32_e32 v5, s3
	v_add_co_u32_e32 v17, vcc, s2, v9
	v_addc_co_u32_e32 v18, vcc, v5, v10, vcc
	global_load_dwordx4 v[9:12], v[17:18], off
	v_mul_f32_e64 v5, v8, -v2
	v_mul_f32_e32 v14, v1, v8
	v_mul_f32_e64 v8, v6, -v2
	v_mul_f32_e32 v16, v1, v6
	v_fmac_f32_e32 v5, v1, v7
	v_fmac_f32_e32 v14, v2, v7
	;; [unrolled: 1-line block ×4, first 2 shown]
	s_waitcnt vmcnt(0)
	v_fmac_f32_e32 v5, v3, v9
	v_fmac_f32_e32 v14, v4, v9
	;; [unrolled: 1-line block ×4, first 2 shown]
	v_fma_f32 v13, -v4, v10, v5
	v_fmac_f32_e32 v14, v3, v10
	v_fma_f32 v15, -v4, v12, v8
	v_fmac_f32_e32 v16, v3, v12
	global_store_dwordx4 v[17:18], v[13:16], off
.LBB173_21:
	s_endpgm
	.section	.rodata,"a",@progbits
	.p2align	6, 0x0
	.amdhsa_kernel _ZN9rocsparseL19gebsrmvn_2xn_kernelILj128ELj6ELj8E21rocsparse_complex_numIfEEEvi20rocsparse_direction_NS_24const_host_device_scalarIT2_EEPKiS8_PKS5_SA_S6_PS5_21rocsparse_index_base_b
		.amdhsa_group_segment_fixed_size 0
		.amdhsa_private_segment_fixed_size 0
		.amdhsa_kernarg_size 72
		.amdhsa_user_sgpr_count 6
		.amdhsa_user_sgpr_private_segment_buffer 1
		.amdhsa_user_sgpr_dispatch_ptr 0
		.amdhsa_user_sgpr_queue_ptr 0
		.amdhsa_user_sgpr_kernarg_segment_ptr 1
		.amdhsa_user_sgpr_dispatch_id 0
		.amdhsa_user_sgpr_flat_scratch_init 0
		.amdhsa_user_sgpr_private_segment_size 0
		.amdhsa_uses_dynamic_stack 0
		.amdhsa_system_sgpr_private_segment_wavefront_offset 0
		.amdhsa_system_sgpr_workgroup_id_x 1
		.amdhsa_system_sgpr_workgroup_id_y 0
		.amdhsa_system_sgpr_workgroup_id_z 0
		.amdhsa_system_sgpr_workgroup_info 0
		.amdhsa_system_vgpr_workitem_id 0
		.amdhsa_next_free_vgpr 41
		.amdhsa_next_free_sgpr 16
		.amdhsa_reserve_vcc 1
		.amdhsa_reserve_flat_scratch 0
		.amdhsa_float_round_mode_32 0
		.amdhsa_float_round_mode_16_64 0
		.amdhsa_float_denorm_mode_32 3
		.amdhsa_float_denorm_mode_16_64 3
		.amdhsa_dx10_clamp 1
		.amdhsa_ieee_mode 1
		.amdhsa_fp16_overflow 0
		.amdhsa_exception_fp_ieee_invalid_op 0
		.amdhsa_exception_fp_denorm_src 0
		.amdhsa_exception_fp_ieee_div_zero 0
		.amdhsa_exception_fp_ieee_overflow 0
		.amdhsa_exception_fp_ieee_underflow 0
		.amdhsa_exception_fp_ieee_inexact 0
		.amdhsa_exception_int_div_zero 0
	.end_amdhsa_kernel
	.section	.text._ZN9rocsparseL19gebsrmvn_2xn_kernelILj128ELj6ELj8E21rocsparse_complex_numIfEEEvi20rocsparse_direction_NS_24const_host_device_scalarIT2_EEPKiS8_PKS5_SA_S6_PS5_21rocsparse_index_base_b,"axG",@progbits,_ZN9rocsparseL19gebsrmvn_2xn_kernelILj128ELj6ELj8E21rocsparse_complex_numIfEEEvi20rocsparse_direction_NS_24const_host_device_scalarIT2_EEPKiS8_PKS5_SA_S6_PS5_21rocsparse_index_base_b,comdat
.Lfunc_end173:
	.size	_ZN9rocsparseL19gebsrmvn_2xn_kernelILj128ELj6ELj8E21rocsparse_complex_numIfEEEvi20rocsparse_direction_NS_24const_host_device_scalarIT2_EEPKiS8_PKS5_SA_S6_PS5_21rocsparse_index_base_b, .Lfunc_end173-_ZN9rocsparseL19gebsrmvn_2xn_kernelILj128ELj6ELj8E21rocsparse_complex_numIfEEEvi20rocsparse_direction_NS_24const_host_device_scalarIT2_EEPKiS8_PKS5_SA_S6_PS5_21rocsparse_index_base_b
                                        ; -- End function
	.set _ZN9rocsparseL19gebsrmvn_2xn_kernelILj128ELj6ELj8E21rocsparse_complex_numIfEEEvi20rocsparse_direction_NS_24const_host_device_scalarIT2_EEPKiS8_PKS5_SA_S6_PS5_21rocsparse_index_base_b.num_vgpr, 41
	.set _ZN9rocsparseL19gebsrmvn_2xn_kernelILj128ELj6ELj8E21rocsparse_complex_numIfEEEvi20rocsparse_direction_NS_24const_host_device_scalarIT2_EEPKiS8_PKS5_SA_S6_PS5_21rocsparse_index_base_b.num_agpr, 0
	.set _ZN9rocsparseL19gebsrmvn_2xn_kernelILj128ELj6ELj8E21rocsparse_complex_numIfEEEvi20rocsparse_direction_NS_24const_host_device_scalarIT2_EEPKiS8_PKS5_SA_S6_PS5_21rocsparse_index_base_b.numbered_sgpr, 16
	.set _ZN9rocsparseL19gebsrmvn_2xn_kernelILj128ELj6ELj8E21rocsparse_complex_numIfEEEvi20rocsparse_direction_NS_24const_host_device_scalarIT2_EEPKiS8_PKS5_SA_S6_PS5_21rocsparse_index_base_b.num_named_barrier, 0
	.set _ZN9rocsparseL19gebsrmvn_2xn_kernelILj128ELj6ELj8E21rocsparse_complex_numIfEEEvi20rocsparse_direction_NS_24const_host_device_scalarIT2_EEPKiS8_PKS5_SA_S6_PS5_21rocsparse_index_base_b.private_seg_size, 0
	.set _ZN9rocsparseL19gebsrmvn_2xn_kernelILj128ELj6ELj8E21rocsparse_complex_numIfEEEvi20rocsparse_direction_NS_24const_host_device_scalarIT2_EEPKiS8_PKS5_SA_S6_PS5_21rocsparse_index_base_b.uses_vcc, 1
	.set _ZN9rocsparseL19gebsrmvn_2xn_kernelILj128ELj6ELj8E21rocsparse_complex_numIfEEEvi20rocsparse_direction_NS_24const_host_device_scalarIT2_EEPKiS8_PKS5_SA_S6_PS5_21rocsparse_index_base_b.uses_flat_scratch, 0
	.set _ZN9rocsparseL19gebsrmvn_2xn_kernelILj128ELj6ELj8E21rocsparse_complex_numIfEEEvi20rocsparse_direction_NS_24const_host_device_scalarIT2_EEPKiS8_PKS5_SA_S6_PS5_21rocsparse_index_base_b.has_dyn_sized_stack, 0
	.set _ZN9rocsparseL19gebsrmvn_2xn_kernelILj128ELj6ELj8E21rocsparse_complex_numIfEEEvi20rocsparse_direction_NS_24const_host_device_scalarIT2_EEPKiS8_PKS5_SA_S6_PS5_21rocsparse_index_base_b.has_recursion, 0
	.set _ZN9rocsparseL19gebsrmvn_2xn_kernelILj128ELj6ELj8E21rocsparse_complex_numIfEEEvi20rocsparse_direction_NS_24const_host_device_scalarIT2_EEPKiS8_PKS5_SA_S6_PS5_21rocsparse_index_base_b.has_indirect_call, 0
	.section	.AMDGPU.csdata,"",@progbits
; Kernel info:
; codeLenInByte = 2112
; TotalNumSgprs: 20
; NumVgprs: 41
; ScratchSize: 0
; MemoryBound: 0
; FloatMode: 240
; IeeeMode: 1
; LDSByteSize: 0 bytes/workgroup (compile time only)
; SGPRBlocks: 2
; VGPRBlocks: 10
; NumSGPRsForWavesPerEU: 20
; NumVGPRsForWavesPerEU: 41
; Occupancy: 5
; WaveLimiterHint : 1
; COMPUTE_PGM_RSRC2:SCRATCH_EN: 0
; COMPUTE_PGM_RSRC2:USER_SGPR: 6
; COMPUTE_PGM_RSRC2:TRAP_HANDLER: 0
; COMPUTE_PGM_RSRC2:TGID_X_EN: 1
; COMPUTE_PGM_RSRC2:TGID_Y_EN: 0
; COMPUTE_PGM_RSRC2:TGID_Z_EN: 0
; COMPUTE_PGM_RSRC2:TIDIG_COMP_CNT: 0
	.section	.text._ZN9rocsparseL19gebsrmvn_2xn_kernelILj128ELj6ELj16E21rocsparse_complex_numIfEEEvi20rocsparse_direction_NS_24const_host_device_scalarIT2_EEPKiS8_PKS5_SA_S6_PS5_21rocsparse_index_base_b,"axG",@progbits,_ZN9rocsparseL19gebsrmvn_2xn_kernelILj128ELj6ELj16E21rocsparse_complex_numIfEEEvi20rocsparse_direction_NS_24const_host_device_scalarIT2_EEPKiS8_PKS5_SA_S6_PS5_21rocsparse_index_base_b,comdat
	.globl	_ZN9rocsparseL19gebsrmvn_2xn_kernelILj128ELj6ELj16E21rocsparse_complex_numIfEEEvi20rocsparse_direction_NS_24const_host_device_scalarIT2_EEPKiS8_PKS5_SA_S6_PS5_21rocsparse_index_base_b ; -- Begin function _ZN9rocsparseL19gebsrmvn_2xn_kernelILj128ELj6ELj16E21rocsparse_complex_numIfEEEvi20rocsparse_direction_NS_24const_host_device_scalarIT2_EEPKiS8_PKS5_SA_S6_PS5_21rocsparse_index_base_b
	.p2align	8
	.type	_ZN9rocsparseL19gebsrmvn_2xn_kernelILj128ELj6ELj16E21rocsparse_complex_numIfEEEvi20rocsparse_direction_NS_24const_host_device_scalarIT2_EEPKiS8_PKS5_SA_S6_PS5_21rocsparse_index_base_b,@function
_ZN9rocsparseL19gebsrmvn_2xn_kernelILj128ELj6ELj16E21rocsparse_complex_numIfEEEvi20rocsparse_direction_NS_24const_host_device_scalarIT2_EEPKiS8_PKS5_SA_S6_PS5_21rocsparse_index_base_b: ; @_ZN9rocsparseL19gebsrmvn_2xn_kernelILj128ELj6ELj16E21rocsparse_complex_numIfEEEvi20rocsparse_direction_NS_24const_host_device_scalarIT2_EEPKiS8_PKS5_SA_S6_PS5_21rocsparse_index_base_b
; %bb.0:
	s_load_dwordx2 s[0:1], s[4:5], 0x8
	s_load_dwordx2 s[8:9], s[4:5], 0x30
	s_load_dwordx2 s[2:3], s[4:5], 0x40
	s_add_u32 s7, s4, 8
	s_addc_u32 s10, s5, 0
	s_add_u32 s11, s4, 48
	s_addc_u32 s12, s5, 0
	s_waitcnt lgkmcnt(0)
	s_bitcmp1_b32 s3, 0
	s_cselect_b32 s1, s10, s1
	s_cselect_b32 s0, s7, s0
	v_mov_b32_e32 v1, s0
	v_mov_b32_e32 v2, s1
	flat_load_dwordx2 v[1:2], v[1:2]
	s_cselect_b32 s0, s12, s9
	s_cselect_b32 s1, s11, s8
	v_mov_b32_e32 v3, s1
	v_mov_b32_e32 v4, s0
	flat_load_dwordx2 v[3:4], v[3:4]
	s_waitcnt vmcnt(0) lgkmcnt(0)
	v_cmp_eq_f32_e32 vcc, 0, v1
	v_cmp_eq_f32_e64 s[0:1], 0, v2
	s_and_b64 s[10:11], vcc, s[0:1]
	s_mov_b64 s[0:1], -1
	s_and_saveexec_b64 s[8:9], s[10:11]
; %bb.1:
	v_cmp_neq_f32_e32 vcc, 1.0, v3
	v_cmp_neq_f32_e64 s[0:1], 0, v4
	s_or_b64 s[0:1], vcc, s[0:1]
	s_orn2_b64 s[0:1], s[0:1], exec
; %bb.2:
	s_or_b64 exec, exec, s[8:9]
	s_and_saveexec_b64 s[8:9], s[0:1]
	s_cbranch_execz .LBB174_21
; %bb.3:
	s_load_dwordx2 s[0:1], s[4:5], 0x0
	v_lshrrev_b32_e32 v5, 4, v0
	v_lshl_or_b32 v5, s6, 3, v5
	s_waitcnt lgkmcnt(0)
	v_cmp_gt_i32_e32 vcc, s0, v5
	s_and_b64 exec, exec, vcc
	s_cbranch_execz .LBB174_21
; %bb.4:
	s_load_dwordx8 s[8:15], s[4:5], 0x10
	v_ashrrev_i32_e32 v6, 31, v5
	v_lshlrev_b64 v[6:7], 2, v[5:6]
	v_and_b32_e32 v0, 15, v0
	s_cmp_lg_u32 s1, 0
	s_waitcnt lgkmcnt(0)
	v_mov_b32_e32 v8, s9
	v_add_co_u32_e32 v6, vcc, s8, v6
	v_addc_co_u32_e32 v7, vcc, v8, v7, vcc
	global_load_dwordx2 v[6:7], v[6:7], off
	s_waitcnt vmcnt(0)
	v_subrev_u32_e32 v6, s2, v6
	v_subrev_u32_e32 v13, s2, v7
	v_add_u32_e32 v6, v6, v0
	v_cmp_lt_i32_e64 s[0:1], v6, v13
	s_cbranch_scc0 .LBB174_10
; %bb.5:
	v_mov_b32_e32 v14, 0
	v_mov_b32_e32 v17, 0
	;; [unrolled: 1-line block ×4, first 2 shown]
	s_and_saveexec_b64 s[6:7], s[0:1]
	s_cbranch_execz .LBB174_9
; %bb.6:
	v_mad_u64_u32 v[7:8], s[8:9], v6, 12, 10
	v_mov_b32_e32 v10, 0
	s_mov_b64 s[8:9], 0
	v_mov_b32_e32 v18, s11
	v_mov_b32_e32 v19, s13
	;; [unrolled: 1-line block ×8, first 2 shown]
.LBB174_7:                              ; =>This Inner Loop Header: Depth=1
	v_ashrrev_i32_e32 v12, 31, v11
	v_lshlrev_b64 v[21:22], 2, v[11:12]
	v_add_u32_e32 v9, -10, v7
	v_lshlrev_b64 v[23:24], 3, v[9:10]
	v_add_co_u32_e32 v29, vcc, s10, v21
	v_mov_b32_e32 v8, v10
	v_addc_co_u32_e32 v30, vcc, v18, v22, vcc
	v_lshlrev_b64 v[25:26], 3, v[7:8]
	v_add_co_u32_e32 v31, vcc, s12, v23
	v_addc_co_u32_e32 v32, vcc, v19, v24, vcc
	v_add_co_u32_e32 v37, vcc, s12, v25
	v_addc_co_u32_e32 v38, vcc, v19, v26, vcc
	global_load_dword v12, v[29:30], off
	global_load_dwordx4 v[21:24], v[31:32], off
	global_load_dwordx4 v[25:28], v[31:32], off offset:16
	v_add_u32_e32 v9, -6, v7
	v_lshlrev_b64 v[8:9], 3, v[9:10]
	v_mov_b32_e32 v34, v10
	v_add_co_u32_e32 v8, vcc, s12, v8
	v_addc_co_u32_e32 v9, vcc, v19, v9, vcc
	v_add_u32_e32 v11, 16, v11
	s_waitcnt vmcnt(2)
	v_subrev_u32_e32 v12, s2, v12
	v_mul_lo_u32 v33, v12, 6
	v_lshlrev_b64 v[29:30], 3, v[33:34]
	v_add_co_u32_e32 v29, vcc, s14, v29
	v_addc_co_u32_e32 v30, vcc, v20, v30, vcc
	global_load_dwordx4 v[29:32], v[29:30], off
	s_waitcnt vmcnt(0)
	v_fmac_f32_e32 v17, v21, v29
	v_fmac_f32_e32 v14, v22, v29
	;; [unrolled: 1-line block ×4, first 2 shown]
	v_fma_f32 v12, -v22, v30, v17
	v_fmac_f32_e32 v14, v21, v30
	v_fma_f32 v29, -v24, v30, v16
	v_fmac_f32_e32 v15, v23, v30
	global_load_dwordx4 v[21:24], v[8:9], off
	v_add_u32_e32 v9, 2, v33
	v_lshlrev_b64 v[16:17], 3, v[9:10]
	v_add_u32_e32 v9, -4, v7
	v_fmac_f32_e32 v29, v27, v31
	v_fma_f32 v34, -v28, v32, v29
	v_lshlrev_b64 v[29:30], 3, v[9:10]
	v_add_co_u32_e32 v16, vcc, s14, v16
	v_fmac_f32_e32 v12, v25, v31
	v_fmac_f32_e32 v14, v26, v31
	;; [unrolled: 1-line block ×3, first 2 shown]
	v_add_u32_e32 v9, -2, v7
	v_addc_co_u32_e32 v17, vcc, v20, v17, vcc
	v_fma_f32 v12, -v26, v32, v12
	v_fmac_f32_e32 v14, v25, v32
	v_fmac_f32_e32 v15, v27, v32
	v_lshlrev_b64 v[31:32], 3, v[9:10]
	global_load_dwordx4 v[25:28], v[16:17], off
	v_add_co_u32_e32 v16, vcc, s12, v29
	v_addc_co_u32_e32 v17, vcc, v19, v30, vcc
	v_add_co_u32_e32 v39, vcc, s12, v31
	v_addc_co_u32_e32 v40, vcc, v19, v32, vcc
	global_load_dwordx4 v[29:32], v[16:17], off
	v_add_u32_e32 v9, 4, v33
	v_lshlrev_b64 v[8:9], 3, v[9:10]
	v_add_u32_e32 v7, 0xc0, v7
	v_add_co_u32_e32 v8, vcc, s14, v8
	v_addc_co_u32_e32 v9, vcc, v20, v9, vcc
	v_cmp_ge_i32_e32 vcc, v11, v13
	s_or_b64 s[8:9], vcc, s[8:9]
	s_waitcnt vmcnt(1)
	v_fmac_f32_e32 v12, v21, v25
	v_fmac_f32_e32 v14, v22, v25
	;; [unrolled: 1-line block ×4, first 2 shown]
	v_fma_f32 v12, -v22, v26, v12
	v_fmac_f32_e32 v14, v21, v26
	v_fma_f32 v16, -v24, v26, v34
	v_fmac_f32_e32 v15, v23, v26
	global_load_dwordx4 v[21:24], v[39:40], off
	global_load_dwordx4 v[33:36], v[8:9], off
	s_waitcnt vmcnt(2)
	v_fmac_f32_e32 v12, v29, v27
	v_fmac_f32_e32 v14, v30, v27
	;; [unrolled: 1-line block ×4, first 2 shown]
	v_fma_f32 v8, -v30, v28, v12
	v_fmac_f32_e32 v14, v29, v28
	v_fma_f32 v9, -v32, v28, v16
	v_fmac_f32_e32 v15, v31, v28
	global_load_dwordx4 v[25:28], v[37:38], off
	s_waitcnt vmcnt(1)
	v_fmac_f32_e32 v8, v21, v33
	v_fmac_f32_e32 v14, v22, v33
	;; [unrolled: 1-line block ×4, first 2 shown]
	v_fma_f32 v8, -v22, v34, v8
	v_fmac_f32_e32 v14, v21, v34
	v_fma_f32 v9, -v24, v34, v9
	v_fmac_f32_e32 v15, v23, v34
	s_waitcnt vmcnt(0)
	v_fmac_f32_e32 v8, v25, v35
	v_fmac_f32_e32 v14, v26, v35
	;; [unrolled: 1-line block ×4, first 2 shown]
	v_fma_f32 v17, -v26, v36, v8
	v_fmac_f32_e32 v14, v25, v36
	v_fma_f32 v16, -v28, v36, v9
	v_fmac_f32_e32 v15, v27, v36
	s_andn2_b64 exec, exec, s[8:9]
	s_cbranch_execnz .LBB174_7
; %bb.8:
	s_or_b64 exec, exec, s[8:9]
.LBB174_9:
	s_or_b64 exec, exec, s[6:7]
	s_cbranch_execz .LBB174_11
	s_branch .LBB174_16
.LBB174_10:
                                        ; implicit-def: $vgpr14
                                        ; implicit-def: $vgpr17
                                        ; implicit-def: $vgpr16
                                        ; implicit-def: $vgpr15
.LBB174_11:
	v_mov_b32_e32 v14, 0
	v_mov_b32_e32 v17, 0
	;; [unrolled: 1-line block ×4, first 2 shown]
	s_and_saveexec_b64 s[6:7], s[0:1]
	s_cbranch_execz .LBB174_15
; %bb.12:
	v_mad_u64_u32 v[8:9], s[0:1], v6, 12, 11
	v_mov_b32_e32 v10, 0
	s_mov_b64 s[0:1], 0
	v_mov_b32_e32 v11, s11
	v_mov_b32_e32 v12, s13
	;; [unrolled: 1-line block ×7, first 2 shown]
.LBB174_13:                             ; =>This Inner Loop Header: Depth=1
	v_ashrrev_i32_e32 v7, 31, v6
	v_lshlrev_b64 v[19:20], 2, v[6:7]
	v_add_u32_e32 v9, -11, v8
	v_lshlrev_b64 v[21:22], 3, v[9:10]
	v_add_co_u32_e32 v27, vcc, s10, v19
	v_addc_co_u32_e32 v28, vcc, v11, v20, vcc
	v_add_co_u32_e32 v29, vcc, s12, v21
	v_addc_co_u32_e32 v30, vcc, v12, v22, vcc
	global_load_dword v7, v[27:28], off
	global_load_dwordx4 v[19:22], v[29:30], off
	global_load_dwordx4 v[23:26], v[29:30], off offset:16
	v_mov_b32_e32 v32, v10
	v_mov_b32_e32 v9, v10
	v_add_u32_e32 v6, 16, v6
	s_waitcnt vmcnt(2)
	v_subrev_u32_e32 v7, s2, v7
	v_mul_lo_u32 v31, v7, 6
	v_lshlrev_b64 v[27:28], 3, v[31:32]
	v_add_co_u32_e32 v27, vcc, s14, v27
	v_addc_co_u32_e32 v28, vcc, v18, v28, vcc
	global_load_dwordx4 v[27:30], v[27:28], off
	s_waitcnt vmcnt(0)
	v_fmac_f32_e32 v17, v19, v27
	v_fmac_f32_e32 v14, v20, v27
	v_fma_f32 v7, -v20, v28, v17
	v_fmac_f32_e32 v14, v19, v28
	v_add_u32_e32 v19, -5, v8
	v_mov_b32_e32 v20, v10
	v_lshlrev_b64 v[19:20], 3, v[19:20]
	v_fmac_f32_e32 v7, v21, v29
	v_fmac_f32_e32 v14, v22, v29
	v_fma_f32 v7, -v22, v30, v7
	v_fmac_f32_e32 v14, v21, v30
	v_add_co_u32_e32 v19, vcc, s12, v19
	v_lshlrev_b64 v[21:22], 3, v[8:9]
	v_addc_co_u32_e32 v20, vcc, v12, v20, vcc
	v_add_co_u32_e32 v32, vcc, s12, v21
	v_add_u32_e32 v9, -4, v8
	v_addc_co_u32_e32 v33, vcc, v12, v22, vcc
	v_lshlrev_b64 v[21:22], 3, v[9:10]
	v_add_u32_e32 v9, 2, v31
	v_add_co_u32_e32 v21, vcc, s12, v21
	v_addc_co_u32_e32 v22, vcc, v12, v22, vcc
	global_load_dwordx2 v[34:35], v[19:20], off
	global_load_dwordx2 v[36:37], v[21:22], off
	s_waitcnt vmcnt(1)
	v_fmac_f32_e32 v16, v34, v27
	v_fmac_f32_e32 v15, v35, v27
	v_fma_f32 v16, -v35, v28, v16
	v_fmac_f32_e32 v15, v34, v28
	s_waitcnt vmcnt(0)
	v_fmac_f32_e32 v16, v36, v29
	v_fmac_f32_e32 v15, v37, v29
	v_fma_f32 v37, -v37, v30, v16
	v_lshlrev_b64 v[16:17], 3, v[9:10]
	v_add_u32_e32 v9, -3, v8
	v_add_co_u32_e32 v16, vcc, s14, v16
	v_addc_co_u32_e32 v17, vcc, v18, v17, vcc
	global_load_dwordx4 v[19:22], v[16:17], off
	v_lshlrev_b64 v[27:28], 3, v[9:10]
	v_add_u32_e32 v9, -2, v8
	v_lshlrev_b64 v[16:17], 3, v[9:10]
	v_add_u32_e32 v9, -7, v8
	v_fmac_f32_e32 v15, v36, v30
	s_waitcnt vmcnt(0)
	v_fmac_f32_e32 v7, v23, v19
	v_fmac_f32_e32 v14, v24, v19
	v_fma_f32 v7, -v24, v20, v7
	v_fmac_f32_e32 v14, v23, v20
	v_add_co_u32_e32 v23, vcc, s12, v27
	v_fmac_f32_e32 v7, v25, v21
	v_fmac_f32_e32 v14, v26, v21
	v_addc_co_u32_e32 v24, vcc, v12, v28, vcc
	v_fma_f32 v7, -v26, v22, v7
	v_fmac_f32_e32 v14, v25, v22
	v_lshlrev_b64 v[25:26], 3, v[9:10]
	v_add_co_u32_e32 v16, vcc, s12, v16
	global_load_dwordx2 v[23:24], v[23:24], off
	v_addc_co_u32_e32 v17, vcc, v12, v17, vcc
	v_add_co_u32_e32 v25, vcc, s12, v25
	v_addc_co_u32_e32 v26, vcc, v12, v26, vcc
	global_load_dwordx2 v[29:30], v[16:17], off
	global_load_dwordx2 v[34:35], v[25:26], off
	v_add_u32_e32 v9, 4, v31
	v_lshlrev_b64 v[27:28], 3, v[9:10]
	v_add_u32_e32 v9, -1, v8
	v_add_co_u32_e32 v27, vcc, s14, v27
	v_lshlrev_b64 v[16:17], 3, v[9:10]
	v_addc_co_u32_e32 v28, vcc, v18, v28, vcc
	v_add_u32_e32 v9, -6, v8
	v_add_co_u32_e32 v16, vcc, s12, v16
	v_addc_co_u32_e32 v17, vcc, v12, v17, vcc
	global_load_dwordx2 v[16:17], v[16:17], off
	v_add_u32_e32 v8, 0xc0, v8
	s_waitcnt vmcnt(3)
	v_fmac_f32_e32 v37, v23, v19
	v_fmac_f32_e32 v15, v24, v19
	v_fma_f32 v19, -v24, v20, v37
	v_fmac_f32_e32 v15, v23, v20
	v_lshlrev_b64 v[23:24], 3, v[9:10]
	s_waitcnt vmcnt(2)
	v_fmac_f32_e32 v19, v29, v21
	v_fmac_f32_e32 v15, v30, v21
	v_fma_f32 v30, -v30, v22, v19
	v_fmac_f32_e32 v15, v29, v22
	global_load_dwordx4 v[19:22], v[27:28], off
	v_add_co_u32_e32 v23, vcc, s12, v23
	v_addc_co_u32_e32 v24, vcc, v12, v24, vcc
	global_load_dwordx2 v[25:26], v[23:24], off
	global_load_dwordx2 v[27:28], v[32:33], off
	v_cmp_ge_i32_e32 vcc, v6, v13
	s_or_b64 s[0:1], vcc, s[0:1]
	s_waitcnt vmcnt(2)
	v_fmac_f32_e32 v7, v34, v19
	v_fmac_f32_e32 v14, v35, v19
	;; [unrolled: 1-line block ×4, first 2 shown]
	v_fma_f32 v7, -v35, v20, v7
	v_fmac_f32_e32 v14, v34, v20
	v_fma_f32 v9, -v17, v20, v30
	v_fmac_f32_e32 v15, v16, v20
	s_waitcnt vmcnt(1)
	v_fmac_f32_e32 v7, v25, v21
	v_fmac_f32_e32 v14, v26, v21
	s_waitcnt vmcnt(0)
	v_fmac_f32_e32 v9, v27, v21
	v_fmac_f32_e32 v15, v28, v21
	v_fma_f32 v17, -v26, v22, v7
	v_fmac_f32_e32 v14, v25, v22
	v_fma_f32 v16, -v28, v22, v9
	v_fmac_f32_e32 v15, v27, v22
	s_andn2_b64 exec, exec, s[0:1]
	s_cbranch_execnz .LBB174_13
; %bb.14:
	s_or_b64 exec, exec, s[0:1]
.LBB174_15:
	s_or_b64 exec, exec, s[6:7]
.LBB174_16:
	v_mov_b32_dpp v6, v17 row_shr:1 row_mask:0xf bank_mask:0xf
	v_mov_b32_dpp v8, v14 row_shr:1 row_mask:0xf bank_mask:0xf
	v_mov_b32_dpp v10, v16 row_shr:1 row_mask:0xf bank_mask:0xf
	v_mov_b32_dpp v12, v15 row_shr:1 row_mask:0xf bank_mask:0xf
	v_add_f32_e32 v6, v17, v6
	v_add_f32_e32 v8, v14, v8
	v_add_f32_e32 v10, v16, v10
	v_add_f32_e32 v12, v15, v12
	v_mov_b32_dpp v7, v6 row_shr:2 row_mask:0xf bank_mask:0xf
	v_mov_b32_dpp v9, v8 row_shr:2 row_mask:0xf bank_mask:0xf
	v_mov_b32_dpp v11, v10 row_shr:2 row_mask:0xf bank_mask:0xf
	v_mov_b32_dpp v13, v12 row_shr:2 row_mask:0xf bank_mask:0xf
	v_add_f32_e32 v6, v6, v7
	v_add_f32_e32 v8, v8, v9
	v_add_f32_e32 v10, v10, v11
	v_add_f32_e32 v12, v12, v13
	;; [unrolled: 8-line block ×3, first 2 shown]
	v_mov_b32_dpp v7, v6 row_shr:8 row_mask:0xf bank_mask:0xc
	v_mov_b32_dpp v9, v8 row_shr:8 row_mask:0xf bank_mask:0xc
	;; [unrolled: 1-line block ×4, first 2 shown]
	v_cmp_eq_u32_e32 vcc, 15, v0
	s_and_b64 exec, exec, vcc
	s_cbranch_execz .LBB174_21
; %bb.17:
	s_load_dwordx2 s[2:3], s[4:5], 0x38
	v_cmp_eq_f32_e32 vcc, 0, v3
	v_cmp_eq_f32_e64 s[0:1], 0, v4
	v_add_f32_e32 v7, v6, v7
	v_add_f32_e32 v8, v8, v9
	;; [unrolled: 1-line block ×4, first 2 shown]
	s_and_b64 s[0:1], vcc, s[0:1]
	s_and_saveexec_b64 s[4:5], s[0:1]
	s_xor_b64 s[0:1], exec, s[4:5]
	s_cbranch_execz .LBB174_19
; %bb.18:
	v_mul_f32_e64 v3, v8, -v2
	v_mul_f32_e32 v4, v1, v8
	v_fmac_f32_e32 v3, v1, v7
	v_fmac_f32_e32 v4, v2, v7
	v_lshlrev_b32_e32 v7, 1, v5
	v_ashrrev_i32_e32 v8, 31, v7
	v_lshlrev_b64 v[7:8], 3, v[7:8]
	s_waitcnt lgkmcnt(0)
	v_mov_b32_e32 v5, s3
	v_add_co_u32_e32 v7, vcc, s2, v7
	v_addc_co_u32_e32 v8, vcc, v5, v8, vcc
	v_mul_f32_e64 v5, v6, -v2
	v_mul_f32_e32 v6, v1, v6
	v_fmac_f32_e32 v5, v1, v0
	v_fmac_f32_e32 v6, v2, v0
	global_store_dwordx4 v[7:8], v[3:6], off
                                        ; implicit-def: $vgpr5
                                        ; implicit-def: $vgpr1_vgpr2
                                        ; implicit-def: $vgpr8
                                        ; implicit-def: $vgpr7
                                        ; implicit-def: $vgpr3_vgpr4
                                        ; implicit-def: $vgpr6
                                        ; implicit-def: $vgpr0
.LBB174_19:
	s_andn2_saveexec_b64 s[0:1], s[0:1]
	s_cbranch_execz .LBB174_21
; %bb.20:
	v_lshlrev_b32_e32 v9, 1, v5
	v_ashrrev_i32_e32 v10, 31, v9
	v_lshlrev_b64 v[9:10], 3, v[9:10]
	s_waitcnt lgkmcnt(0)
	v_mov_b32_e32 v5, s3
	v_add_co_u32_e32 v17, vcc, s2, v9
	v_addc_co_u32_e32 v18, vcc, v5, v10, vcc
	global_load_dwordx4 v[9:12], v[17:18], off
	v_mul_f32_e64 v5, v8, -v2
	v_mul_f32_e32 v14, v1, v8
	v_mul_f32_e64 v8, v6, -v2
	v_mul_f32_e32 v16, v1, v6
	v_fmac_f32_e32 v5, v1, v7
	v_fmac_f32_e32 v14, v2, v7
	;; [unrolled: 1-line block ×4, first 2 shown]
	s_waitcnt vmcnt(0)
	v_fmac_f32_e32 v5, v3, v9
	v_fmac_f32_e32 v14, v4, v9
	;; [unrolled: 1-line block ×4, first 2 shown]
	v_fma_f32 v13, -v4, v10, v5
	v_fmac_f32_e32 v14, v3, v10
	v_fma_f32 v15, -v4, v12, v8
	v_fmac_f32_e32 v16, v3, v12
	global_store_dwordx4 v[17:18], v[13:16], off
.LBB174_21:
	s_endpgm
	.section	.rodata,"a",@progbits
	.p2align	6, 0x0
	.amdhsa_kernel _ZN9rocsparseL19gebsrmvn_2xn_kernelILj128ELj6ELj16E21rocsparse_complex_numIfEEEvi20rocsparse_direction_NS_24const_host_device_scalarIT2_EEPKiS8_PKS5_SA_S6_PS5_21rocsparse_index_base_b
		.amdhsa_group_segment_fixed_size 0
		.amdhsa_private_segment_fixed_size 0
		.amdhsa_kernarg_size 72
		.amdhsa_user_sgpr_count 6
		.amdhsa_user_sgpr_private_segment_buffer 1
		.amdhsa_user_sgpr_dispatch_ptr 0
		.amdhsa_user_sgpr_queue_ptr 0
		.amdhsa_user_sgpr_kernarg_segment_ptr 1
		.amdhsa_user_sgpr_dispatch_id 0
		.amdhsa_user_sgpr_flat_scratch_init 0
		.amdhsa_user_sgpr_private_segment_size 0
		.amdhsa_uses_dynamic_stack 0
		.amdhsa_system_sgpr_private_segment_wavefront_offset 0
		.amdhsa_system_sgpr_workgroup_id_x 1
		.amdhsa_system_sgpr_workgroup_id_y 0
		.amdhsa_system_sgpr_workgroup_id_z 0
		.amdhsa_system_sgpr_workgroup_info 0
		.amdhsa_system_vgpr_workitem_id 0
		.amdhsa_next_free_vgpr 41
		.amdhsa_next_free_sgpr 16
		.amdhsa_reserve_vcc 1
		.amdhsa_reserve_flat_scratch 0
		.amdhsa_float_round_mode_32 0
		.amdhsa_float_round_mode_16_64 0
		.amdhsa_float_denorm_mode_32 3
		.amdhsa_float_denorm_mode_16_64 3
		.amdhsa_dx10_clamp 1
		.amdhsa_ieee_mode 1
		.amdhsa_fp16_overflow 0
		.amdhsa_exception_fp_ieee_invalid_op 0
		.amdhsa_exception_fp_denorm_src 0
		.amdhsa_exception_fp_ieee_div_zero 0
		.amdhsa_exception_fp_ieee_overflow 0
		.amdhsa_exception_fp_ieee_underflow 0
		.amdhsa_exception_fp_ieee_inexact 0
		.amdhsa_exception_int_div_zero 0
	.end_amdhsa_kernel
	.section	.text._ZN9rocsparseL19gebsrmvn_2xn_kernelILj128ELj6ELj16E21rocsparse_complex_numIfEEEvi20rocsparse_direction_NS_24const_host_device_scalarIT2_EEPKiS8_PKS5_SA_S6_PS5_21rocsparse_index_base_b,"axG",@progbits,_ZN9rocsparseL19gebsrmvn_2xn_kernelILj128ELj6ELj16E21rocsparse_complex_numIfEEEvi20rocsparse_direction_NS_24const_host_device_scalarIT2_EEPKiS8_PKS5_SA_S6_PS5_21rocsparse_index_base_b,comdat
.Lfunc_end174:
	.size	_ZN9rocsparseL19gebsrmvn_2xn_kernelILj128ELj6ELj16E21rocsparse_complex_numIfEEEvi20rocsparse_direction_NS_24const_host_device_scalarIT2_EEPKiS8_PKS5_SA_S6_PS5_21rocsparse_index_base_b, .Lfunc_end174-_ZN9rocsparseL19gebsrmvn_2xn_kernelILj128ELj6ELj16E21rocsparse_complex_numIfEEEvi20rocsparse_direction_NS_24const_host_device_scalarIT2_EEPKiS8_PKS5_SA_S6_PS5_21rocsparse_index_base_b
                                        ; -- End function
	.set _ZN9rocsparseL19gebsrmvn_2xn_kernelILj128ELj6ELj16E21rocsparse_complex_numIfEEEvi20rocsparse_direction_NS_24const_host_device_scalarIT2_EEPKiS8_PKS5_SA_S6_PS5_21rocsparse_index_base_b.num_vgpr, 41
	.set _ZN9rocsparseL19gebsrmvn_2xn_kernelILj128ELj6ELj16E21rocsparse_complex_numIfEEEvi20rocsparse_direction_NS_24const_host_device_scalarIT2_EEPKiS8_PKS5_SA_S6_PS5_21rocsparse_index_base_b.num_agpr, 0
	.set _ZN9rocsparseL19gebsrmvn_2xn_kernelILj128ELj6ELj16E21rocsparse_complex_numIfEEEvi20rocsparse_direction_NS_24const_host_device_scalarIT2_EEPKiS8_PKS5_SA_S6_PS5_21rocsparse_index_base_b.numbered_sgpr, 16
	.set _ZN9rocsparseL19gebsrmvn_2xn_kernelILj128ELj6ELj16E21rocsparse_complex_numIfEEEvi20rocsparse_direction_NS_24const_host_device_scalarIT2_EEPKiS8_PKS5_SA_S6_PS5_21rocsparse_index_base_b.num_named_barrier, 0
	.set _ZN9rocsparseL19gebsrmvn_2xn_kernelILj128ELj6ELj16E21rocsparse_complex_numIfEEEvi20rocsparse_direction_NS_24const_host_device_scalarIT2_EEPKiS8_PKS5_SA_S6_PS5_21rocsparse_index_base_b.private_seg_size, 0
	.set _ZN9rocsparseL19gebsrmvn_2xn_kernelILj128ELj6ELj16E21rocsparse_complex_numIfEEEvi20rocsparse_direction_NS_24const_host_device_scalarIT2_EEPKiS8_PKS5_SA_S6_PS5_21rocsparse_index_base_b.uses_vcc, 1
	.set _ZN9rocsparseL19gebsrmvn_2xn_kernelILj128ELj6ELj16E21rocsparse_complex_numIfEEEvi20rocsparse_direction_NS_24const_host_device_scalarIT2_EEPKiS8_PKS5_SA_S6_PS5_21rocsparse_index_base_b.uses_flat_scratch, 0
	.set _ZN9rocsparseL19gebsrmvn_2xn_kernelILj128ELj6ELj16E21rocsparse_complex_numIfEEEvi20rocsparse_direction_NS_24const_host_device_scalarIT2_EEPKiS8_PKS5_SA_S6_PS5_21rocsparse_index_base_b.has_dyn_sized_stack, 0
	.set _ZN9rocsparseL19gebsrmvn_2xn_kernelILj128ELj6ELj16E21rocsparse_complex_numIfEEEvi20rocsparse_direction_NS_24const_host_device_scalarIT2_EEPKiS8_PKS5_SA_S6_PS5_21rocsparse_index_base_b.has_recursion, 0
	.set _ZN9rocsparseL19gebsrmvn_2xn_kernelILj128ELj6ELj16E21rocsparse_complex_numIfEEEvi20rocsparse_direction_NS_24const_host_device_scalarIT2_EEPKiS8_PKS5_SA_S6_PS5_21rocsparse_index_base_b.has_indirect_call, 0
	.section	.AMDGPU.csdata,"",@progbits
; Kernel info:
; codeLenInByte = 2160
; TotalNumSgprs: 20
; NumVgprs: 41
; ScratchSize: 0
; MemoryBound: 0
; FloatMode: 240
; IeeeMode: 1
; LDSByteSize: 0 bytes/workgroup (compile time only)
; SGPRBlocks: 2
; VGPRBlocks: 10
; NumSGPRsForWavesPerEU: 20
; NumVGPRsForWavesPerEU: 41
; Occupancy: 5
; WaveLimiterHint : 1
; COMPUTE_PGM_RSRC2:SCRATCH_EN: 0
; COMPUTE_PGM_RSRC2:USER_SGPR: 6
; COMPUTE_PGM_RSRC2:TRAP_HANDLER: 0
; COMPUTE_PGM_RSRC2:TGID_X_EN: 1
; COMPUTE_PGM_RSRC2:TGID_Y_EN: 0
; COMPUTE_PGM_RSRC2:TGID_Z_EN: 0
; COMPUTE_PGM_RSRC2:TIDIG_COMP_CNT: 0
	.section	.text._ZN9rocsparseL19gebsrmvn_2xn_kernelILj128ELj6ELj32E21rocsparse_complex_numIfEEEvi20rocsparse_direction_NS_24const_host_device_scalarIT2_EEPKiS8_PKS5_SA_S6_PS5_21rocsparse_index_base_b,"axG",@progbits,_ZN9rocsparseL19gebsrmvn_2xn_kernelILj128ELj6ELj32E21rocsparse_complex_numIfEEEvi20rocsparse_direction_NS_24const_host_device_scalarIT2_EEPKiS8_PKS5_SA_S6_PS5_21rocsparse_index_base_b,comdat
	.globl	_ZN9rocsparseL19gebsrmvn_2xn_kernelILj128ELj6ELj32E21rocsparse_complex_numIfEEEvi20rocsparse_direction_NS_24const_host_device_scalarIT2_EEPKiS8_PKS5_SA_S6_PS5_21rocsparse_index_base_b ; -- Begin function _ZN9rocsparseL19gebsrmvn_2xn_kernelILj128ELj6ELj32E21rocsparse_complex_numIfEEEvi20rocsparse_direction_NS_24const_host_device_scalarIT2_EEPKiS8_PKS5_SA_S6_PS5_21rocsparse_index_base_b
	.p2align	8
	.type	_ZN9rocsparseL19gebsrmvn_2xn_kernelILj128ELj6ELj32E21rocsparse_complex_numIfEEEvi20rocsparse_direction_NS_24const_host_device_scalarIT2_EEPKiS8_PKS5_SA_S6_PS5_21rocsparse_index_base_b,@function
_ZN9rocsparseL19gebsrmvn_2xn_kernelILj128ELj6ELj32E21rocsparse_complex_numIfEEEvi20rocsparse_direction_NS_24const_host_device_scalarIT2_EEPKiS8_PKS5_SA_S6_PS5_21rocsparse_index_base_b: ; @_ZN9rocsparseL19gebsrmvn_2xn_kernelILj128ELj6ELj32E21rocsparse_complex_numIfEEEvi20rocsparse_direction_NS_24const_host_device_scalarIT2_EEPKiS8_PKS5_SA_S6_PS5_21rocsparse_index_base_b
; %bb.0:
	s_load_dwordx2 s[0:1], s[4:5], 0x8
	s_load_dwordx2 s[8:9], s[4:5], 0x30
	;; [unrolled: 1-line block ×3, first 2 shown]
	s_add_u32 s7, s4, 8
	s_addc_u32 s10, s5, 0
	s_add_u32 s11, s4, 48
	s_addc_u32 s12, s5, 0
	s_waitcnt lgkmcnt(0)
	s_bitcmp1_b32 s3, 0
	s_cselect_b32 s1, s10, s1
	s_cselect_b32 s0, s7, s0
	v_mov_b32_e32 v1, s0
	v_mov_b32_e32 v2, s1
	flat_load_dwordx2 v[1:2], v[1:2]
	s_cselect_b32 s0, s12, s9
	s_cselect_b32 s1, s11, s8
	v_mov_b32_e32 v3, s1
	v_mov_b32_e32 v4, s0
	flat_load_dwordx2 v[3:4], v[3:4]
	s_waitcnt vmcnt(0) lgkmcnt(0)
	v_cmp_eq_f32_e32 vcc, 0, v1
	v_cmp_eq_f32_e64 s[0:1], 0, v2
	s_and_b64 s[10:11], vcc, s[0:1]
	s_mov_b64 s[0:1], -1
	s_and_saveexec_b64 s[8:9], s[10:11]
; %bb.1:
	v_cmp_neq_f32_e32 vcc, 1.0, v3
	v_cmp_neq_f32_e64 s[0:1], 0, v4
	s_or_b64 s[0:1], vcc, s[0:1]
	s_orn2_b64 s[0:1], s[0:1], exec
; %bb.2:
	s_or_b64 exec, exec, s[8:9]
	s_and_saveexec_b64 s[8:9], s[0:1]
	s_cbranch_execz .LBB175_21
; %bb.3:
	s_load_dwordx2 s[0:1], s[4:5], 0x0
	v_lshrrev_b32_e32 v5, 5, v0
	v_lshl_or_b32 v5, s6, 2, v5
	s_waitcnt lgkmcnt(0)
	v_cmp_gt_i32_e32 vcc, s0, v5
	s_and_b64 exec, exec, vcc
	s_cbranch_execz .LBB175_21
; %bb.4:
	s_load_dwordx8 s[8:15], s[4:5], 0x10
	v_ashrrev_i32_e32 v6, 31, v5
	v_lshlrev_b64 v[6:7], 2, v[5:6]
	v_and_b32_e32 v0, 31, v0
	s_cmp_lg_u32 s1, 0
	s_waitcnt lgkmcnt(0)
	v_mov_b32_e32 v8, s9
	v_add_co_u32_e32 v6, vcc, s8, v6
	v_addc_co_u32_e32 v7, vcc, v8, v7, vcc
	global_load_dwordx2 v[6:7], v[6:7], off
	s_waitcnt vmcnt(0)
	v_subrev_u32_e32 v6, s2, v6
	v_subrev_u32_e32 v15, s2, v7
	v_add_u32_e32 v6, v6, v0
	v_cmp_lt_i32_e64 s[0:1], v6, v15
	s_cbranch_scc0 .LBB175_10
; %bb.5:
	v_mov_b32_e32 v14, 0
	v_mov_b32_e32 v17, 0
	;; [unrolled: 1-line block ×4, first 2 shown]
	s_and_saveexec_b64 s[6:7], s[0:1]
	s_cbranch_execz .LBB175_9
; %bb.6:
	v_mad_u64_u32 v[7:8], s[8:9], v6, 12, 10
	v_mov_b32_e32 v10, 0
	s_mov_b64 s[8:9], 0
	v_mov_b32_e32 v18, s11
	v_mov_b32_e32 v19, s13
	;; [unrolled: 1-line block ×8, first 2 shown]
.LBB175_7:                              ; =>This Inner Loop Header: Depth=1
	v_ashrrev_i32_e32 v12, 31, v11
	v_lshlrev_b64 v[21:22], 2, v[11:12]
	v_add_u32_e32 v9, -10, v7
	v_lshlrev_b64 v[23:24], 3, v[9:10]
	v_add_co_u32_e32 v29, vcc, s10, v21
	v_mov_b32_e32 v8, v10
	v_addc_co_u32_e32 v30, vcc, v18, v22, vcc
	v_lshlrev_b64 v[25:26], 3, v[7:8]
	v_add_co_u32_e32 v31, vcc, s12, v23
	v_addc_co_u32_e32 v32, vcc, v19, v24, vcc
	v_add_co_u32_e32 v37, vcc, s12, v25
	v_addc_co_u32_e32 v38, vcc, v19, v26, vcc
	global_load_dword v12, v[29:30], off
	global_load_dwordx4 v[21:24], v[31:32], off
	global_load_dwordx4 v[25:28], v[31:32], off offset:16
	v_add_u32_e32 v9, -6, v7
	v_lshlrev_b64 v[8:9], 3, v[9:10]
	v_mov_b32_e32 v34, v10
	v_add_co_u32_e32 v8, vcc, s12, v8
	v_addc_co_u32_e32 v9, vcc, v19, v9, vcc
	v_add_u32_e32 v11, 32, v11
	s_waitcnt vmcnt(2)
	v_subrev_u32_e32 v12, s2, v12
	v_mul_lo_u32 v33, v12, 6
	v_lshlrev_b64 v[29:30], 3, v[33:34]
	v_add_co_u32_e32 v29, vcc, s14, v29
	v_addc_co_u32_e32 v30, vcc, v20, v30, vcc
	global_load_dwordx4 v[29:32], v[29:30], off
	s_waitcnt vmcnt(0)
	v_fmac_f32_e32 v17, v21, v29
	v_fmac_f32_e32 v14, v22, v29
	;; [unrolled: 1-line block ×4, first 2 shown]
	v_fma_f32 v12, -v22, v30, v17
	v_fmac_f32_e32 v14, v21, v30
	v_fma_f32 v29, -v24, v30, v16
	v_fmac_f32_e32 v13, v23, v30
	global_load_dwordx4 v[21:24], v[8:9], off
	v_add_u32_e32 v9, 2, v33
	v_lshlrev_b64 v[16:17], 3, v[9:10]
	v_add_u32_e32 v9, -4, v7
	v_fmac_f32_e32 v29, v27, v31
	v_fma_f32 v34, -v28, v32, v29
	v_lshlrev_b64 v[29:30], 3, v[9:10]
	v_add_co_u32_e32 v16, vcc, s14, v16
	v_fmac_f32_e32 v12, v25, v31
	v_fmac_f32_e32 v14, v26, v31
	v_fmac_f32_e32 v13, v28, v31
	v_add_u32_e32 v9, -2, v7
	v_addc_co_u32_e32 v17, vcc, v20, v17, vcc
	v_fma_f32 v12, -v26, v32, v12
	v_fmac_f32_e32 v14, v25, v32
	v_fmac_f32_e32 v13, v27, v32
	v_lshlrev_b64 v[31:32], 3, v[9:10]
	global_load_dwordx4 v[25:28], v[16:17], off
	v_add_co_u32_e32 v16, vcc, s12, v29
	v_addc_co_u32_e32 v17, vcc, v19, v30, vcc
	v_add_co_u32_e32 v39, vcc, s12, v31
	v_addc_co_u32_e32 v40, vcc, v19, v32, vcc
	global_load_dwordx4 v[29:32], v[16:17], off
	v_add_u32_e32 v9, 4, v33
	v_lshlrev_b64 v[8:9], 3, v[9:10]
	v_add_u32_e32 v7, 0x180, v7
	v_add_co_u32_e32 v8, vcc, s14, v8
	v_addc_co_u32_e32 v9, vcc, v20, v9, vcc
	v_cmp_ge_i32_e32 vcc, v11, v15
	s_or_b64 s[8:9], vcc, s[8:9]
	s_waitcnt vmcnt(1)
	v_fmac_f32_e32 v12, v21, v25
	v_fmac_f32_e32 v14, v22, v25
	;; [unrolled: 1-line block ×4, first 2 shown]
	v_fma_f32 v12, -v22, v26, v12
	v_fmac_f32_e32 v14, v21, v26
	v_fma_f32 v16, -v24, v26, v34
	v_fmac_f32_e32 v13, v23, v26
	global_load_dwordx4 v[21:24], v[39:40], off
	global_load_dwordx4 v[33:36], v[8:9], off
	s_waitcnt vmcnt(2)
	v_fmac_f32_e32 v12, v29, v27
	v_fmac_f32_e32 v14, v30, v27
	v_fmac_f32_e32 v16, v31, v27
	v_fmac_f32_e32 v13, v32, v27
	v_fma_f32 v8, -v30, v28, v12
	v_fmac_f32_e32 v14, v29, v28
	v_fma_f32 v9, -v32, v28, v16
	v_fmac_f32_e32 v13, v31, v28
	global_load_dwordx4 v[25:28], v[37:38], off
	s_waitcnt vmcnt(1)
	v_fmac_f32_e32 v8, v21, v33
	v_fmac_f32_e32 v14, v22, v33
	;; [unrolled: 1-line block ×4, first 2 shown]
	v_fma_f32 v8, -v22, v34, v8
	v_fmac_f32_e32 v14, v21, v34
	v_fma_f32 v9, -v24, v34, v9
	v_fmac_f32_e32 v13, v23, v34
	s_waitcnt vmcnt(0)
	v_fmac_f32_e32 v8, v25, v35
	v_fmac_f32_e32 v14, v26, v35
	;; [unrolled: 1-line block ×4, first 2 shown]
	v_fma_f32 v17, -v26, v36, v8
	v_fmac_f32_e32 v14, v25, v36
	v_fma_f32 v16, -v28, v36, v9
	v_fmac_f32_e32 v13, v27, v36
	s_andn2_b64 exec, exec, s[8:9]
	s_cbranch_execnz .LBB175_7
; %bb.8:
	s_or_b64 exec, exec, s[8:9]
.LBB175_9:
	s_or_b64 exec, exec, s[6:7]
	s_cbranch_execz .LBB175_11
	s_branch .LBB175_16
.LBB175_10:
                                        ; implicit-def: $vgpr14
                                        ; implicit-def: $vgpr17
                                        ; implicit-def: $vgpr16
                                        ; implicit-def: $vgpr13
.LBB175_11:
	v_mov_b32_e32 v14, 0
	v_mov_b32_e32 v17, 0
	;; [unrolled: 1-line block ×4, first 2 shown]
	s_and_saveexec_b64 s[6:7], s[0:1]
	s_cbranch_execz .LBB175_15
; %bb.12:
	v_mad_u64_u32 v[8:9], s[0:1], v6, 12, 11
	v_mov_b32_e32 v10, 0
	s_mov_b64 s[0:1], 0
	v_mov_b32_e32 v11, s11
	v_mov_b32_e32 v12, s13
	;; [unrolled: 1-line block ×7, first 2 shown]
.LBB175_13:                             ; =>This Inner Loop Header: Depth=1
	v_ashrrev_i32_e32 v7, 31, v6
	v_lshlrev_b64 v[19:20], 2, v[6:7]
	v_add_u32_e32 v9, -11, v8
	v_lshlrev_b64 v[21:22], 3, v[9:10]
	v_add_co_u32_e32 v27, vcc, s10, v19
	v_addc_co_u32_e32 v28, vcc, v11, v20, vcc
	v_add_co_u32_e32 v29, vcc, s12, v21
	v_addc_co_u32_e32 v30, vcc, v12, v22, vcc
	global_load_dword v7, v[27:28], off
	global_load_dwordx4 v[19:22], v[29:30], off
	global_load_dwordx4 v[23:26], v[29:30], off offset:16
	v_mov_b32_e32 v32, v10
	v_mov_b32_e32 v9, v10
	v_add_u32_e32 v6, 32, v6
	s_waitcnt vmcnt(2)
	v_subrev_u32_e32 v7, s2, v7
	v_mul_lo_u32 v31, v7, 6
	v_lshlrev_b64 v[27:28], 3, v[31:32]
	v_add_co_u32_e32 v27, vcc, s14, v27
	v_addc_co_u32_e32 v28, vcc, v18, v28, vcc
	global_load_dwordx4 v[27:30], v[27:28], off
	s_waitcnt vmcnt(0)
	v_fmac_f32_e32 v17, v19, v27
	v_fmac_f32_e32 v14, v20, v27
	v_fma_f32 v7, -v20, v28, v17
	v_fmac_f32_e32 v14, v19, v28
	v_add_u32_e32 v19, -5, v8
	v_mov_b32_e32 v20, v10
	v_lshlrev_b64 v[19:20], 3, v[19:20]
	v_fmac_f32_e32 v7, v21, v29
	v_fmac_f32_e32 v14, v22, v29
	v_fma_f32 v7, -v22, v30, v7
	v_fmac_f32_e32 v14, v21, v30
	v_add_co_u32_e32 v19, vcc, s12, v19
	v_lshlrev_b64 v[21:22], 3, v[8:9]
	v_addc_co_u32_e32 v20, vcc, v12, v20, vcc
	v_add_co_u32_e32 v32, vcc, s12, v21
	v_add_u32_e32 v9, -4, v8
	v_addc_co_u32_e32 v33, vcc, v12, v22, vcc
	v_lshlrev_b64 v[21:22], 3, v[9:10]
	v_add_u32_e32 v9, 2, v31
	v_add_co_u32_e32 v21, vcc, s12, v21
	v_addc_co_u32_e32 v22, vcc, v12, v22, vcc
	global_load_dwordx2 v[34:35], v[19:20], off
	global_load_dwordx2 v[36:37], v[21:22], off
	s_waitcnt vmcnt(1)
	v_fmac_f32_e32 v16, v34, v27
	v_fmac_f32_e32 v13, v35, v27
	v_fma_f32 v16, -v35, v28, v16
	v_fmac_f32_e32 v13, v34, v28
	s_waitcnt vmcnt(0)
	v_fmac_f32_e32 v16, v36, v29
	v_fmac_f32_e32 v13, v37, v29
	v_fma_f32 v37, -v37, v30, v16
	v_lshlrev_b64 v[16:17], 3, v[9:10]
	v_add_u32_e32 v9, -3, v8
	v_add_co_u32_e32 v16, vcc, s14, v16
	v_addc_co_u32_e32 v17, vcc, v18, v17, vcc
	global_load_dwordx4 v[19:22], v[16:17], off
	v_lshlrev_b64 v[27:28], 3, v[9:10]
	v_add_u32_e32 v9, -2, v8
	v_lshlrev_b64 v[16:17], 3, v[9:10]
	v_add_u32_e32 v9, -7, v8
	v_fmac_f32_e32 v13, v36, v30
	s_waitcnt vmcnt(0)
	v_fmac_f32_e32 v7, v23, v19
	v_fmac_f32_e32 v14, v24, v19
	v_fma_f32 v7, -v24, v20, v7
	v_fmac_f32_e32 v14, v23, v20
	v_add_co_u32_e32 v23, vcc, s12, v27
	v_fmac_f32_e32 v7, v25, v21
	v_fmac_f32_e32 v14, v26, v21
	v_addc_co_u32_e32 v24, vcc, v12, v28, vcc
	v_fma_f32 v7, -v26, v22, v7
	v_fmac_f32_e32 v14, v25, v22
	v_lshlrev_b64 v[25:26], 3, v[9:10]
	v_add_co_u32_e32 v16, vcc, s12, v16
	global_load_dwordx2 v[23:24], v[23:24], off
	v_addc_co_u32_e32 v17, vcc, v12, v17, vcc
	v_add_co_u32_e32 v25, vcc, s12, v25
	v_addc_co_u32_e32 v26, vcc, v12, v26, vcc
	global_load_dwordx2 v[29:30], v[16:17], off
	global_load_dwordx2 v[34:35], v[25:26], off
	v_add_u32_e32 v9, 4, v31
	v_lshlrev_b64 v[27:28], 3, v[9:10]
	v_add_u32_e32 v9, -1, v8
	v_add_co_u32_e32 v27, vcc, s14, v27
	v_lshlrev_b64 v[16:17], 3, v[9:10]
	v_addc_co_u32_e32 v28, vcc, v18, v28, vcc
	v_add_u32_e32 v9, -6, v8
	v_add_co_u32_e32 v16, vcc, s12, v16
	v_addc_co_u32_e32 v17, vcc, v12, v17, vcc
	global_load_dwordx2 v[16:17], v[16:17], off
	v_add_u32_e32 v8, 0x180, v8
	s_waitcnt vmcnt(3)
	v_fmac_f32_e32 v37, v23, v19
	v_fmac_f32_e32 v13, v24, v19
	v_fma_f32 v19, -v24, v20, v37
	v_fmac_f32_e32 v13, v23, v20
	v_lshlrev_b64 v[23:24], 3, v[9:10]
	s_waitcnt vmcnt(2)
	v_fmac_f32_e32 v19, v29, v21
	v_fmac_f32_e32 v13, v30, v21
	v_fma_f32 v30, -v30, v22, v19
	v_fmac_f32_e32 v13, v29, v22
	global_load_dwordx4 v[19:22], v[27:28], off
	v_add_co_u32_e32 v23, vcc, s12, v23
	v_addc_co_u32_e32 v24, vcc, v12, v24, vcc
	global_load_dwordx2 v[25:26], v[23:24], off
	global_load_dwordx2 v[27:28], v[32:33], off
	v_cmp_ge_i32_e32 vcc, v6, v15
	s_or_b64 s[0:1], vcc, s[0:1]
	s_waitcnt vmcnt(2)
	v_fmac_f32_e32 v7, v34, v19
	v_fmac_f32_e32 v14, v35, v19
	;; [unrolled: 1-line block ×4, first 2 shown]
	v_fma_f32 v7, -v35, v20, v7
	v_fmac_f32_e32 v14, v34, v20
	v_fma_f32 v9, -v17, v20, v30
	v_fmac_f32_e32 v13, v16, v20
	s_waitcnt vmcnt(1)
	v_fmac_f32_e32 v7, v25, v21
	v_fmac_f32_e32 v14, v26, v21
	s_waitcnt vmcnt(0)
	v_fmac_f32_e32 v9, v27, v21
	v_fmac_f32_e32 v13, v28, v21
	v_fma_f32 v17, -v26, v22, v7
	v_fmac_f32_e32 v14, v25, v22
	v_fma_f32 v16, -v28, v22, v9
	v_fmac_f32_e32 v13, v27, v22
	s_andn2_b64 exec, exec, s[0:1]
	s_cbranch_execnz .LBB175_13
; %bb.14:
	s_or_b64 exec, exec, s[0:1]
.LBB175_15:
	s_or_b64 exec, exec, s[6:7]
.LBB175_16:
	v_mov_b32_dpp v6, v17 row_shr:1 row_mask:0xf bank_mask:0xf
	v_mov_b32_dpp v8, v14 row_shr:1 row_mask:0xf bank_mask:0xf
	v_mov_b32_dpp v10, v16 row_shr:1 row_mask:0xf bank_mask:0xf
	v_mov_b32_dpp v12, v13 row_shr:1 row_mask:0xf bank_mask:0xf
	v_add_f32_e32 v6, v17, v6
	v_add_f32_e32 v8, v14, v8
	v_add_f32_e32 v10, v16, v10
	v_add_f32_e32 v12, v13, v12
	v_mov_b32_dpp v7, v6 row_shr:2 row_mask:0xf bank_mask:0xf
	v_mov_b32_dpp v9, v8 row_shr:2 row_mask:0xf bank_mask:0xf
	v_mov_b32_dpp v11, v10 row_shr:2 row_mask:0xf bank_mask:0xf
	v_mov_b32_dpp v13, v12 row_shr:2 row_mask:0xf bank_mask:0xf
	v_add_f32_e32 v6, v6, v7
	v_add_f32_e32 v8, v8, v9
	v_add_f32_e32 v10, v10, v11
	v_add_f32_e32 v12, v12, v13
	;; [unrolled: 8-line block ×4, first 2 shown]
	v_mov_b32_dpp v7, v6 row_bcast:15 row_mask:0xa bank_mask:0xf
	v_mov_b32_dpp v9, v8 row_bcast:15 row_mask:0xa bank_mask:0xf
	;; [unrolled: 1-line block ×4, first 2 shown]
	v_cmp_eq_u32_e32 vcc, 31, v0
	s_and_b64 exec, exec, vcc
	s_cbranch_execz .LBB175_21
; %bb.17:
	s_load_dwordx2 s[2:3], s[4:5], 0x38
	v_cmp_eq_f32_e32 vcc, 0, v3
	v_cmp_eq_f32_e64 s[0:1], 0, v4
	v_add_f32_e32 v7, v6, v7
	v_add_f32_e32 v8, v8, v9
	;; [unrolled: 1-line block ×4, first 2 shown]
	s_and_b64 s[0:1], vcc, s[0:1]
	s_and_saveexec_b64 s[4:5], s[0:1]
	s_xor_b64 s[0:1], exec, s[4:5]
	s_cbranch_execz .LBB175_19
; %bb.18:
	v_mul_f32_e64 v3, v8, -v2
	v_mul_f32_e32 v4, v1, v8
	v_fmac_f32_e32 v3, v1, v7
	v_fmac_f32_e32 v4, v2, v7
	v_lshlrev_b32_e32 v7, 1, v5
	v_ashrrev_i32_e32 v8, 31, v7
	v_lshlrev_b64 v[7:8], 3, v[7:8]
	s_waitcnt lgkmcnt(0)
	v_mov_b32_e32 v5, s3
	v_add_co_u32_e32 v7, vcc, s2, v7
	v_addc_co_u32_e32 v8, vcc, v5, v8, vcc
	v_mul_f32_e64 v5, v6, -v2
	v_mul_f32_e32 v6, v1, v6
	v_fmac_f32_e32 v5, v1, v0
	v_fmac_f32_e32 v6, v2, v0
	global_store_dwordx4 v[7:8], v[3:6], off
                                        ; implicit-def: $vgpr5
                                        ; implicit-def: $vgpr1_vgpr2
                                        ; implicit-def: $vgpr8
                                        ; implicit-def: $vgpr7
                                        ; implicit-def: $vgpr3_vgpr4
                                        ; implicit-def: $vgpr6
                                        ; implicit-def: $vgpr0
.LBB175_19:
	s_andn2_saveexec_b64 s[0:1], s[0:1]
	s_cbranch_execz .LBB175_21
; %bb.20:
	v_lshlrev_b32_e32 v9, 1, v5
	v_ashrrev_i32_e32 v10, 31, v9
	v_lshlrev_b64 v[9:10], 3, v[9:10]
	s_waitcnt lgkmcnt(0)
	v_mov_b32_e32 v5, s3
	v_add_co_u32_e32 v17, vcc, s2, v9
	v_addc_co_u32_e32 v18, vcc, v5, v10, vcc
	global_load_dwordx4 v[9:12], v[17:18], off
	v_mul_f32_e64 v5, v8, -v2
	v_mul_f32_e32 v14, v1, v8
	v_mul_f32_e64 v8, v6, -v2
	v_mul_f32_e32 v16, v1, v6
	v_fmac_f32_e32 v5, v1, v7
	v_fmac_f32_e32 v14, v2, v7
	;; [unrolled: 1-line block ×4, first 2 shown]
	s_waitcnt vmcnt(0)
	v_fmac_f32_e32 v5, v3, v9
	v_fmac_f32_e32 v14, v4, v9
	;; [unrolled: 1-line block ×4, first 2 shown]
	v_fma_f32 v13, -v4, v10, v5
	v_fmac_f32_e32 v14, v3, v10
	v_fma_f32 v15, -v4, v12, v8
	v_fmac_f32_e32 v16, v3, v12
	global_store_dwordx4 v[17:18], v[13:16], off
.LBB175_21:
	s_endpgm
	.section	.rodata,"a",@progbits
	.p2align	6, 0x0
	.amdhsa_kernel _ZN9rocsparseL19gebsrmvn_2xn_kernelILj128ELj6ELj32E21rocsparse_complex_numIfEEEvi20rocsparse_direction_NS_24const_host_device_scalarIT2_EEPKiS8_PKS5_SA_S6_PS5_21rocsparse_index_base_b
		.amdhsa_group_segment_fixed_size 0
		.amdhsa_private_segment_fixed_size 0
		.amdhsa_kernarg_size 72
		.amdhsa_user_sgpr_count 6
		.amdhsa_user_sgpr_private_segment_buffer 1
		.amdhsa_user_sgpr_dispatch_ptr 0
		.amdhsa_user_sgpr_queue_ptr 0
		.amdhsa_user_sgpr_kernarg_segment_ptr 1
		.amdhsa_user_sgpr_dispatch_id 0
		.amdhsa_user_sgpr_flat_scratch_init 0
		.amdhsa_user_sgpr_private_segment_size 0
		.amdhsa_uses_dynamic_stack 0
		.amdhsa_system_sgpr_private_segment_wavefront_offset 0
		.amdhsa_system_sgpr_workgroup_id_x 1
		.amdhsa_system_sgpr_workgroup_id_y 0
		.amdhsa_system_sgpr_workgroup_id_z 0
		.amdhsa_system_sgpr_workgroup_info 0
		.amdhsa_system_vgpr_workitem_id 0
		.amdhsa_next_free_vgpr 41
		.amdhsa_next_free_sgpr 16
		.amdhsa_reserve_vcc 1
		.amdhsa_reserve_flat_scratch 0
		.amdhsa_float_round_mode_32 0
		.amdhsa_float_round_mode_16_64 0
		.amdhsa_float_denorm_mode_32 3
		.amdhsa_float_denorm_mode_16_64 3
		.amdhsa_dx10_clamp 1
		.amdhsa_ieee_mode 1
		.amdhsa_fp16_overflow 0
		.amdhsa_exception_fp_ieee_invalid_op 0
		.amdhsa_exception_fp_denorm_src 0
		.amdhsa_exception_fp_ieee_div_zero 0
		.amdhsa_exception_fp_ieee_overflow 0
		.amdhsa_exception_fp_ieee_underflow 0
		.amdhsa_exception_fp_ieee_inexact 0
		.amdhsa_exception_int_div_zero 0
	.end_amdhsa_kernel
	.section	.text._ZN9rocsparseL19gebsrmvn_2xn_kernelILj128ELj6ELj32E21rocsparse_complex_numIfEEEvi20rocsparse_direction_NS_24const_host_device_scalarIT2_EEPKiS8_PKS5_SA_S6_PS5_21rocsparse_index_base_b,"axG",@progbits,_ZN9rocsparseL19gebsrmvn_2xn_kernelILj128ELj6ELj32E21rocsparse_complex_numIfEEEvi20rocsparse_direction_NS_24const_host_device_scalarIT2_EEPKiS8_PKS5_SA_S6_PS5_21rocsparse_index_base_b,comdat
.Lfunc_end175:
	.size	_ZN9rocsparseL19gebsrmvn_2xn_kernelILj128ELj6ELj32E21rocsparse_complex_numIfEEEvi20rocsparse_direction_NS_24const_host_device_scalarIT2_EEPKiS8_PKS5_SA_S6_PS5_21rocsparse_index_base_b, .Lfunc_end175-_ZN9rocsparseL19gebsrmvn_2xn_kernelILj128ELj6ELj32E21rocsparse_complex_numIfEEEvi20rocsparse_direction_NS_24const_host_device_scalarIT2_EEPKiS8_PKS5_SA_S6_PS5_21rocsparse_index_base_b
                                        ; -- End function
	.set _ZN9rocsparseL19gebsrmvn_2xn_kernelILj128ELj6ELj32E21rocsparse_complex_numIfEEEvi20rocsparse_direction_NS_24const_host_device_scalarIT2_EEPKiS8_PKS5_SA_S6_PS5_21rocsparse_index_base_b.num_vgpr, 41
	.set _ZN9rocsparseL19gebsrmvn_2xn_kernelILj128ELj6ELj32E21rocsparse_complex_numIfEEEvi20rocsparse_direction_NS_24const_host_device_scalarIT2_EEPKiS8_PKS5_SA_S6_PS5_21rocsparse_index_base_b.num_agpr, 0
	.set _ZN9rocsparseL19gebsrmvn_2xn_kernelILj128ELj6ELj32E21rocsparse_complex_numIfEEEvi20rocsparse_direction_NS_24const_host_device_scalarIT2_EEPKiS8_PKS5_SA_S6_PS5_21rocsparse_index_base_b.numbered_sgpr, 16
	.set _ZN9rocsparseL19gebsrmvn_2xn_kernelILj128ELj6ELj32E21rocsparse_complex_numIfEEEvi20rocsparse_direction_NS_24const_host_device_scalarIT2_EEPKiS8_PKS5_SA_S6_PS5_21rocsparse_index_base_b.num_named_barrier, 0
	.set _ZN9rocsparseL19gebsrmvn_2xn_kernelILj128ELj6ELj32E21rocsparse_complex_numIfEEEvi20rocsparse_direction_NS_24const_host_device_scalarIT2_EEPKiS8_PKS5_SA_S6_PS5_21rocsparse_index_base_b.private_seg_size, 0
	.set _ZN9rocsparseL19gebsrmvn_2xn_kernelILj128ELj6ELj32E21rocsparse_complex_numIfEEEvi20rocsparse_direction_NS_24const_host_device_scalarIT2_EEPKiS8_PKS5_SA_S6_PS5_21rocsparse_index_base_b.uses_vcc, 1
	.set _ZN9rocsparseL19gebsrmvn_2xn_kernelILj128ELj6ELj32E21rocsparse_complex_numIfEEEvi20rocsparse_direction_NS_24const_host_device_scalarIT2_EEPKiS8_PKS5_SA_S6_PS5_21rocsparse_index_base_b.uses_flat_scratch, 0
	.set _ZN9rocsparseL19gebsrmvn_2xn_kernelILj128ELj6ELj32E21rocsparse_complex_numIfEEEvi20rocsparse_direction_NS_24const_host_device_scalarIT2_EEPKiS8_PKS5_SA_S6_PS5_21rocsparse_index_base_b.has_dyn_sized_stack, 0
	.set _ZN9rocsparseL19gebsrmvn_2xn_kernelILj128ELj6ELj32E21rocsparse_complex_numIfEEEvi20rocsparse_direction_NS_24const_host_device_scalarIT2_EEPKiS8_PKS5_SA_S6_PS5_21rocsparse_index_base_b.has_recursion, 0
	.set _ZN9rocsparseL19gebsrmvn_2xn_kernelILj128ELj6ELj32E21rocsparse_complex_numIfEEEvi20rocsparse_direction_NS_24const_host_device_scalarIT2_EEPKiS8_PKS5_SA_S6_PS5_21rocsparse_index_base_b.has_indirect_call, 0
	.section	.AMDGPU.csdata,"",@progbits
; Kernel info:
; codeLenInByte = 2208
; TotalNumSgprs: 20
; NumVgprs: 41
; ScratchSize: 0
; MemoryBound: 0
; FloatMode: 240
; IeeeMode: 1
; LDSByteSize: 0 bytes/workgroup (compile time only)
; SGPRBlocks: 2
; VGPRBlocks: 10
; NumSGPRsForWavesPerEU: 20
; NumVGPRsForWavesPerEU: 41
; Occupancy: 5
; WaveLimiterHint : 1
; COMPUTE_PGM_RSRC2:SCRATCH_EN: 0
; COMPUTE_PGM_RSRC2:USER_SGPR: 6
; COMPUTE_PGM_RSRC2:TRAP_HANDLER: 0
; COMPUTE_PGM_RSRC2:TGID_X_EN: 1
; COMPUTE_PGM_RSRC2:TGID_Y_EN: 0
; COMPUTE_PGM_RSRC2:TGID_Z_EN: 0
; COMPUTE_PGM_RSRC2:TIDIG_COMP_CNT: 0
	.section	.text._ZN9rocsparseL19gebsrmvn_2xn_kernelILj128ELj6ELj64E21rocsparse_complex_numIfEEEvi20rocsparse_direction_NS_24const_host_device_scalarIT2_EEPKiS8_PKS5_SA_S6_PS5_21rocsparse_index_base_b,"axG",@progbits,_ZN9rocsparseL19gebsrmvn_2xn_kernelILj128ELj6ELj64E21rocsparse_complex_numIfEEEvi20rocsparse_direction_NS_24const_host_device_scalarIT2_EEPKiS8_PKS5_SA_S6_PS5_21rocsparse_index_base_b,comdat
	.globl	_ZN9rocsparseL19gebsrmvn_2xn_kernelILj128ELj6ELj64E21rocsparse_complex_numIfEEEvi20rocsparse_direction_NS_24const_host_device_scalarIT2_EEPKiS8_PKS5_SA_S6_PS5_21rocsparse_index_base_b ; -- Begin function _ZN9rocsparseL19gebsrmvn_2xn_kernelILj128ELj6ELj64E21rocsparse_complex_numIfEEEvi20rocsparse_direction_NS_24const_host_device_scalarIT2_EEPKiS8_PKS5_SA_S6_PS5_21rocsparse_index_base_b
	.p2align	8
	.type	_ZN9rocsparseL19gebsrmvn_2xn_kernelILj128ELj6ELj64E21rocsparse_complex_numIfEEEvi20rocsparse_direction_NS_24const_host_device_scalarIT2_EEPKiS8_PKS5_SA_S6_PS5_21rocsparse_index_base_b,@function
_ZN9rocsparseL19gebsrmvn_2xn_kernelILj128ELj6ELj64E21rocsparse_complex_numIfEEEvi20rocsparse_direction_NS_24const_host_device_scalarIT2_EEPKiS8_PKS5_SA_S6_PS5_21rocsparse_index_base_b: ; @_ZN9rocsparseL19gebsrmvn_2xn_kernelILj128ELj6ELj64E21rocsparse_complex_numIfEEEvi20rocsparse_direction_NS_24const_host_device_scalarIT2_EEPKiS8_PKS5_SA_S6_PS5_21rocsparse_index_base_b
; %bb.0:
	s_load_dwordx2 s[0:1], s[4:5], 0x8
	s_load_dwordx2 s[8:9], s[4:5], 0x30
	;; [unrolled: 1-line block ×3, first 2 shown]
	s_add_u32 s7, s4, 8
	s_addc_u32 s10, s5, 0
	s_add_u32 s11, s4, 48
	s_addc_u32 s12, s5, 0
	s_waitcnt lgkmcnt(0)
	s_bitcmp1_b32 s3, 0
	s_cselect_b32 s1, s10, s1
	s_cselect_b32 s0, s7, s0
	v_mov_b32_e32 v1, s0
	v_mov_b32_e32 v2, s1
	flat_load_dwordx2 v[1:2], v[1:2]
	s_cselect_b32 s0, s12, s9
	s_cselect_b32 s1, s11, s8
	v_mov_b32_e32 v3, s1
	v_mov_b32_e32 v4, s0
	flat_load_dwordx2 v[3:4], v[3:4]
	s_waitcnt vmcnt(0) lgkmcnt(0)
	v_cmp_eq_f32_e32 vcc, 0, v1
	v_cmp_eq_f32_e64 s[0:1], 0, v2
	s_and_b64 s[10:11], vcc, s[0:1]
	s_mov_b64 s[0:1], -1
	s_and_saveexec_b64 s[8:9], s[10:11]
; %bb.1:
	v_cmp_neq_f32_e32 vcc, 1.0, v3
	v_cmp_neq_f32_e64 s[0:1], 0, v4
	s_or_b64 s[0:1], vcc, s[0:1]
	s_orn2_b64 s[0:1], s[0:1], exec
; %bb.2:
	s_or_b64 exec, exec, s[8:9]
	s_and_saveexec_b64 s[8:9], s[0:1]
	s_cbranch_execz .LBB176_21
; %bb.3:
	s_load_dwordx2 s[0:1], s[4:5], 0x0
	v_lshrrev_b32_e32 v5, 6, v0
	v_lshl_or_b32 v5, s6, 1, v5
	s_waitcnt lgkmcnt(0)
	v_cmp_gt_i32_e32 vcc, s0, v5
	s_and_b64 exec, exec, vcc
	s_cbranch_execz .LBB176_21
; %bb.4:
	s_load_dwordx8 s[8:15], s[4:5], 0x10
	v_ashrrev_i32_e32 v6, 31, v5
	v_lshlrev_b64 v[6:7], 2, v[5:6]
	v_and_b32_e32 v0, 63, v0
	s_cmp_lg_u32 s1, 0
	s_waitcnt lgkmcnt(0)
	v_mov_b32_e32 v8, s9
	v_add_co_u32_e32 v6, vcc, s8, v6
	v_addc_co_u32_e32 v7, vcc, v8, v7, vcc
	global_load_dwordx2 v[6:7], v[6:7], off
	s_waitcnt vmcnt(0)
	v_subrev_u32_e32 v6, s2, v6
	v_subrev_u32_e32 v15, s2, v7
	v_add_u32_e32 v6, v6, v0
	v_cmp_lt_i32_e64 s[0:1], v6, v15
	s_cbranch_scc0 .LBB176_10
; %bb.5:
	v_mov_b32_e32 v14, 0
	v_mov_b32_e32 v17, 0
	;; [unrolled: 1-line block ×4, first 2 shown]
	s_and_saveexec_b64 s[6:7], s[0:1]
	s_cbranch_execz .LBB176_9
; %bb.6:
	v_mad_u64_u32 v[7:8], s[8:9], v6, 12, 10
	v_mov_b32_e32 v10, 0
	s_mov_b64 s[8:9], 0
	v_mov_b32_e32 v18, s11
	v_mov_b32_e32 v19, s13
	;; [unrolled: 1-line block ×8, first 2 shown]
.LBB176_7:                              ; =>This Inner Loop Header: Depth=1
	v_ashrrev_i32_e32 v12, 31, v11
	v_lshlrev_b64 v[21:22], 2, v[11:12]
	v_add_u32_e32 v9, -10, v7
	v_lshlrev_b64 v[23:24], 3, v[9:10]
	v_add_co_u32_e32 v29, vcc, s10, v21
	v_mov_b32_e32 v8, v10
	v_addc_co_u32_e32 v30, vcc, v18, v22, vcc
	v_lshlrev_b64 v[25:26], 3, v[7:8]
	v_add_co_u32_e32 v31, vcc, s12, v23
	v_addc_co_u32_e32 v32, vcc, v19, v24, vcc
	v_add_co_u32_e32 v37, vcc, s12, v25
	v_addc_co_u32_e32 v38, vcc, v19, v26, vcc
	global_load_dword v12, v[29:30], off
	global_load_dwordx4 v[21:24], v[31:32], off
	global_load_dwordx4 v[25:28], v[31:32], off offset:16
	v_add_u32_e32 v9, -6, v7
	v_lshlrev_b64 v[8:9], 3, v[9:10]
	v_mov_b32_e32 v34, v10
	v_add_co_u32_e32 v8, vcc, s12, v8
	v_addc_co_u32_e32 v9, vcc, v19, v9, vcc
	v_add_u32_e32 v11, 64, v11
	s_waitcnt vmcnt(2)
	v_subrev_u32_e32 v12, s2, v12
	v_mul_lo_u32 v33, v12, 6
	v_lshlrev_b64 v[29:30], 3, v[33:34]
	v_add_co_u32_e32 v29, vcc, s14, v29
	v_addc_co_u32_e32 v30, vcc, v20, v30, vcc
	global_load_dwordx4 v[29:32], v[29:30], off
	s_waitcnt vmcnt(0)
	v_fmac_f32_e32 v17, v21, v29
	v_fmac_f32_e32 v14, v22, v29
	;; [unrolled: 1-line block ×4, first 2 shown]
	v_fma_f32 v12, -v22, v30, v17
	v_fmac_f32_e32 v14, v21, v30
	v_fma_f32 v29, -v24, v30, v16
	v_fmac_f32_e32 v13, v23, v30
	global_load_dwordx4 v[21:24], v[8:9], off
	v_add_u32_e32 v9, 2, v33
	v_lshlrev_b64 v[16:17], 3, v[9:10]
	v_add_u32_e32 v9, -4, v7
	v_fmac_f32_e32 v29, v27, v31
	v_fma_f32 v34, -v28, v32, v29
	v_lshlrev_b64 v[29:30], 3, v[9:10]
	v_add_co_u32_e32 v16, vcc, s14, v16
	v_fmac_f32_e32 v12, v25, v31
	v_fmac_f32_e32 v14, v26, v31
	;; [unrolled: 1-line block ×3, first 2 shown]
	v_add_u32_e32 v9, -2, v7
	v_addc_co_u32_e32 v17, vcc, v20, v17, vcc
	v_fma_f32 v12, -v26, v32, v12
	v_fmac_f32_e32 v14, v25, v32
	v_fmac_f32_e32 v13, v27, v32
	v_lshlrev_b64 v[31:32], 3, v[9:10]
	global_load_dwordx4 v[25:28], v[16:17], off
	v_add_co_u32_e32 v16, vcc, s12, v29
	v_addc_co_u32_e32 v17, vcc, v19, v30, vcc
	v_add_co_u32_e32 v39, vcc, s12, v31
	v_addc_co_u32_e32 v40, vcc, v19, v32, vcc
	global_load_dwordx4 v[29:32], v[16:17], off
	v_add_u32_e32 v9, 4, v33
	v_lshlrev_b64 v[8:9], 3, v[9:10]
	v_add_u32_e32 v7, 0x300, v7
	v_add_co_u32_e32 v8, vcc, s14, v8
	v_addc_co_u32_e32 v9, vcc, v20, v9, vcc
	v_cmp_ge_i32_e32 vcc, v11, v15
	s_or_b64 s[8:9], vcc, s[8:9]
	s_waitcnt vmcnt(1)
	v_fmac_f32_e32 v12, v21, v25
	v_fmac_f32_e32 v14, v22, v25
	;; [unrolled: 1-line block ×4, first 2 shown]
	v_fma_f32 v12, -v22, v26, v12
	v_fmac_f32_e32 v14, v21, v26
	v_fma_f32 v16, -v24, v26, v34
	v_fmac_f32_e32 v13, v23, v26
	global_load_dwordx4 v[21:24], v[39:40], off
	global_load_dwordx4 v[33:36], v[8:9], off
	s_waitcnt vmcnt(2)
	v_fmac_f32_e32 v12, v29, v27
	v_fmac_f32_e32 v14, v30, v27
	;; [unrolled: 1-line block ×4, first 2 shown]
	v_fma_f32 v8, -v30, v28, v12
	v_fmac_f32_e32 v14, v29, v28
	v_fma_f32 v9, -v32, v28, v16
	v_fmac_f32_e32 v13, v31, v28
	global_load_dwordx4 v[25:28], v[37:38], off
	s_waitcnt vmcnt(1)
	v_fmac_f32_e32 v8, v21, v33
	v_fmac_f32_e32 v14, v22, v33
	;; [unrolled: 1-line block ×4, first 2 shown]
	v_fma_f32 v8, -v22, v34, v8
	v_fmac_f32_e32 v14, v21, v34
	v_fma_f32 v9, -v24, v34, v9
	v_fmac_f32_e32 v13, v23, v34
	s_waitcnt vmcnt(0)
	v_fmac_f32_e32 v8, v25, v35
	v_fmac_f32_e32 v14, v26, v35
	;; [unrolled: 1-line block ×4, first 2 shown]
	v_fma_f32 v17, -v26, v36, v8
	v_fmac_f32_e32 v14, v25, v36
	v_fma_f32 v16, -v28, v36, v9
	v_fmac_f32_e32 v13, v27, v36
	s_andn2_b64 exec, exec, s[8:9]
	s_cbranch_execnz .LBB176_7
; %bb.8:
	s_or_b64 exec, exec, s[8:9]
.LBB176_9:
	s_or_b64 exec, exec, s[6:7]
	s_cbranch_execz .LBB176_11
	s_branch .LBB176_16
.LBB176_10:
                                        ; implicit-def: $vgpr14
                                        ; implicit-def: $vgpr17
                                        ; implicit-def: $vgpr16
                                        ; implicit-def: $vgpr13
.LBB176_11:
	v_mov_b32_e32 v14, 0
	v_mov_b32_e32 v17, 0
	v_mov_b32_e32 v16, 0
	v_mov_b32_e32 v13, 0
	s_and_saveexec_b64 s[6:7], s[0:1]
	s_cbranch_execz .LBB176_15
; %bb.12:
	v_mad_u64_u32 v[8:9], s[0:1], v6, 12, 11
	v_mov_b32_e32 v10, 0
	s_mov_b64 s[0:1], 0
	v_mov_b32_e32 v11, s11
	v_mov_b32_e32 v12, s13
	;; [unrolled: 1-line block ×7, first 2 shown]
.LBB176_13:                             ; =>This Inner Loop Header: Depth=1
	v_ashrrev_i32_e32 v7, 31, v6
	v_lshlrev_b64 v[19:20], 2, v[6:7]
	v_add_u32_e32 v9, -11, v8
	v_lshlrev_b64 v[21:22], 3, v[9:10]
	v_add_co_u32_e32 v27, vcc, s10, v19
	v_addc_co_u32_e32 v28, vcc, v11, v20, vcc
	v_add_co_u32_e32 v29, vcc, s12, v21
	v_addc_co_u32_e32 v30, vcc, v12, v22, vcc
	global_load_dword v7, v[27:28], off
	global_load_dwordx4 v[19:22], v[29:30], off
	global_load_dwordx4 v[23:26], v[29:30], off offset:16
	v_mov_b32_e32 v32, v10
	v_mov_b32_e32 v9, v10
	v_add_u32_e32 v6, 64, v6
	s_waitcnt vmcnt(2)
	v_subrev_u32_e32 v7, s2, v7
	v_mul_lo_u32 v31, v7, 6
	v_lshlrev_b64 v[27:28], 3, v[31:32]
	v_add_co_u32_e32 v27, vcc, s14, v27
	v_addc_co_u32_e32 v28, vcc, v18, v28, vcc
	global_load_dwordx4 v[27:30], v[27:28], off
	s_waitcnt vmcnt(0)
	v_fmac_f32_e32 v17, v19, v27
	v_fmac_f32_e32 v14, v20, v27
	v_fma_f32 v7, -v20, v28, v17
	v_fmac_f32_e32 v14, v19, v28
	v_add_u32_e32 v19, -5, v8
	v_mov_b32_e32 v20, v10
	v_lshlrev_b64 v[19:20], 3, v[19:20]
	v_fmac_f32_e32 v7, v21, v29
	v_fmac_f32_e32 v14, v22, v29
	v_fma_f32 v7, -v22, v30, v7
	v_fmac_f32_e32 v14, v21, v30
	v_add_co_u32_e32 v19, vcc, s12, v19
	v_lshlrev_b64 v[21:22], 3, v[8:9]
	v_addc_co_u32_e32 v20, vcc, v12, v20, vcc
	v_add_co_u32_e32 v32, vcc, s12, v21
	v_add_u32_e32 v9, -4, v8
	v_addc_co_u32_e32 v33, vcc, v12, v22, vcc
	v_lshlrev_b64 v[21:22], 3, v[9:10]
	v_add_u32_e32 v9, 2, v31
	v_add_co_u32_e32 v21, vcc, s12, v21
	v_addc_co_u32_e32 v22, vcc, v12, v22, vcc
	global_load_dwordx2 v[34:35], v[19:20], off
	global_load_dwordx2 v[36:37], v[21:22], off
	s_waitcnt vmcnt(1)
	v_fmac_f32_e32 v16, v34, v27
	v_fmac_f32_e32 v13, v35, v27
	v_fma_f32 v16, -v35, v28, v16
	v_fmac_f32_e32 v13, v34, v28
	s_waitcnt vmcnt(0)
	v_fmac_f32_e32 v16, v36, v29
	v_fmac_f32_e32 v13, v37, v29
	v_fma_f32 v37, -v37, v30, v16
	v_lshlrev_b64 v[16:17], 3, v[9:10]
	v_add_u32_e32 v9, -3, v8
	v_add_co_u32_e32 v16, vcc, s14, v16
	v_addc_co_u32_e32 v17, vcc, v18, v17, vcc
	global_load_dwordx4 v[19:22], v[16:17], off
	v_lshlrev_b64 v[27:28], 3, v[9:10]
	v_add_u32_e32 v9, -2, v8
	v_lshlrev_b64 v[16:17], 3, v[9:10]
	v_add_u32_e32 v9, -7, v8
	v_fmac_f32_e32 v13, v36, v30
	s_waitcnt vmcnt(0)
	v_fmac_f32_e32 v7, v23, v19
	v_fmac_f32_e32 v14, v24, v19
	v_fma_f32 v7, -v24, v20, v7
	v_fmac_f32_e32 v14, v23, v20
	v_add_co_u32_e32 v23, vcc, s12, v27
	v_fmac_f32_e32 v7, v25, v21
	v_fmac_f32_e32 v14, v26, v21
	v_addc_co_u32_e32 v24, vcc, v12, v28, vcc
	v_fma_f32 v7, -v26, v22, v7
	v_fmac_f32_e32 v14, v25, v22
	v_lshlrev_b64 v[25:26], 3, v[9:10]
	v_add_co_u32_e32 v16, vcc, s12, v16
	global_load_dwordx2 v[23:24], v[23:24], off
	v_addc_co_u32_e32 v17, vcc, v12, v17, vcc
	v_add_co_u32_e32 v25, vcc, s12, v25
	v_addc_co_u32_e32 v26, vcc, v12, v26, vcc
	global_load_dwordx2 v[29:30], v[16:17], off
	global_load_dwordx2 v[34:35], v[25:26], off
	v_add_u32_e32 v9, 4, v31
	v_lshlrev_b64 v[27:28], 3, v[9:10]
	v_add_u32_e32 v9, -1, v8
	v_add_co_u32_e32 v27, vcc, s14, v27
	v_lshlrev_b64 v[16:17], 3, v[9:10]
	v_addc_co_u32_e32 v28, vcc, v18, v28, vcc
	v_add_u32_e32 v9, -6, v8
	v_add_co_u32_e32 v16, vcc, s12, v16
	v_addc_co_u32_e32 v17, vcc, v12, v17, vcc
	global_load_dwordx2 v[16:17], v[16:17], off
	v_add_u32_e32 v8, 0x300, v8
	s_waitcnt vmcnt(3)
	v_fmac_f32_e32 v37, v23, v19
	v_fmac_f32_e32 v13, v24, v19
	v_fma_f32 v19, -v24, v20, v37
	v_fmac_f32_e32 v13, v23, v20
	v_lshlrev_b64 v[23:24], 3, v[9:10]
	s_waitcnt vmcnt(2)
	v_fmac_f32_e32 v19, v29, v21
	v_fmac_f32_e32 v13, v30, v21
	v_fma_f32 v30, -v30, v22, v19
	v_fmac_f32_e32 v13, v29, v22
	global_load_dwordx4 v[19:22], v[27:28], off
	v_add_co_u32_e32 v23, vcc, s12, v23
	v_addc_co_u32_e32 v24, vcc, v12, v24, vcc
	global_load_dwordx2 v[25:26], v[23:24], off
	global_load_dwordx2 v[27:28], v[32:33], off
	v_cmp_ge_i32_e32 vcc, v6, v15
	s_or_b64 s[0:1], vcc, s[0:1]
	s_waitcnt vmcnt(2)
	v_fmac_f32_e32 v7, v34, v19
	v_fmac_f32_e32 v14, v35, v19
	;; [unrolled: 1-line block ×4, first 2 shown]
	v_fma_f32 v7, -v35, v20, v7
	v_fmac_f32_e32 v14, v34, v20
	v_fma_f32 v9, -v17, v20, v30
	v_fmac_f32_e32 v13, v16, v20
	s_waitcnt vmcnt(1)
	v_fmac_f32_e32 v7, v25, v21
	v_fmac_f32_e32 v14, v26, v21
	s_waitcnt vmcnt(0)
	v_fmac_f32_e32 v9, v27, v21
	v_fmac_f32_e32 v13, v28, v21
	v_fma_f32 v17, -v26, v22, v7
	v_fmac_f32_e32 v14, v25, v22
	v_fma_f32 v16, -v28, v22, v9
	v_fmac_f32_e32 v13, v27, v22
	s_andn2_b64 exec, exec, s[0:1]
	s_cbranch_execnz .LBB176_13
; %bb.14:
	s_or_b64 exec, exec, s[0:1]
.LBB176_15:
	s_or_b64 exec, exec, s[6:7]
.LBB176_16:
	v_mov_b32_dpp v6, v17 row_shr:1 row_mask:0xf bank_mask:0xf
	v_mov_b32_dpp v8, v14 row_shr:1 row_mask:0xf bank_mask:0xf
	v_mov_b32_dpp v10, v16 row_shr:1 row_mask:0xf bank_mask:0xf
	v_mov_b32_dpp v12, v13 row_shr:1 row_mask:0xf bank_mask:0xf
	v_add_f32_e32 v6, v17, v6
	v_add_f32_e32 v8, v14, v8
	v_add_f32_e32 v10, v16, v10
	v_add_f32_e32 v12, v13, v12
	v_mov_b32_dpp v7, v6 row_shr:2 row_mask:0xf bank_mask:0xf
	v_mov_b32_dpp v9, v8 row_shr:2 row_mask:0xf bank_mask:0xf
	v_mov_b32_dpp v11, v10 row_shr:2 row_mask:0xf bank_mask:0xf
	v_mov_b32_dpp v13, v12 row_shr:2 row_mask:0xf bank_mask:0xf
	v_add_f32_e32 v6, v6, v7
	v_add_f32_e32 v8, v8, v9
	v_add_f32_e32 v10, v10, v11
	v_add_f32_e32 v12, v12, v13
	;; [unrolled: 8-line block ×4, first 2 shown]
	v_mov_b32_dpp v7, v6 row_bcast:15 row_mask:0xa bank_mask:0xf
	v_mov_b32_dpp v9, v8 row_bcast:15 row_mask:0xa bank_mask:0xf
	;; [unrolled: 1-line block ×4, first 2 shown]
	v_add_f32_e32 v6, v6, v7
	v_add_f32_e32 v8, v8, v9
	;; [unrolled: 1-line block ×4, first 2 shown]
	v_mov_b32_dpp v7, v6 row_bcast:31 row_mask:0xc bank_mask:0xf
	v_mov_b32_dpp v9, v8 row_bcast:31 row_mask:0xc bank_mask:0xf
	;; [unrolled: 1-line block ×4, first 2 shown]
	v_cmp_eq_u32_e32 vcc, 63, v0
	s_and_b64 exec, exec, vcc
	s_cbranch_execz .LBB176_21
; %bb.17:
	s_load_dwordx2 s[2:3], s[4:5], 0x38
	v_cmp_eq_f32_e32 vcc, 0, v3
	v_cmp_eq_f32_e64 s[0:1], 0, v4
	v_add_f32_e32 v7, v6, v7
	v_add_f32_e32 v8, v8, v9
	;; [unrolled: 1-line block ×4, first 2 shown]
	s_and_b64 s[0:1], vcc, s[0:1]
	s_and_saveexec_b64 s[4:5], s[0:1]
	s_xor_b64 s[0:1], exec, s[4:5]
	s_cbranch_execz .LBB176_19
; %bb.18:
	v_mul_f32_e64 v3, v8, -v2
	v_mul_f32_e32 v4, v1, v8
	v_fmac_f32_e32 v3, v1, v7
	v_fmac_f32_e32 v4, v2, v7
	v_lshlrev_b32_e32 v7, 1, v5
	v_ashrrev_i32_e32 v8, 31, v7
	v_lshlrev_b64 v[7:8], 3, v[7:8]
	s_waitcnt lgkmcnt(0)
	v_mov_b32_e32 v5, s3
	v_add_co_u32_e32 v7, vcc, s2, v7
	v_addc_co_u32_e32 v8, vcc, v5, v8, vcc
	v_mul_f32_e64 v5, v6, -v2
	v_mul_f32_e32 v6, v1, v6
	v_fmac_f32_e32 v5, v1, v0
	v_fmac_f32_e32 v6, v2, v0
	global_store_dwordx4 v[7:8], v[3:6], off
                                        ; implicit-def: $vgpr5
                                        ; implicit-def: $vgpr1_vgpr2
                                        ; implicit-def: $vgpr8
                                        ; implicit-def: $vgpr7
                                        ; implicit-def: $vgpr3_vgpr4
                                        ; implicit-def: $vgpr6
                                        ; implicit-def: $vgpr0
.LBB176_19:
	s_andn2_saveexec_b64 s[0:1], s[0:1]
	s_cbranch_execz .LBB176_21
; %bb.20:
	v_lshlrev_b32_e32 v9, 1, v5
	v_ashrrev_i32_e32 v10, 31, v9
	v_lshlrev_b64 v[9:10], 3, v[9:10]
	s_waitcnt lgkmcnt(0)
	v_mov_b32_e32 v5, s3
	v_add_co_u32_e32 v17, vcc, s2, v9
	v_addc_co_u32_e32 v18, vcc, v5, v10, vcc
	global_load_dwordx4 v[9:12], v[17:18], off
	v_mul_f32_e64 v5, v8, -v2
	v_mul_f32_e32 v14, v1, v8
	v_mul_f32_e64 v8, v6, -v2
	v_mul_f32_e32 v16, v1, v6
	v_fmac_f32_e32 v5, v1, v7
	v_fmac_f32_e32 v14, v2, v7
	;; [unrolled: 1-line block ×4, first 2 shown]
	s_waitcnt vmcnt(0)
	v_fmac_f32_e32 v5, v3, v9
	v_fmac_f32_e32 v14, v4, v9
	;; [unrolled: 1-line block ×4, first 2 shown]
	v_fma_f32 v13, -v4, v10, v5
	v_fmac_f32_e32 v14, v3, v10
	v_fma_f32 v15, -v4, v12, v8
	v_fmac_f32_e32 v16, v3, v12
	global_store_dwordx4 v[17:18], v[13:16], off
.LBB176_21:
	s_endpgm
	.section	.rodata,"a",@progbits
	.p2align	6, 0x0
	.amdhsa_kernel _ZN9rocsparseL19gebsrmvn_2xn_kernelILj128ELj6ELj64E21rocsparse_complex_numIfEEEvi20rocsparse_direction_NS_24const_host_device_scalarIT2_EEPKiS8_PKS5_SA_S6_PS5_21rocsparse_index_base_b
		.amdhsa_group_segment_fixed_size 0
		.amdhsa_private_segment_fixed_size 0
		.amdhsa_kernarg_size 72
		.amdhsa_user_sgpr_count 6
		.amdhsa_user_sgpr_private_segment_buffer 1
		.amdhsa_user_sgpr_dispatch_ptr 0
		.amdhsa_user_sgpr_queue_ptr 0
		.amdhsa_user_sgpr_kernarg_segment_ptr 1
		.amdhsa_user_sgpr_dispatch_id 0
		.amdhsa_user_sgpr_flat_scratch_init 0
		.amdhsa_user_sgpr_private_segment_size 0
		.amdhsa_uses_dynamic_stack 0
		.amdhsa_system_sgpr_private_segment_wavefront_offset 0
		.amdhsa_system_sgpr_workgroup_id_x 1
		.amdhsa_system_sgpr_workgroup_id_y 0
		.amdhsa_system_sgpr_workgroup_id_z 0
		.amdhsa_system_sgpr_workgroup_info 0
		.amdhsa_system_vgpr_workitem_id 0
		.amdhsa_next_free_vgpr 41
		.amdhsa_next_free_sgpr 16
		.amdhsa_reserve_vcc 1
		.amdhsa_reserve_flat_scratch 0
		.amdhsa_float_round_mode_32 0
		.amdhsa_float_round_mode_16_64 0
		.amdhsa_float_denorm_mode_32 3
		.amdhsa_float_denorm_mode_16_64 3
		.amdhsa_dx10_clamp 1
		.amdhsa_ieee_mode 1
		.amdhsa_fp16_overflow 0
		.amdhsa_exception_fp_ieee_invalid_op 0
		.amdhsa_exception_fp_denorm_src 0
		.amdhsa_exception_fp_ieee_div_zero 0
		.amdhsa_exception_fp_ieee_overflow 0
		.amdhsa_exception_fp_ieee_underflow 0
		.amdhsa_exception_fp_ieee_inexact 0
		.amdhsa_exception_int_div_zero 0
	.end_amdhsa_kernel
	.section	.text._ZN9rocsparseL19gebsrmvn_2xn_kernelILj128ELj6ELj64E21rocsparse_complex_numIfEEEvi20rocsparse_direction_NS_24const_host_device_scalarIT2_EEPKiS8_PKS5_SA_S6_PS5_21rocsparse_index_base_b,"axG",@progbits,_ZN9rocsparseL19gebsrmvn_2xn_kernelILj128ELj6ELj64E21rocsparse_complex_numIfEEEvi20rocsparse_direction_NS_24const_host_device_scalarIT2_EEPKiS8_PKS5_SA_S6_PS5_21rocsparse_index_base_b,comdat
.Lfunc_end176:
	.size	_ZN9rocsparseL19gebsrmvn_2xn_kernelILj128ELj6ELj64E21rocsparse_complex_numIfEEEvi20rocsparse_direction_NS_24const_host_device_scalarIT2_EEPKiS8_PKS5_SA_S6_PS5_21rocsparse_index_base_b, .Lfunc_end176-_ZN9rocsparseL19gebsrmvn_2xn_kernelILj128ELj6ELj64E21rocsparse_complex_numIfEEEvi20rocsparse_direction_NS_24const_host_device_scalarIT2_EEPKiS8_PKS5_SA_S6_PS5_21rocsparse_index_base_b
                                        ; -- End function
	.set _ZN9rocsparseL19gebsrmvn_2xn_kernelILj128ELj6ELj64E21rocsparse_complex_numIfEEEvi20rocsparse_direction_NS_24const_host_device_scalarIT2_EEPKiS8_PKS5_SA_S6_PS5_21rocsparse_index_base_b.num_vgpr, 41
	.set _ZN9rocsparseL19gebsrmvn_2xn_kernelILj128ELj6ELj64E21rocsparse_complex_numIfEEEvi20rocsparse_direction_NS_24const_host_device_scalarIT2_EEPKiS8_PKS5_SA_S6_PS5_21rocsparse_index_base_b.num_agpr, 0
	.set _ZN9rocsparseL19gebsrmvn_2xn_kernelILj128ELj6ELj64E21rocsparse_complex_numIfEEEvi20rocsparse_direction_NS_24const_host_device_scalarIT2_EEPKiS8_PKS5_SA_S6_PS5_21rocsparse_index_base_b.numbered_sgpr, 16
	.set _ZN9rocsparseL19gebsrmvn_2xn_kernelILj128ELj6ELj64E21rocsparse_complex_numIfEEEvi20rocsparse_direction_NS_24const_host_device_scalarIT2_EEPKiS8_PKS5_SA_S6_PS5_21rocsparse_index_base_b.num_named_barrier, 0
	.set _ZN9rocsparseL19gebsrmvn_2xn_kernelILj128ELj6ELj64E21rocsparse_complex_numIfEEEvi20rocsparse_direction_NS_24const_host_device_scalarIT2_EEPKiS8_PKS5_SA_S6_PS5_21rocsparse_index_base_b.private_seg_size, 0
	.set _ZN9rocsparseL19gebsrmvn_2xn_kernelILj128ELj6ELj64E21rocsparse_complex_numIfEEEvi20rocsparse_direction_NS_24const_host_device_scalarIT2_EEPKiS8_PKS5_SA_S6_PS5_21rocsparse_index_base_b.uses_vcc, 1
	.set _ZN9rocsparseL19gebsrmvn_2xn_kernelILj128ELj6ELj64E21rocsparse_complex_numIfEEEvi20rocsparse_direction_NS_24const_host_device_scalarIT2_EEPKiS8_PKS5_SA_S6_PS5_21rocsparse_index_base_b.uses_flat_scratch, 0
	.set _ZN9rocsparseL19gebsrmvn_2xn_kernelILj128ELj6ELj64E21rocsparse_complex_numIfEEEvi20rocsparse_direction_NS_24const_host_device_scalarIT2_EEPKiS8_PKS5_SA_S6_PS5_21rocsparse_index_base_b.has_dyn_sized_stack, 0
	.set _ZN9rocsparseL19gebsrmvn_2xn_kernelILj128ELj6ELj64E21rocsparse_complex_numIfEEEvi20rocsparse_direction_NS_24const_host_device_scalarIT2_EEPKiS8_PKS5_SA_S6_PS5_21rocsparse_index_base_b.has_recursion, 0
	.set _ZN9rocsparseL19gebsrmvn_2xn_kernelILj128ELj6ELj64E21rocsparse_complex_numIfEEEvi20rocsparse_direction_NS_24const_host_device_scalarIT2_EEPKiS8_PKS5_SA_S6_PS5_21rocsparse_index_base_b.has_indirect_call, 0
	.section	.AMDGPU.csdata,"",@progbits
; Kernel info:
; codeLenInByte = 2256
; TotalNumSgprs: 20
; NumVgprs: 41
; ScratchSize: 0
; MemoryBound: 0
; FloatMode: 240
; IeeeMode: 1
; LDSByteSize: 0 bytes/workgroup (compile time only)
; SGPRBlocks: 2
; VGPRBlocks: 10
; NumSGPRsForWavesPerEU: 20
; NumVGPRsForWavesPerEU: 41
; Occupancy: 5
; WaveLimiterHint : 1
; COMPUTE_PGM_RSRC2:SCRATCH_EN: 0
; COMPUTE_PGM_RSRC2:USER_SGPR: 6
; COMPUTE_PGM_RSRC2:TRAP_HANDLER: 0
; COMPUTE_PGM_RSRC2:TGID_X_EN: 1
; COMPUTE_PGM_RSRC2:TGID_Y_EN: 0
; COMPUTE_PGM_RSRC2:TGID_Z_EN: 0
; COMPUTE_PGM_RSRC2:TIDIG_COMP_CNT: 0
	.section	.text._ZN9rocsparseL19gebsrmvn_2xn_kernelILj128ELj7ELj4E21rocsparse_complex_numIfEEEvi20rocsparse_direction_NS_24const_host_device_scalarIT2_EEPKiS8_PKS5_SA_S6_PS5_21rocsparse_index_base_b,"axG",@progbits,_ZN9rocsparseL19gebsrmvn_2xn_kernelILj128ELj7ELj4E21rocsparse_complex_numIfEEEvi20rocsparse_direction_NS_24const_host_device_scalarIT2_EEPKiS8_PKS5_SA_S6_PS5_21rocsparse_index_base_b,comdat
	.globl	_ZN9rocsparseL19gebsrmvn_2xn_kernelILj128ELj7ELj4E21rocsparse_complex_numIfEEEvi20rocsparse_direction_NS_24const_host_device_scalarIT2_EEPKiS8_PKS5_SA_S6_PS5_21rocsparse_index_base_b ; -- Begin function _ZN9rocsparseL19gebsrmvn_2xn_kernelILj128ELj7ELj4E21rocsparse_complex_numIfEEEvi20rocsparse_direction_NS_24const_host_device_scalarIT2_EEPKiS8_PKS5_SA_S6_PS5_21rocsparse_index_base_b
	.p2align	8
	.type	_ZN9rocsparseL19gebsrmvn_2xn_kernelILj128ELj7ELj4E21rocsparse_complex_numIfEEEvi20rocsparse_direction_NS_24const_host_device_scalarIT2_EEPKiS8_PKS5_SA_S6_PS5_21rocsparse_index_base_b,@function
_ZN9rocsparseL19gebsrmvn_2xn_kernelILj128ELj7ELj4E21rocsparse_complex_numIfEEEvi20rocsparse_direction_NS_24const_host_device_scalarIT2_EEPKiS8_PKS5_SA_S6_PS5_21rocsparse_index_base_b: ; @_ZN9rocsparseL19gebsrmvn_2xn_kernelILj128ELj7ELj4E21rocsparse_complex_numIfEEEvi20rocsparse_direction_NS_24const_host_device_scalarIT2_EEPKiS8_PKS5_SA_S6_PS5_21rocsparse_index_base_b
; %bb.0:
	s_load_dwordx2 s[0:1], s[4:5], 0x8
	s_load_dwordx2 s[8:9], s[4:5], 0x30
	;; [unrolled: 1-line block ×3, first 2 shown]
	s_add_u32 s7, s4, 8
	s_addc_u32 s10, s5, 0
	s_add_u32 s11, s4, 48
	s_addc_u32 s12, s5, 0
	s_waitcnt lgkmcnt(0)
	s_bitcmp1_b32 s3, 0
	s_cselect_b32 s1, s10, s1
	s_cselect_b32 s0, s7, s0
	v_mov_b32_e32 v1, s0
	v_mov_b32_e32 v2, s1
	flat_load_dwordx2 v[1:2], v[1:2]
	s_cselect_b32 s0, s12, s9
	s_cselect_b32 s1, s11, s8
	v_mov_b32_e32 v3, s1
	v_mov_b32_e32 v4, s0
	flat_load_dwordx2 v[3:4], v[3:4]
	s_waitcnt vmcnt(0) lgkmcnt(0)
	v_cmp_eq_f32_e32 vcc, 0, v1
	v_cmp_eq_f32_e64 s[0:1], 0, v2
	s_and_b64 s[10:11], vcc, s[0:1]
	s_mov_b64 s[0:1], -1
	s_and_saveexec_b64 s[8:9], s[10:11]
; %bb.1:
	v_cmp_neq_f32_e32 vcc, 1.0, v3
	v_cmp_neq_f32_e64 s[0:1], 0, v4
	s_or_b64 s[0:1], vcc, s[0:1]
	s_orn2_b64 s[0:1], s[0:1], exec
; %bb.2:
	s_or_b64 exec, exec, s[8:9]
	s_and_saveexec_b64 s[8:9], s[0:1]
	s_cbranch_execz .LBB177_21
; %bb.3:
	s_load_dwordx2 s[0:1], s[4:5], 0x0
	v_lshrrev_b32_e32 v5, 2, v0
	v_lshl_or_b32 v5, s6, 5, v5
	s_waitcnt lgkmcnt(0)
	v_cmp_gt_i32_e32 vcc, s0, v5
	s_and_b64 exec, exec, vcc
	s_cbranch_execz .LBB177_21
; %bb.4:
	s_load_dwordx8 s[8:15], s[4:5], 0x10
	v_ashrrev_i32_e32 v6, 31, v5
	v_lshlrev_b64 v[6:7], 2, v[5:6]
	v_and_b32_e32 v0, 3, v0
	s_cmp_lg_u32 s1, 0
	s_waitcnt lgkmcnt(0)
	v_mov_b32_e32 v8, s9
	v_add_co_u32_e32 v6, vcc, s8, v6
	v_addc_co_u32_e32 v7, vcc, v8, v7, vcc
	global_load_dwordx2 v[6:7], v[6:7], off
	s_waitcnt vmcnt(0)
	v_subrev_u32_e32 v6, s2, v6
	v_subrev_u32_e32 v13, s2, v7
	v_add_u32_e32 v6, v6, v0
	v_cmp_lt_i32_e64 s[0:1], v6, v13
	s_cbranch_scc0 .LBB177_10
; %bb.5:
	v_mov_b32_e32 v14, 0
	v_mov_b32_e32 v16, 0
	;; [unrolled: 1-line block ×4, first 2 shown]
	s_and_saveexec_b64 s[6:7], s[0:1]
	s_cbranch_execz .LBB177_9
; %bb.6:
	v_mad_u64_u32 v[7:8], s[8:9], v6, 14, 12
	v_mov_b32_e32 v10, 0
	s_mov_b64 s[8:9], 0
	v_mov_b32_e32 v18, s11
	v_mov_b32_e32 v19, s13
	;; [unrolled: 1-line block ×8, first 2 shown]
.LBB177_7:                              ; =>This Inner Loop Header: Depth=1
	v_ashrrev_i32_e32 v12, 31, v11
	v_lshlrev_b64 v[21:22], 2, v[11:12]
	v_add_u32_e32 v9, -12, v7
	v_lshlrev_b64 v[23:24], 3, v[9:10]
	v_add_co_u32_e32 v27, vcc, s10, v21
	v_addc_co_u32_e32 v28, vcc, v18, v22, vcc
	v_add_co_u32_e32 v31, vcc, s12, v23
	v_addc_co_u32_e32 v32, vcc, v19, v24, vcc
	global_load_dword v12, v[27:28], off
	global_load_dwordx4 v[21:24], v[31:32], off
	v_mov_b32_e32 v8, v10
	v_lshlrev_b64 v[25:26], 3, v[7:8]
	v_add_u32_e32 v9, -10, v7
	v_lshlrev_b64 v[8:9], 3, v[9:10]
	v_add_co_u32_e32 v33, vcc, s12, v25
	v_mov_b32_e32 v30, v10
	v_addc_co_u32_e32 v34, vcc, v19, v26, vcc
	v_add_co_u32_e32 v8, vcc, s12, v8
	v_addc_co_u32_e32 v9, vcc, v19, v9, vcc
	v_add_u32_e32 v11, 4, v11
	s_waitcnt vmcnt(1)
	v_subrev_u32_e32 v12, s2, v12
	v_mul_lo_u32 v29, v12, 7
	v_lshlrev_b64 v[25:26], 3, v[29:30]
	v_add_co_u32_e32 v30, vcc, s14, v25
	v_addc_co_u32_e32 v31, vcc, v20, v26, vcc
	global_load_dwordx4 v[25:28], v[33:34], off
	global_load_dwordx2 v[35:36], v[30:31], off
	s_waitcnt vmcnt(0)
	v_fmac_f32_e32 v16, v21, v35
	v_fmac_f32_e32 v14, v22, v35
	;; [unrolled: 1-line block ×4, first 2 shown]
	v_fma_f32 v12, -v22, v36, v16
	v_fmac_f32_e32 v14, v21, v36
	v_fma_f32 v32, -v24, v36, v17
	v_fmac_f32_e32 v15, v23, v36
	global_load_dwordx4 v[21:24], v[8:9], off
	v_add_u32_e32 v9, 1, v29
	v_lshlrev_b64 v[16:17], 3, v[9:10]
	v_add_u32_e32 v9, -8, v7
	v_add_co_u32_e32 v16, vcc, s14, v16
	v_addc_co_u32_e32 v17, vcc, v20, v17, vcc
	global_load_dwordx2 v[16:17], v[16:17], off
	v_lshlrev_b64 v[30:31], 3, v[9:10]
	v_add_u32_e32 v9, 2, v29
	v_add_co_u32_e32 v30, vcc, s12, v30
	v_addc_co_u32_e32 v31, vcc, v19, v31, vcc
	s_waitcnt vmcnt(0)
	v_fmac_f32_e32 v12, v21, v16
	v_fmac_f32_e32 v14, v22, v16
	;; [unrolled: 1-line block ×4, first 2 shown]
	v_fma_f32 v8, -v22, v17, v12
	v_fmac_f32_e32 v14, v21, v17
	v_fma_f32 v12, -v24, v17, v32
	v_fmac_f32_e32 v15, v23, v17
	v_lshlrev_b64 v[16:17], 3, v[9:10]
	v_add_u32_e32 v9, -6, v7
	v_add_co_u32_e32 v16, vcc, s14, v16
	v_addc_co_u32_e32 v17, vcc, v20, v17, vcc
	global_load_dwordx4 v[21:24], v[30:31], off
	global_load_dwordx2 v[34:35], v[16:17], off
	v_lshlrev_b64 v[32:33], 3, v[9:10]
	v_add_u32_e32 v9, 3, v29
	v_lshlrev_b64 v[16:17], 3, v[9:10]
	v_add_co_u32_e32 v30, vcc, s12, v32
	v_addc_co_u32_e32 v31, vcc, v19, v33, vcc
	v_add_co_u32_e32 v16, vcc, s14, v16
	v_addc_co_u32_e32 v17, vcc, v20, v17, vcc
	v_add_u32_e32 v9, -4, v7
	v_lshlrev_b64 v[32:33], 3, v[9:10]
	v_add_u32_e32 v9, 4, v29
	s_waitcnt vmcnt(0)
	v_fmac_f32_e32 v8, v21, v34
	v_fmac_f32_e32 v14, v22, v34
	;; [unrolled: 1-line block ×4, first 2 shown]
	v_fma_f32 v8, -v22, v35, v8
	v_fmac_f32_e32 v14, v21, v35
	v_fma_f32 v12, -v24, v35, v12
	v_fmac_f32_e32 v15, v23, v35
	global_load_dwordx4 v[21:24], v[30:31], off
	global_load_dwordx2 v[34:35], v[16:17], off
	v_lshlrev_b64 v[16:17], 3, v[9:10]
	v_add_co_u32_e32 v30, vcc, s12, v32
	v_add_u32_e32 v9, -2, v7
	v_addc_co_u32_e32 v31, vcc, v19, v33, vcc
	v_add_co_u32_e32 v16, vcc, s14, v16
	v_addc_co_u32_e32 v17, vcc, v20, v17, vcc
	v_add_u32_e32 v7, 56, v7
	s_waitcnt vmcnt(0)
	v_fmac_f32_e32 v8, v21, v34
	v_fmac_f32_e32 v14, v22, v34
	v_fma_f32 v8, -v22, v35, v8
	v_fmac_f32_e32 v14, v21, v35
	v_lshlrev_b64 v[21:22], 3, v[9:10]
	v_fmac_f32_e32 v12, v23, v34
	v_fmac_f32_e32 v15, v24, v34
	v_add_co_u32_e32 v34, vcc, s12, v21
	v_fma_f32 v12, -v24, v35, v12
	v_fmac_f32_e32 v15, v23, v35
	v_addc_co_u32_e32 v35, vcc, v19, v22, vcc
	global_load_dwordx4 v[21:24], v[30:31], off
	global_load_dwordx2 v[36:37], v[16:17], off
	v_add_u32_e32 v9, 5, v29
	v_lshlrev_b64 v[32:33], 3, v[9:10]
	v_add_u32_e32 v9, 6, v29
	v_add_co_u32_e32 v16, vcc, s14, v32
	v_addc_co_u32_e32 v17, vcc, v20, v33, vcc
	s_waitcnt vmcnt(0)
	v_fmac_f32_e32 v8, v21, v36
	v_fma_f32 v31, -v22, v37, v8
	v_lshlrev_b64 v[8:9], 3, v[9:10]
	v_fmac_f32_e32 v14, v22, v36
	v_fmac_f32_e32 v12, v23, v36
	v_fmac_f32_e32 v15, v24, v36
	v_fmac_f32_e32 v14, v21, v37
	v_fma_f32 v12, -v24, v37, v12
	v_fmac_f32_e32 v15, v23, v37
	global_load_dwordx4 v[21:24], v[34:35], off
	global_load_dwordx2 v[29:30], v[16:17], off
	v_add_co_u32_e32 v8, vcc, s14, v8
	v_addc_co_u32_e32 v9, vcc, v20, v9, vcc
	global_load_dwordx2 v[8:9], v[8:9], off
	v_cmp_ge_i32_e32 vcc, v11, v13
	s_or_b64 s[8:9], vcc, s[8:9]
	s_waitcnt vmcnt(1)
	v_fmac_f32_e32 v31, v21, v29
	v_fmac_f32_e32 v14, v22, v29
	;; [unrolled: 1-line block ×4, first 2 shown]
	v_fma_f32 v16, -v22, v30, v31
	v_fmac_f32_e32 v14, v21, v30
	v_fma_f32 v12, -v24, v30, v12
	v_fmac_f32_e32 v15, v23, v30
	s_waitcnt vmcnt(0)
	v_fmac_f32_e32 v16, v25, v8
	v_fmac_f32_e32 v14, v26, v8
	v_fmac_f32_e32 v12, v27, v8
	v_fmac_f32_e32 v15, v28, v8
	v_fma_f32 v16, -v26, v9, v16
	v_fmac_f32_e32 v14, v25, v9
	v_fma_f32 v17, -v28, v9, v12
	v_fmac_f32_e32 v15, v27, v9
	s_andn2_b64 exec, exec, s[8:9]
	s_cbranch_execnz .LBB177_7
; %bb.8:
	s_or_b64 exec, exec, s[8:9]
.LBB177_9:
	s_or_b64 exec, exec, s[6:7]
	s_cbranch_execz .LBB177_11
	s_branch .LBB177_16
.LBB177_10:
                                        ; implicit-def: $vgpr14
                                        ; implicit-def: $vgpr16
                                        ; implicit-def: $vgpr17
                                        ; implicit-def: $vgpr15
.LBB177_11:
	v_mov_b32_e32 v14, 0
	v_mov_b32_e32 v16, 0
	;; [unrolled: 1-line block ×4, first 2 shown]
	s_and_saveexec_b64 s[6:7], s[0:1]
	s_cbranch_execz .LBB177_15
; %bb.12:
	v_mad_u64_u32 v[8:9], s[0:1], v6, 14, 13
	v_mov_b32_e32 v11, 0
	s_mov_b64 s[0:1], 0
	v_mov_b32_e32 v12, s11
	v_mov_b32_e32 v18, s13
	;; [unrolled: 1-line block ×7, first 2 shown]
.LBB177_13:                             ; =>This Inner Loop Header: Depth=1
	v_ashrrev_i32_e32 v7, 31, v6
	v_lshlrev_b64 v[22:23], 2, v[6:7]
	v_add_u32_e32 v10, -13, v8
	v_add_co_u32_e32 v22, vcc, s10, v22
	v_addc_co_u32_e32 v23, vcc, v12, v23, vcc
	global_load_dword v7, v[22:23], off
	v_lshlrev_b64 v[24:25], 3, v[10:11]
	v_add_u32_e32 v20, -6, v8
	v_mov_b32_e32 v21, v11
	v_lshlrev_b64 v[20:21], 3, v[20:21]
	v_add_co_u32_e32 v24, vcc, s12, v24
	v_mov_b32_e32 v9, v11
	v_addc_co_u32_e32 v25, vcc, v18, v25, vcc
	v_lshlrev_b64 v[9:10], 3, v[8:9]
	v_add_co_u32_e32 v20, vcc, s12, v20
	v_addc_co_u32_e32 v21, vcc, v18, v21, vcc
	v_add_co_u32_e32 v26, vcc, s12, v9
	v_addc_co_u32_e32 v27, vcc, v18, v10, vcc
	v_mov_b32_e32 v10, v11
	v_add_u32_e32 v6, 4, v6
	s_waitcnt vmcnt(0)
	v_subrev_u32_e32 v7, s2, v7
	v_mul_lo_u32 v9, v7, 7
	v_lshlrev_b64 v[22:23], 3, v[9:10]
	v_add_u32_e32 v10, 1, v9
	v_add_co_u32_e32 v22, vcc, s14, v22
	v_addc_co_u32_e32 v23, vcc, v19, v23, vcc
	global_load_dwordx2 v[30:31], v[20:21], off
	global_load_dwordx2 v[32:33], v[22:23], off
	v_lshlrev_b64 v[28:29], 3, v[10:11]
	global_load_dwordx4 v[20:23], v[24:25], off
	v_add_co_u32_e32 v28, vcc, s14, v28
	v_addc_co_u32_e32 v29, vcc, v19, v29, vcc
	v_add_u32_e32 v10, -5, v8
	s_waitcnt vmcnt(1)
	v_fmac_f32_e32 v17, v30, v32
	v_fma_f32 v7, -v31, v33, v17
	s_waitcnt vmcnt(0)
	v_fmac_f32_e32 v16, v20, v32
	v_fmac_f32_e32 v14, v21, v32
	v_fma_f32 v21, -v21, v33, v16
	global_load_dwordx2 v[16:17], v[28:29], off
	v_fmac_f32_e32 v15, v31, v32
	v_fmac_f32_e32 v15, v30, v33
	v_fmac_f32_e32 v14, v20, v33
	s_waitcnt vmcnt(0)
	v_fmac_f32_e32 v21, v22, v16
	v_fma_f32 v30, -v23, v17, v21
	v_lshlrev_b64 v[20:21], 3, v[10:11]
	v_fmac_f32_e32 v14, v23, v16
	v_add_u32_e32 v10, -11, v8
	v_fmac_f32_e32 v14, v22, v17
	v_add_co_u32_e32 v20, vcc, s12, v20
	v_lshlrev_b64 v[22:23], 3, v[10:11]
	v_addc_co_u32_e32 v21, vcc, v18, v21, vcc
	v_add_co_u32_e32 v22, vcc, s12, v22
	v_addc_co_u32_e32 v23, vcc, v18, v23, vcc
	global_load_dwordx2 v[24:25], v[20:21], off
	global_load_dwordx2 v[28:29], v[22:23], off
	v_add_u32_e32 v10, 2, v9
	s_waitcnt vmcnt(1)
	v_fmac_f32_e32 v7, v24, v16
	v_fmac_f32_e32 v15, v25, v16
	v_fma_f32 v7, -v25, v17, v7
	v_fmac_f32_e32 v15, v24, v17
	v_lshlrev_b64 v[16:17], 3, v[10:11]
	v_add_u32_e32 v10, -4, v8
	v_add_co_u32_e32 v16, vcc, s14, v16
	v_addc_co_u32_e32 v17, vcc, v19, v17, vcc
	global_load_dwordx2 v[16:17], v[16:17], off
	v_lshlrev_b64 v[20:21], 3, v[10:11]
	v_add_u32_e32 v10, -10, v8
	v_add_co_u32_e32 v20, vcc, s12, v20
	v_lshlrev_b64 v[22:23], 3, v[10:11]
	v_addc_co_u32_e32 v21, vcc, v18, v21, vcc
	v_add_co_u32_e32 v22, vcc, s12, v22
	v_addc_co_u32_e32 v23, vcc, v18, v23, vcc
	v_add_u32_e32 v10, 3, v9
	s_waitcnt vmcnt(0)
	v_fmac_f32_e32 v30, v28, v16
	v_fmac_f32_e32 v14, v29, v16
	v_fma_f32 v30, -v29, v17, v30
	v_fmac_f32_e32 v14, v28, v17
	global_load_dwordx2 v[24:25], v[20:21], off
	global_load_dwordx2 v[28:29], v[22:23], off
	s_waitcnt vmcnt(1)
	v_fmac_f32_e32 v7, v24, v16
	v_fmac_f32_e32 v15, v25, v16
	v_fma_f32 v7, -v25, v17, v7
	v_fmac_f32_e32 v15, v24, v17
	v_lshlrev_b64 v[16:17], 3, v[10:11]
	v_add_u32_e32 v10, -3, v8
	v_add_co_u32_e32 v16, vcc, s14, v16
	v_addc_co_u32_e32 v17, vcc, v19, v17, vcc
	global_load_dwordx2 v[16:17], v[16:17], off
	v_lshlrev_b64 v[20:21], 3, v[10:11]
	v_add_u32_e32 v10, -9, v8
	v_add_co_u32_e32 v20, vcc, s12, v20
	v_lshlrev_b64 v[22:23], 3, v[10:11]
	v_addc_co_u32_e32 v21, vcc, v18, v21, vcc
	v_add_co_u32_e32 v22, vcc, s12, v22
	v_addc_co_u32_e32 v23, vcc, v18, v23, vcc
	v_add_u32_e32 v10, 4, v9
	s_waitcnt vmcnt(0)
	v_fmac_f32_e32 v30, v28, v16
	v_fmac_f32_e32 v14, v29, v16
	v_fma_f32 v30, -v29, v17, v30
	v_fmac_f32_e32 v14, v28, v17
	global_load_dwordx2 v[24:25], v[20:21], off
	global_load_dwordx2 v[28:29], v[22:23], off
	;; [unrolled: 25-line block ×3, first 2 shown]
	s_waitcnt vmcnt(1)
	v_fmac_f32_e32 v7, v24, v16
	v_fmac_f32_e32 v15, v25, v16
	v_fma_f32 v7, -v25, v17, v7
	v_fmac_f32_e32 v15, v24, v17
	v_lshlrev_b64 v[16:17], 3, v[10:11]
	v_add_u32_e32 v10, -1, v8
	v_add_co_u32_e32 v16, vcc, s14, v16
	v_addc_co_u32_e32 v17, vcc, v19, v17, vcc
	global_load_dwordx2 v[16:17], v[16:17], off
	v_lshlrev_b64 v[20:21], 3, v[10:11]
	v_add_u32_e32 v10, -7, v8
	v_lshlrev_b64 v[22:23], 3, v[10:11]
	v_add_co_u32_e32 v20, vcc, s12, v20
	v_add_u32_e32 v10, 6, v9
	v_addc_co_u32_e32 v21, vcc, v18, v21, vcc
	v_add_co_u32_e32 v22, vcc, s12, v22
	v_lshlrev_b64 v[9:10], 3, v[10:11]
	v_addc_co_u32_e32 v23, vcc, v18, v23, vcc
	v_add_co_u32_e32 v9, vcc, s14, v9
	v_addc_co_u32_e32 v10, vcc, v19, v10, vcc
	v_cmp_ge_i32_e32 vcc, v6, v13
	s_or_b64 s[0:1], vcc, s[0:1]
	v_add_u32_e32 v8, 56, v8
	s_waitcnt vmcnt(0)
	v_fmac_f32_e32 v30, v28, v16
	v_fmac_f32_e32 v14, v29, v16
	v_fma_f32 v34, -v29, v17, v30
	v_fmac_f32_e32 v14, v28, v17
	global_load_dwordx2 v[24:25], v[26:27], off
	global_load_dwordx2 v[28:29], v[20:21], off
	;; [unrolled: 1-line block ×4, first 2 shown]
	s_waitcnt vmcnt(2)
	v_fmac_f32_e32 v7, v28, v16
	v_fmac_f32_e32 v15, v29, v16
	v_fma_f32 v7, -v29, v17, v7
	v_fmac_f32_e32 v15, v28, v17
	s_waitcnt vmcnt(0)
	v_fmac_f32_e32 v34, v30, v32
	v_fmac_f32_e32 v14, v31, v32
	;; [unrolled: 1-line block ×4, first 2 shown]
	v_fma_f32 v16, -v31, v33, v34
	v_fmac_f32_e32 v14, v30, v33
	v_fma_f32 v17, -v25, v33, v7
	v_fmac_f32_e32 v15, v24, v33
	s_andn2_b64 exec, exec, s[0:1]
	s_cbranch_execnz .LBB177_13
; %bb.14:
	s_or_b64 exec, exec, s[0:1]
.LBB177_15:
	s_or_b64 exec, exec, s[6:7]
.LBB177_16:
	v_mov_b32_dpp v6, v16 row_shr:1 row_mask:0xf bank_mask:0xf
	v_mov_b32_dpp v8, v14 row_shr:1 row_mask:0xf bank_mask:0xf
	;; [unrolled: 1-line block ×4, first 2 shown]
	v_add_f32_e32 v6, v16, v6
	v_add_f32_e32 v8, v14, v8
	;; [unrolled: 1-line block ×4, first 2 shown]
	v_mov_b32_dpp v7, v6 row_shr:2 row_mask:0xf bank_mask:0xf
	v_mov_b32_dpp v9, v8 row_shr:2 row_mask:0xf bank_mask:0xf
	;; [unrolled: 1-line block ×4, first 2 shown]
	v_cmp_eq_u32_e32 vcc, 3, v0
	s_and_b64 exec, exec, vcc
	s_cbranch_execz .LBB177_21
; %bb.17:
	s_load_dwordx2 s[2:3], s[4:5], 0x38
	v_cmp_eq_f32_e32 vcc, 0, v3
	v_cmp_eq_f32_e64 s[0:1], 0, v4
	v_add_f32_e32 v7, v6, v7
	v_add_f32_e32 v8, v8, v9
	;; [unrolled: 1-line block ×4, first 2 shown]
	s_and_b64 s[0:1], vcc, s[0:1]
	s_and_saveexec_b64 s[4:5], s[0:1]
	s_xor_b64 s[0:1], exec, s[4:5]
	s_cbranch_execz .LBB177_19
; %bb.18:
	v_mul_f32_e64 v3, v8, -v2
	v_mul_f32_e32 v4, v1, v8
	v_fmac_f32_e32 v3, v1, v7
	v_fmac_f32_e32 v4, v2, v7
	v_lshlrev_b32_e32 v7, 1, v5
	v_ashrrev_i32_e32 v8, 31, v7
	v_lshlrev_b64 v[7:8], 3, v[7:8]
	s_waitcnt lgkmcnt(0)
	v_mov_b32_e32 v5, s3
	v_add_co_u32_e32 v7, vcc, s2, v7
	v_addc_co_u32_e32 v8, vcc, v5, v8, vcc
	v_mul_f32_e64 v5, v6, -v2
	v_mul_f32_e32 v6, v1, v6
	v_fmac_f32_e32 v5, v1, v0
	v_fmac_f32_e32 v6, v2, v0
	global_store_dwordx4 v[7:8], v[3:6], off
                                        ; implicit-def: $vgpr5
                                        ; implicit-def: $vgpr1_vgpr2
                                        ; implicit-def: $vgpr8
                                        ; implicit-def: $vgpr7
                                        ; implicit-def: $vgpr3_vgpr4
                                        ; implicit-def: $vgpr6
                                        ; implicit-def: $vgpr0
.LBB177_19:
	s_andn2_saveexec_b64 s[0:1], s[0:1]
	s_cbranch_execz .LBB177_21
; %bb.20:
	v_lshlrev_b32_e32 v9, 1, v5
	v_ashrrev_i32_e32 v10, 31, v9
	v_lshlrev_b64 v[9:10], 3, v[9:10]
	s_waitcnt lgkmcnt(0)
	v_mov_b32_e32 v5, s3
	v_add_co_u32_e32 v17, vcc, s2, v9
	v_addc_co_u32_e32 v18, vcc, v5, v10, vcc
	global_load_dwordx4 v[9:12], v[17:18], off
	v_mul_f32_e64 v5, v8, -v2
	v_mul_f32_e32 v14, v1, v8
	v_mul_f32_e64 v8, v6, -v2
	v_mul_f32_e32 v16, v1, v6
	v_fmac_f32_e32 v5, v1, v7
	v_fmac_f32_e32 v14, v2, v7
	;; [unrolled: 1-line block ×4, first 2 shown]
	s_waitcnt vmcnt(0)
	v_fmac_f32_e32 v5, v3, v9
	v_fmac_f32_e32 v14, v4, v9
	;; [unrolled: 1-line block ×4, first 2 shown]
	v_fma_f32 v13, -v4, v10, v5
	v_fmac_f32_e32 v14, v3, v10
	v_fma_f32 v15, -v4, v12, v8
	v_fmac_f32_e32 v16, v3, v12
	global_store_dwordx4 v[17:18], v[13:16], off
.LBB177_21:
	s_endpgm
	.section	.rodata,"a",@progbits
	.p2align	6, 0x0
	.amdhsa_kernel _ZN9rocsparseL19gebsrmvn_2xn_kernelILj128ELj7ELj4E21rocsparse_complex_numIfEEEvi20rocsparse_direction_NS_24const_host_device_scalarIT2_EEPKiS8_PKS5_SA_S6_PS5_21rocsparse_index_base_b
		.amdhsa_group_segment_fixed_size 0
		.amdhsa_private_segment_fixed_size 0
		.amdhsa_kernarg_size 72
		.amdhsa_user_sgpr_count 6
		.amdhsa_user_sgpr_private_segment_buffer 1
		.amdhsa_user_sgpr_dispatch_ptr 0
		.amdhsa_user_sgpr_queue_ptr 0
		.amdhsa_user_sgpr_kernarg_segment_ptr 1
		.amdhsa_user_sgpr_dispatch_id 0
		.amdhsa_user_sgpr_flat_scratch_init 0
		.amdhsa_user_sgpr_private_segment_size 0
		.amdhsa_uses_dynamic_stack 0
		.amdhsa_system_sgpr_private_segment_wavefront_offset 0
		.amdhsa_system_sgpr_workgroup_id_x 1
		.amdhsa_system_sgpr_workgroup_id_y 0
		.amdhsa_system_sgpr_workgroup_id_z 0
		.amdhsa_system_sgpr_workgroup_info 0
		.amdhsa_system_vgpr_workitem_id 0
		.amdhsa_next_free_vgpr 38
		.amdhsa_next_free_sgpr 16
		.amdhsa_reserve_vcc 1
		.amdhsa_reserve_flat_scratch 0
		.amdhsa_float_round_mode_32 0
		.amdhsa_float_round_mode_16_64 0
		.amdhsa_float_denorm_mode_32 3
		.amdhsa_float_denorm_mode_16_64 3
		.amdhsa_dx10_clamp 1
		.amdhsa_ieee_mode 1
		.amdhsa_fp16_overflow 0
		.amdhsa_exception_fp_ieee_invalid_op 0
		.amdhsa_exception_fp_denorm_src 0
		.amdhsa_exception_fp_ieee_div_zero 0
		.amdhsa_exception_fp_ieee_overflow 0
		.amdhsa_exception_fp_ieee_underflow 0
		.amdhsa_exception_fp_ieee_inexact 0
		.amdhsa_exception_int_div_zero 0
	.end_amdhsa_kernel
	.section	.text._ZN9rocsparseL19gebsrmvn_2xn_kernelILj128ELj7ELj4E21rocsparse_complex_numIfEEEvi20rocsparse_direction_NS_24const_host_device_scalarIT2_EEPKiS8_PKS5_SA_S6_PS5_21rocsparse_index_base_b,"axG",@progbits,_ZN9rocsparseL19gebsrmvn_2xn_kernelILj128ELj7ELj4E21rocsparse_complex_numIfEEEvi20rocsparse_direction_NS_24const_host_device_scalarIT2_EEPKiS8_PKS5_SA_S6_PS5_21rocsparse_index_base_b,comdat
.Lfunc_end177:
	.size	_ZN9rocsparseL19gebsrmvn_2xn_kernelILj128ELj7ELj4E21rocsparse_complex_numIfEEEvi20rocsparse_direction_NS_24const_host_device_scalarIT2_EEPKiS8_PKS5_SA_S6_PS5_21rocsparse_index_base_b, .Lfunc_end177-_ZN9rocsparseL19gebsrmvn_2xn_kernelILj128ELj7ELj4E21rocsparse_complex_numIfEEEvi20rocsparse_direction_NS_24const_host_device_scalarIT2_EEPKiS8_PKS5_SA_S6_PS5_21rocsparse_index_base_b
                                        ; -- End function
	.set _ZN9rocsparseL19gebsrmvn_2xn_kernelILj128ELj7ELj4E21rocsparse_complex_numIfEEEvi20rocsparse_direction_NS_24const_host_device_scalarIT2_EEPKiS8_PKS5_SA_S6_PS5_21rocsparse_index_base_b.num_vgpr, 38
	.set _ZN9rocsparseL19gebsrmvn_2xn_kernelILj128ELj7ELj4E21rocsparse_complex_numIfEEEvi20rocsparse_direction_NS_24const_host_device_scalarIT2_EEPKiS8_PKS5_SA_S6_PS5_21rocsparse_index_base_b.num_agpr, 0
	.set _ZN9rocsparseL19gebsrmvn_2xn_kernelILj128ELj7ELj4E21rocsparse_complex_numIfEEEvi20rocsparse_direction_NS_24const_host_device_scalarIT2_EEPKiS8_PKS5_SA_S6_PS5_21rocsparse_index_base_b.numbered_sgpr, 16
	.set _ZN9rocsparseL19gebsrmvn_2xn_kernelILj128ELj7ELj4E21rocsparse_complex_numIfEEEvi20rocsparse_direction_NS_24const_host_device_scalarIT2_EEPKiS8_PKS5_SA_S6_PS5_21rocsparse_index_base_b.num_named_barrier, 0
	.set _ZN9rocsparseL19gebsrmvn_2xn_kernelILj128ELj7ELj4E21rocsparse_complex_numIfEEEvi20rocsparse_direction_NS_24const_host_device_scalarIT2_EEPKiS8_PKS5_SA_S6_PS5_21rocsparse_index_base_b.private_seg_size, 0
	.set _ZN9rocsparseL19gebsrmvn_2xn_kernelILj128ELj7ELj4E21rocsparse_complex_numIfEEEvi20rocsparse_direction_NS_24const_host_device_scalarIT2_EEPKiS8_PKS5_SA_S6_PS5_21rocsparse_index_base_b.uses_vcc, 1
	.set _ZN9rocsparseL19gebsrmvn_2xn_kernelILj128ELj7ELj4E21rocsparse_complex_numIfEEEvi20rocsparse_direction_NS_24const_host_device_scalarIT2_EEPKiS8_PKS5_SA_S6_PS5_21rocsparse_index_base_b.uses_flat_scratch, 0
	.set _ZN9rocsparseL19gebsrmvn_2xn_kernelILj128ELj7ELj4E21rocsparse_complex_numIfEEEvi20rocsparse_direction_NS_24const_host_device_scalarIT2_EEPKiS8_PKS5_SA_S6_PS5_21rocsparse_index_base_b.has_dyn_sized_stack, 0
	.set _ZN9rocsparseL19gebsrmvn_2xn_kernelILj128ELj7ELj4E21rocsparse_complex_numIfEEEvi20rocsparse_direction_NS_24const_host_device_scalarIT2_EEPKiS8_PKS5_SA_S6_PS5_21rocsparse_index_base_b.has_recursion, 0
	.set _ZN9rocsparseL19gebsrmvn_2xn_kernelILj128ELj7ELj4E21rocsparse_complex_numIfEEEvi20rocsparse_direction_NS_24const_host_device_scalarIT2_EEPKiS8_PKS5_SA_S6_PS5_21rocsparse_index_base_b.has_indirect_call, 0
	.section	.AMDGPU.csdata,"",@progbits
; Kernel info:
; codeLenInByte = 2536
; TotalNumSgprs: 20
; NumVgprs: 38
; ScratchSize: 0
; MemoryBound: 0
; FloatMode: 240
; IeeeMode: 1
; LDSByteSize: 0 bytes/workgroup (compile time only)
; SGPRBlocks: 2
; VGPRBlocks: 9
; NumSGPRsForWavesPerEU: 20
; NumVGPRsForWavesPerEU: 38
; Occupancy: 6
; WaveLimiterHint : 1
; COMPUTE_PGM_RSRC2:SCRATCH_EN: 0
; COMPUTE_PGM_RSRC2:USER_SGPR: 6
; COMPUTE_PGM_RSRC2:TRAP_HANDLER: 0
; COMPUTE_PGM_RSRC2:TGID_X_EN: 1
; COMPUTE_PGM_RSRC2:TGID_Y_EN: 0
; COMPUTE_PGM_RSRC2:TGID_Z_EN: 0
; COMPUTE_PGM_RSRC2:TIDIG_COMP_CNT: 0
	.section	.text._ZN9rocsparseL19gebsrmvn_2xn_kernelILj128ELj7ELj8E21rocsparse_complex_numIfEEEvi20rocsparse_direction_NS_24const_host_device_scalarIT2_EEPKiS8_PKS5_SA_S6_PS5_21rocsparse_index_base_b,"axG",@progbits,_ZN9rocsparseL19gebsrmvn_2xn_kernelILj128ELj7ELj8E21rocsparse_complex_numIfEEEvi20rocsparse_direction_NS_24const_host_device_scalarIT2_EEPKiS8_PKS5_SA_S6_PS5_21rocsparse_index_base_b,comdat
	.globl	_ZN9rocsparseL19gebsrmvn_2xn_kernelILj128ELj7ELj8E21rocsparse_complex_numIfEEEvi20rocsparse_direction_NS_24const_host_device_scalarIT2_EEPKiS8_PKS5_SA_S6_PS5_21rocsparse_index_base_b ; -- Begin function _ZN9rocsparseL19gebsrmvn_2xn_kernelILj128ELj7ELj8E21rocsparse_complex_numIfEEEvi20rocsparse_direction_NS_24const_host_device_scalarIT2_EEPKiS8_PKS5_SA_S6_PS5_21rocsparse_index_base_b
	.p2align	8
	.type	_ZN9rocsparseL19gebsrmvn_2xn_kernelILj128ELj7ELj8E21rocsparse_complex_numIfEEEvi20rocsparse_direction_NS_24const_host_device_scalarIT2_EEPKiS8_PKS5_SA_S6_PS5_21rocsparse_index_base_b,@function
_ZN9rocsparseL19gebsrmvn_2xn_kernelILj128ELj7ELj8E21rocsparse_complex_numIfEEEvi20rocsparse_direction_NS_24const_host_device_scalarIT2_EEPKiS8_PKS5_SA_S6_PS5_21rocsparse_index_base_b: ; @_ZN9rocsparseL19gebsrmvn_2xn_kernelILj128ELj7ELj8E21rocsparse_complex_numIfEEEvi20rocsparse_direction_NS_24const_host_device_scalarIT2_EEPKiS8_PKS5_SA_S6_PS5_21rocsparse_index_base_b
; %bb.0:
	s_load_dwordx2 s[0:1], s[4:5], 0x8
	s_load_dwordx2 s[8:9], s[4:5], 0x30
	;; [unrolled: 1-line block ×3, first 2 shown]
	s_add_u32 s7, s4, 8
	s_addc_u32 s10, s5, 0
	s_add_u32 s11, s4, 48
	s_addc_u32 s12, s5, 0
	s_waitcnt lgkmcnt(0)
	s_bitcmp1_b32 s3, 0
	s_cselect_b32 s1, s10, s1
	s_cselect_b32 s0, s7, s0
	v_mov_b32_e32 v1, s0
	v_mov_b32_e32 v2, s1
	flat_load_dwordx2 v[1:2], v[1:2]
	s_cselect_b32 s0, s12, s9
	s_cselect_b32 s1, s11, s8
	v_mov_b32_e32 v3, s1
	v_mov_b32_e32 v4, s0
	flat_load_dwordx2 v[3:4], v[3:4]
	s_waitcnt vmcnt(0) lgkmcnt(0)
	v_cmp_eq_f32_e32 vcc, 0, v1
	v_cmp_eq_f32_e64 s[0:1], 0, v2
	s_and_b64 s[10:11], vcc, s[0:1]
	s_mov_b64 s[0:1], -1
	s_and_saveexec_b64 s[8:9], s[10:11]
; %bb.1:
	v_cmp_neq_f32_e32 vcc, 1.0, v3
	v_cmp_neq_f32_e64 s[0:1], 0, v4
	s_or_b64 s[0:1], vcc, s[0:1]
	s_orn2_b64 s[0:1], s[0:1], exec
; %bb.2:
	s_or_b64 exec, exec, s[8:9]
	s_and_saveexec_b64 s[8:9], s[0:1]
	s_cbranch_execz .LBB178_21
; %bb.3:
	s_load_dwordx2 s[0:1], s[4:5], 0x0
	v_lshrrev_b32_e32 v5, 3, v0
	v_lshl_or_b32 v5, s6, 4, v5
	s_waitcnt lgkmcnt(0)
	v_cmp_gt_i32_e32 vcc, s0, v5
	s_and_b64 exec, exec, vcc
	s_cbranch_execz .LBB178_21
; %bb.4:
	s_load_dwordx8 s[8:15], s[4:5], 0x10
	v_ashrrev_i32_e32 v6, 31, v5
	v_lshlrev_b64 v[6:7], 2, v[5:6]
	v_and_b32_e32 v0, 7, v0
	s_cmp_lg_u32 s1, 0
	s_waitcnt lgkmcnt(0)
	v_mov_b32_e32 v8, s9
	v_add_co_u32_e32 v6, vcc, s8, v6
	v_addc_co_u32_e32 v7, vcc, v8, v7, vcc
	global_load_dwordx2 v[6:7], v[6:7], off
	s_waitcnt vmcnt(0)
	v_subrev_u32_e32 v6, s2, v6
	v_subrev_u32_e32 v13, s2, v7
	v_add_u32_e32 v6, v6, v0
	v_cmp_lt_i32_e64 s[0:1], v6, v13
	s_cbranch_scc0 .LBB178_10
; %bb.5:
	v_mov_b32_e32 v14, 0
	v_mov_b32_e32 v16, 0
	;; [unrolled: 1-line block ×4, first 2 shown]
	s_and_saveexec_b64 s[6:7], s[0:1]
	s_cbranch_execz .LBB178_9
; %bb.6:
	v_mad_u64_u32 v[7:8], s[8:9], v6, 14, 12
	v_mov_b32_e32 v10, 0
	s_mov_b64 s[8:9], 0
	v_mov_b32_e32 v18, s11
	v_mov_b32_e32 v19, s13
	v_mov_b32_e32 v20, s15
	v_mov_b32_e32 v11, v6
	v_mov_b32_e32 v14, 0
	v_mov_b32_e32 v16, 0
	v_mov_b32_e32 v17, 0
	v_mov_b32_e32 v15, 0
.LBB178_7:                              ; =>This Inner Loop Header: Depth=1
	v_ashrrev_i32_e32 v12, 31, v11
	v_lshlrev_b64 v[21:22], 2, v[11:12]
	v_add_u32_e32 v9, -12, v7
	v_lshlrev_b64 v[23:24], 3, v[9:10]
	v_add_co_u32_e32 v27, vcc, s10, v21
	v_addc_co_u32_e32 v28, vcc, v18, v22, vcc
	v_add_co_u32_e32 v31, vcc, s12, v23
	v_addc_co_u32_e32 v32, vcc, v19, v24, vcc
	global_load_dword v12, v[27:28], off
	global_load_dwordx4 v[21:24], v[31:32], off
	v_mov_b32_e32 v8, v10
	v_lshlrev_b64 v[25:26], 3, v[7:8]
	v_add_u32_e32 v9, -10, v7
	v_lshlrev_b64 v[8:9], 3, v[9:10]
	v_add_co_u32_e32 v33, vcc, s12, v25
	v_mov_b32_e32 v30, v10
	v_addc_co_u32_e32 v34, vcc, v19, v26, vcc
	v_add_co_u32_e32 v8, vcc, s12, v8
	v_addc_co_u32_e32 v9, vcc, v19, v9, vcc
	v_add_u32_e32 v11, 8, v11
	s_waitcnt vmcnt(1)
	v_subrev_u32_e32 v12, s2, v12
	v_mul_lo_u32 v29, v12, 7
	v_lshlrev_b64 v[25:26], 3, v[29:30]
	v_add_co_u32_e32 v30, vcc, s14, v25
	v_addc_co_u32_e32 v31, vcc, v20, v26, vcc
	global_load_dwordx4 v[25:28], v[33:34], off
	global_load_dwordx2 v[35:36], v[30:31], off
	s_waitcnt vmcnt(0)
	v_fmac_f32_e32 v16, v21, v35
	v_fmac_f32_e32 v14, v22, v35
	;; [unrolled: 1-line block ×4, first 2 shown]
	v_fma_f32 v12, -v22, v36, v16
	v_fmac_f32_e32 v14, v21, v36
	v_fma_f32 v32, -v24, v36, v17
	v_fmac_f32_e32 v15, v23, v36
	global_load_dwordx4 v[21:24], v[8:9], off
	v_add_u32_e32 v9, 1, v29
	v_lshlrev_b64 v[16:17], 3, v[9:10]
	v_add_u32_e32 v9, -8, v7
	v_add_co_u32_e32 v16, vcc, s14, v16
	v_addc_co_u32_e32 v17, vcc, v20, v17, vcc
	global_load_dwordx2 v[16:17], v[16:17], off
	v_lshlrev_b64 v[30:31], 3, v[9:10]
	v_add_u32_e32 v9, 2, v29
	v_add_co_u32_e32 v30, vcc, s12, v30
	v_addc_co_u32_e32 v31, vcc, v19, v31, vcc
	s_waitcnt vmcnt(0)
	v_fmac_f32_e32 v12, v21, v16
	v_fmac_f32_e32 v14, v22, v16
	v_fmac_f32_e32 v32, v23, v16
	v_fmac_f32_e32 v15, v24, v16
	v_fma_f32 v8, -v22, v17, v12
	v_fmac_f32_e32 v14, v21, v17
	v_fma_f32 v12, -v24, v17, v32
	v_fmac_f32_e32 v15, v23, v17
	v_lshlrev_b64 v[16:17], 3, v[9:10]
	v_add_u32_e32 v9, -6, v7
	v_add_co_u32_e32 v16, vcc, s14, v16
	v_addc_co_u32_e32 v17, vcc, v20, v17, vcc
	global_load_dwordx4 v[21:24], v[30:31], off
	global_load_dwordx2 v[34:35], v[16:17], off
	v_lshlrev_b64 v[32:33], 3, v[9:10]
	v_add_u32_e32 v9, 3, v29
	v_lshlrev_b64 v[16:17], 3, v[9:10]
	v_add_co_u32_e32 v30, vcc, s12, v32
	v_addc_co_u32_e32 v31, vcc, v19, v33, vcc
	v_add_co_u32_e32 v16, vcc, s14, v16
	v_addc_co_u32_e32 v17, vcc, v20, v17, vcc
	v_add_u32_e32 v9, -4, v7
	v_lshlrev_b64 v[32:33], 3, v[9:10]
	v_add_u32_e32 v9, 4, v29
	s_waitcnt vmcnt(0)
	v_fmac_f32_e32 v8, v21, v34
	v_fmac_f32_e32 v14, v22, v34
	;; [unrolled: 1-line block ×4, first 2 shown]
	v_fma_f32 v8, -v22, v35, v8
	v_fmac_f32_e32 v14, v21, v35
	v_fma_f32 v12, -v24, v35, v12
	v_fmac_f32_e32 v15, v23, v35
	global_load_dwordx4 v[21:24], v[30:31], off
	global_load_dwordx2 v[34:35], v[16:17], off
	v_lshlrev_b64 v[16:17], 3, v[9:10]
	v_add_co_u32_e32 v30, vcc, s12, v32
	v_add_u32_e32 v9, -2, v7
	v_addc_co_u32_e32 v31, vcc, v19, v33, vcc
	v_add_co_u32_e32 v16, vcc, s14, v16
	v_addc_co_u32_e32 v17, vcc, v20, v17, vcc
	v_add_u32_e32 v7, 0x70, v7
	s_waitcnt vmcnt(0)
	v_fmac_f32_e32 v8, v21, v34
	v_fmac_f32_e32 v14, v22, v34
	v_fma_f32 v8, -v22, v35, v8
	v_fmac_f32_e32 v14, v21, v35
	v_lshlrev_b64 v[21:22], 3, v[9:10]
	v_fmac_f32_e32 v12, v23, v34
	v_fmac_f32_e32 v15, v24, v34
	v_add_co_u32_e32 v34, vcc, s12, v21
	v_fma_f32 v12, -v24, v35, v12
	v_fmac_f32_e32 v15, v23, v35
	v_addc_co_u32_e32 v35, vcc, v19, v22, vcc
	global_load_dwordx4 v[21:24], v[30:31], off
	global_load_dwordx2 v[36:37], v[16:17], off
	v_add_u32_e32 v9, 5, v29
	v_lshlrev_b64 v[32:33], 3, v[9:10]
	v_add_u32_e32 v9, 6, v29
	v_add_co_u32_e32 v16, vcc, s14, v32
	v_addc_co_u32_e32 v17, vcc, v20, v33, vcc
	s_waitcnt vmcnt(0)
	v_fmac_f32_e32 v8, v21, v36
	v_fma_f32 v31, -v22, v37, v8
	v_lshlrev_b64 v[8:9], 3, v[9:10]
	v_fmac_f32_e32 v14, v22, v36
	v_fmac_f32_e32 v12, v23, v36
	;; [unrolled: 1-line block ×4, first 2 shown]
	v_fma_f32 v12, -v24, v37, v12
	v_fmac_f32_e32 v15, v23, v37
	global_load_dwordx4 v[21:24], v[34:35], off
	global_load_dwordx2 v[29:30], v[16:17], off
	v_add_co_u32_e32 v8, vcc, s14, v8
	v_addc_co_u32_e32 v9, vcc, v20, v9, vcc
	global_load_dwordx2 v[8:9], v[8:9], off
	v_cmp_ge_i32_e32 vcc, v11, v13
	s_or_b64 s[8:9], vcc, s[8:9]
	s_waitcnt vmcnt(1)
	v_fmac_f32_e32 v31, v21, v29
	v_fmac_f32_e32 v14, v22, v29
	;; [unrolled: 1-line block ×4, first 2 shown]
	v_fma_f32 v16, -v22, v30, v31
	v_fmac_f32_e32 v14, v21, v30
	v_fma_f32 v12, -v24, v30, v12
	v_fmac_f32_e32 v15, v23, v30
	s_waitcnt vmcnt(0)
	v_fmac_f32_e32 v16, v25, v8
	v_fmac_f32_e32 v14, v26, v8
	;; [unrolled: 1-line block ×4, first 2 shown]
	v_fma_f32 v16, -v26, v9, v16
	v_fmac_f32_e32 v14, v25, v9
	v_fma_f32 v17, -v28, v9, v12
	v_fmac_f32_e32 v15, v27, v9
	s_andn2_b64 exec, exec, s[8:9]
	s_cbranch_execnz .LBB178_7
; %bb.8:
	s_or_b64 exec, exec, s[8:9]
.LBB178_9:
	s_or_b64 exec, exec, s[6:7]
	s_cbranch_execz .LBB178_11
	s_branch .LBB178_16
.LBB178_10:
                                        ; implicit-def: $vgpr14
                                        ; implicit-def: $vgpr16
                                        ; implicit-def: $vgpr17
                                        ; implicit-def: $vgpr15
.LBB178_11:
	v_mov_b32_e32 v14, 0
	v_mov_b32_e32 v16, 0
	;; [unrolled: 1-line block ×4, first 2 shown]
	s_and_saveexec_b64 s[6:7], s[0:1]
	s_cbranch_execz .LBB178_15
; %bb.12:
	v_mad_u64_u32 v[8:9], s[0:1], v6, 14, 13
	v_mov_b32_e32 v11, 0
	s_mov_b64 s[0:1], 0
	v_mov_b32_e32 v12, s11
	v_mov_b32_e32 v18, s13
	v_mov_b32_e32 v19, s15
	v_mov_b32_e32 v14, 0
	v_mov_b32_e32 v16, 0
	v_mov_b32_e32 v17, 0
	v_mov_b32_e32 v15, 0
.LBB178_13:                             ; =>This Inner Loop Header: Depth=1
	v_ashrrev_i32_e32 v7, 31, v6
	v_lshlrev_b64 v[22:23], 2, v[6:7]
	v_add_u32_e32 v10, -13, v8
	v_add_co_u32_e32 v22, vcc, s10, v22
	v_addc_co_u32_e32 v23, vcc, v12, v23, vcc
	global_load_dword v7, v[22:23], off
	v_lshlrev_b64 v[24:25], 3, v[10:11]
	v_add_u32_e32 v20, -6, v8
	v_mov_b32_e32 v21, v11
	v_lshlrev_b64 v[20:21], 3, v[20:21]
	v_add_co_u32_e32 v24, vcc, s12, v24
	v_mov_b32_e32 v9, v11
	v_addc_co_u32_e32 v25, vcc, v18, v25, vcc
	v_lshlrev_b64 v[9:10], 3, v[8:9]
	v_add_co_u32_e32 v20, vcc, s12, v20
	v_addc_co_u32_e32 v21, vcc, v18, v21, vcc
	v_add_co_u32_e32 v26, vcc, s12, v9
	v_addc_co_u32_e32 v27, vcc, v18, v10, vcc
	v_mov_b32_e32 v10, v11
	v_add_u32_e32 v6, 8, v6
	s_waitcnt vmcnt(0)
	v_subrev_u32_e32 v7, s2, v7
	v_mul_lo_u32 v9, v7, 7
	v_lshlrev_b64 v[22:23], 3, v[9:10]
	v_add_u32_e32 v10, 1, v9
	v_add_co_u32_e32 v22, vcc, s14, v22
	v_addc_co_u32_e32 v23, vcc, v19, v23, vcc
	global_load_dwordx2 v[30:31], v[20:21], off
	global_load_dwordx2 v[32:33], v[22:23], off
	v_lshlrev_b64 v[28:29], 3, v[10:11]
	global_load_dwordx4 v[20:23], v[24:25], off
	v_add_co_u32_e32 v28, vcc, s14, v28
	v_addc_co_u32_e32 v29, vcc, v19, v29, vcc
	v_add_u32_e32 v10, -5, v8
	s_waitcnt vmcnt(1)
	v_fmac_f32_e32 v17, v30, v32
	v_fma_f32 v7, -v31, v33, v17
	s_waitcnt vmcnt(0)
	v_fmac_f32_e32 v16, v20, v32
	v_fmac_f32_e32 v14, v21, v32
	v_fma_f32 v21, -v21, v33, v16
	global_load_dwordx2 v[16:17], v[28:29], off
	v_fmac_f32_e32 v15, v31, v32
	v_fmac_f32_e32 v15, v30, v33
	;; [unrolled: 1-line block ×3, first 2 shown]
	s_waitcnt vmcnt(0)
	v_fmac_f32_e32 v21, v22, v16
	v_fma_f32 v30, -v23, v17, v21
	v_lshlrev_b64 v[20:21], 3, v[10:11]
	v_fmac_f32_e32 v14, v23, v16
	v_add_u32_e32 v10, -11, v8
	v_fmac_f32_e32 v14, v22, v17
	v_add_co_u32_e32 v20, vcc, s12, v20
	v_lshlrev_b64 v[22:23], 3, v[10:11]
	v_addc_co_u32_e32 v21, vcc, v18, v21, vcc
	v_add_co_u32_e32 v22, vcc, s12, v22
	v_addc_co_u32_e32 v23, vcc, v18, v23, vcc
	global_load_dwordx2 v[24:25], v[20:21], off
	global_load_dwordx2 v[28:29], v[22:23], off
	v_add_u32_e32 v10, 2, v9
	s_waitcnt vmcnt(1)
	v_fmac_f32_e32 v7, v24, v16
	v_fmac_f32_e32 v15, v25, v16
	v_fma_f32 v7, -v25, v17, v7
	v_fmac_f32_e32 v15, v24, v17
	v_lshlrev_b64 v[16:17], 3, v[10:11]
	v_add_u32_e32 v10, -4, v8
	v_add_co_u32_e32 v16, vcc, s14, v16
	v_addc_co_u32_e32 v17, vcc, v19, v17, vcc
	global_load_dwordx2 v[16:17], v[16:17], off
	v_lshlrev_b64 v[20:21], 3, v[10:11]
	v_add_u32_e32 v10, -10, v8
	v_add_co_u32_e32 v20, vcc, s12, v20
	v_lshlrev_b64 v[22:23], 3, v[10:11]
	v_addc_co_u32_e32 v21, vcc, v18, v21, vcc
	v_add_co_u32_e32 v22, vcc, s12, v22
	v_addc_co_u32_e32 v23, vcc, v18, v23, vcc
	v_add_u32_e32 v10, 3, v9
	s_waitcnt vmcnt(0)
	v_fmac_f32_e32 v30, v28, v16
	v_fmac_f32_e32 v14, v29, v16
	v_fma_f32 v30, -v29, v17, v30
	v_fmac_f32_e32 v14, v28, v17
	global_load_dwordx2 v[24:25], v[20:21], off
	global_load_dwordx2 v[28:29], v[22:23], off
	s_waitcnt vmcnt(1)
	v_fmac_f32_e32 v7, v24, v16
	v_fmac_f32_e32 v15, v25, v16
	v_fma_f32 v7, -v25, v17, v7
	v_fmac_f32_e32 v15, v24, v17
	v_lshlrev_b64 v[16:17], 3, v[10:11]
	v_add_u32_e32 v10, -3, v8
	v_add_co_u32_e32 v16, vcc, s14, v16
	v_addc_co_u32_e32 v17, vcc, v19, v17, vcc
	global_load_dwordx2 v[16:17], v[16:17], off
	v_lshlrev_b64 v[20:21], 3, v[10:11]
	v_add_u32_e32 v10, -9, v8
	v_add_co_u32_e32 v20, vcc, s12, v20
	v_lshlrev_b64 v[22:23], 3, v[10:11]
	v_addc_co_u32_e32 v21, vcc, v18, v21, vcc
	v_add_co_u32_e32 v22, vcc, s12, v22
	v_addc_co_u32_e32 v23, vcc, v18, v23, vcc
	v_add_u32_e32 v10, 4, v9
	s_waitcnt vmcnt(0)
	v_fmac_f32_e32 v30, v28, v16
	v_fmac_f32_e32 v14, v29, v16
	v_fma_f32 v30, -v29, v17, v30
	v_fmac_f32_e32 v14, v28, v17
	global_load_dwordx2 v[24:25], v[20:21], off
	global_load_dwordx2 v[28:29], v[22:23], off
	;; [unrolled: 25-line block ×3, first 2 shown]
	s_waitcnt vmcnt(1)
	v_fmac_f32_e32 v7, v24, v16
	v_fmac_f32_e32 v15, v25, v16
	v_fma_f32 v7, -v25, v17, v7
	v_fmac_f32_e32 v15, v24, v17
	v_lshlrev_b64 v[16:17], 3, v[10:11]
	v_add_u32_e32 v10, -1, v8
	v_add_co_u32_e32 v16, vcc, s14, v16
	v_addc_co_u32_e32 v17, vcc, v19, v17, vcc
	global_load_dwordx2 v[16:17], v[16:17], off
	v_lshlrev_b64 v[20:21], 3, v[10:11]
	v_add_u32_e32 v10, -7, v8
	v_lshlrev_b64 v[22:23], 3, v[10:11]
	v_add_co_u32_e32 v20, vcc, s12, v20
	v_add_u32_e32 v10, 6, v9
	v_addc_co_u32_e32 v21, vcc, v18, v21, vcc
	v_add_co_u32_e32 v22, vcc, s12, v22
	v_lshlrev_b64 v[9:10], 3, v[10:11]
	v_addc_co_u32_e32 v23, vcc, v18, v23, vcc
	v_add_co_u32_e32 v9, vcc, s14, v9
	v_addc_co_u32_e32 v10, vcc, v19, v10, vcc
	v_cmp_ge_i32_e32 vcc, v6, v13
	s_or_b64 s[0:1], vcc, s[0:1]
	v_add_u32_e32 v8, 0x70, v8
	s_waitcnt vmcnt(0)
	v_fmac_f32_e32 v30, v28, v16
	v_fmac_f32_e32 v14, v29, v16
	v_fma_f32 v34, -v29, v17, v30
	v_fmac_f32_e32 v14, v28, v17
	global_load_dwordx2 v[24:25], v[26:27], off
	global_load_dwordx2 v[28:29], v[20:21], off
	global_load_dwordx2 v[30:31], v[22:23], off
	global_load_dwordx2 v[32:33], v[9:10], off
	s_waitcnt vmcnt(2)
	v_fmac_f32_e32 v7, v28, v16
	v_fmac_f32_e32 v15, v29, v16
	v_fma_f32 v7, -v29, v17, v7
	v_fmac_f32_e32 v15, v28, v17
	s_waitcnt vmcnt(0)
	v_fmac_f32_e32 v34, v30, v32
	v_fmac_f32_e32 v14, v31, v32
	;; [unrolled: 1-line block ×4, first 2 shown]
	v_fma_f32 v16, -v31, v33, v34
	v_fmac_f32_e32 v14, v30, v33
	v_fma_f32 v17, -v25, v33, v7
	v_fmac_f32_e32 v15, v24, v33
	s_andn2_b64 exec, exec, s[0:1]
	s_cbranch_execnz .LBB178_13
; %bb.14:
	s_or_b64 exec, exec, s[0:1]
.LBB178_15:
	s_or_b64 exec, exec, s[6:7]
.LBB178_16:
	v_mov_b32_dpp v6, v16 row_shr:1 row_mask:0xf bank_mask:0xf
	v_mov_b32_dpp v8, v14 row_shr:1 row_mask:0xf bank_mask:0xf
	;; [unrolled: 1-line block ×4, first 2 shown]
	v_add_f32_e32 v6, v16, v6
	v_add_f32_e32 v8, v14, v8
	;; [unrolled: 1-line block ×4, first 2 shown]
	v_mov_b32_dpp v7, v6 row_shr:2 row_mask:0xf bank_mask:0xf
	v_mov_b32_dpp v9, v8 row_shr:2 row_mask:0xf bank_mask:0xf
	;; [unrolled: 1-line block ×4, first 2 shown]
	v_add_f32_e32 v6, v6, v7
	v_add_f32_e32 v8, v8, v9
	;; [unrolled: 1-line block ×4, first 2 shown]
	v_mov_b32_dpp v7, v6 row_shr:4 row_mask:0xf bank_mask:0xe
	v_mov_b32_dpp v9, v8 row_shr:4 row_mask:0xf bank_mask:0xe
	;; [unrolled: 1-line block ×4, first 2 shown]
	v_cmp_eq_u32_e32 vcc, 7, v0
	s_and_b64 exec, exec, vcc
	s_cbranch_execz .LBB178_21
; %bb.17:
	s_load_dwordx2 s[2:3], s[4:5], 0x38
	v_cmp_eq_f32_e32 vcc, 0, v3
	v_cmp_eq_f32_e64 s[0:1], 0, v4
	v_add_f32_e32 v7, v6, v7
	v_add_f32_e32 v8, v8, v9
	;; [unrolled: 1-line block ×4, first 2 shown]
	s_and_b64 s[0:1], vcc, s[0:1]
	s_and_saveexec_b64 s[4:5], s[0:1]
	s_xor_b64 s[0:1], exec, s[4:5]
	s_cbranch_execz .LBB178_19
; %bb.18:
	v_mul_f32_e64 v3, v8, -v2
	v_mul_f32_e32 v4, v1, v8
	v_fmac_f32_e32 v3, v1, v7
	v_fmac_f32_e32 v4, v2, v7
	v_lshlrev_b32_e32 v7, 1, v5
	v_ashrrev_i32_e32 v8, 31, v7
	v_lshlrev_b64 v[7:8], 3, v[7:8]
	s_waitcnt lgkmcnt(0)
	v_mov_b32_e32 v5, s3
	v_add_co_u32_e32 v7, vcc, s2, v7
	v_addc_co_u32_e32 v8, vcc, v5, v8, vcc
	v_mul_f32_e64 v5, v6, -v2
	v_mul_f32_e32 v6, v1, v6
	v_fmac_f32_e32 v5, v1, v0
	v_fmac_f32_e32 v6, v2, v0
	global_store_dwordx4 v[7:8], v[3:6], off
                                        ; implicit-def: $vgpr5
                                        ; implicit-def: $vgpr1_vgpr2
                                        ; implicit-def: $vgpr8
                                        ; implicit-def: $vgpr7
                                        ; implicit-def: $vgpr3_vgpr4
                                        ; implicit-def: $vgpr6
                                        ; implicit-def: $vgpr0
.LBB178_19:
	s_andn2_saveexec_b64 s[0:1], s[0:1]
	s_cbranch_execz .LBB178_21
; %bb.20:
	v_lshlrev_b32_e32 v9, 1, v5
	v_ashrrev_i32_e32 v10, 31, v9
	v_lshlrev_b64 v[9:10], 3, v[9:10]
	s_waitcnt lgkmcnt(0)
	v_mov_b32_e32 v5, s3
	v_add_co_u32_e32 v17, vcc, s2, v9
	v_addc_co_u32_e32 v18, vcc, v5, v10, vcc
	global_load_dwordx4 v[9:12], v[17:18], off
	v_mul_f32_e64 v5, v8, -v2
	v_mul_f32_e32 v14, v1, v8
	v_mul_f32_e64 v8, v6, -v2
	v_mul_f32_e32 v16, v1, v6
	v_fmac_f32_e32 v5, v1, v7
	v_fmac_f32_e32 v14, v2, v7
	;; [unrolled: 1-line block ×4, first 2 shown]
	s_waitcnt vmcnt(0)
	v_fmac_f32_e32 v5, v3, v9
	v_fmac_f32_e32 v14, v4, v9
	;; [unrolled: 1-line block ×4, first 2 shown]
	v_fma_f32 v13, -v4, v10, v5
	v_fmac_f32_e32 v14, v3, v10
	v_fma_f32 v15, -v4, v12, v8
	v_fmac_f32_e32 v16, v3, v12
	global_store_dwordx4 v[17:18], v[13:16], off
.LBB178_21:
	s_endpgm
	.section	.rodata,"a",@progbits
	.p2align	6, 0x0
	.amdhsa_kernel _ZN9rocsparseL19gebsrmvn_2xn_kernelILj128ELj7ELj8E21rocsparse_complex_numIfEEEvi20rocsparse_direction_NS_24const_host_device_scalarIT2_EEPKiS8_PKS5_SA_S6_PS5_21rocsparse_index_base_b
		.amdhsa_group_segment_fixed_size 0
		.amdhsa_private_segment_fixed_size 0
		.amdhsa_kernarg_size 72
		.amdhsa_user_sgpr_count 6
		.amdhsa_user_sgpr_private_segment_buffer 1
		.amdhsa_user_sgpr_dispatch_ptr 0
		.amdhsa_user_sgpr_queue_ptr 0
		.amdhsa_user_sgpr_kernarg_segment_ptr 1
		.amdhsa_user_sgpr_dispatch_id 0
		.amdhsa_user_sgpr_flat_scratch_init 0
		.amdhsa_user_sgpr_private_segment_size 0
		.amdhsa_uses_dynamic_stack 0
		.amdhsa_system_sgpr_private_segment_wavefront_offset 0
		.amdhsa_system_sgpr_workgroup_id_x 1
		.amdhsa_system_sgpr_workgroup_id_y 0
		.amdhsa_system_sgpr_workgroup_id_z 0
		.amdhsa_system_sgpr_workgroup_info 0
		.amdhsa_system_vgpr_workitem_id 0
		.amdhsa_next_free_vgpr 38
		.amdhsa_next_free_sgpr 16
		.amdhsa_reserve_vcc 1
		.amdhsa_reserve_flat_scratch 0
		.amdhsa_float_round_mode_32 0
		.amdhsa_float_round_mode_16_64 0
		.amdhsa_float_denorm_mode_32 3
		.amdhsa_float_denorm_mode_16_64 3
		.amdhsa_dx10_clamp 1
		.amdhsa_ieee_mode 1
		.amdhsa_fp16_overflow 0
		.amdhsa_exception_fp_ieee_invalid_op 0
		.amdhsa_exception_fp_denorm_src 0
		.amdhsa_exception_fp_ieee_div_zero 0
		.amdhsa_exception_fp_ieee_overflow 0
		.amdhsa_exception_fp_ieee_underflow 0
		.amdhsa_exception_fp_ieee_inexact 0
		.amdhsa_exception_int_div_zero 0
	.end_amdhsa_kernel
	.section	.text._ZN9rocsparseL19gebsrmvn_2xn_kernelILj128ELj7ELj8E21rocsparse_complex_numIfEEEvi20rocsparse_direction_NS_24const_host_device_scalarIT2_EEPKiS8_PKS5_SA_S6_PS5_21rocsparse_index_base_b,"axG",@progbits,_ZN9rocsparseL19gebsrmvn_2xn_kernelILj128ELj7ELj8E21rocsparse_complex_numIfEEEvi20rocsparse_direction_NS_24const_host_device_scalarIT2_EEPKiS8_PKS5_SA_S6_PS5_21rocsparse_index_base_b,comdat
.Lfunc_end178:
	.size	_ZN9rocsparseL19gebsrmvn_2xn_kernelILj128ELj7ELj8E21rocsparse_complex_numIfEEEvi20rocsparse_direction_NS_24const_host_device_scalarIT2_EEPKiS8_PKS5_SA_S6_PS5_21rocsparse_index_base_b, .Lfunc_end178-_ZN9rocsparseL19gebsrmvn_2xn_kernelILj128ELj7ELj8E21rocsparse_complex_numIfEEEvi20rocsparse_direction_NS_24const_host_device_scalarIT2_EEPKiS8_PKS5_SA_S6_PS5_21rocsparse_index_base_b
                                        ; -- End function
	.set _ZN9rocsparseL19gebsrmvn_2xn_kernelILj128ELj7ELj8E21rocsparse_complex_numIfEEEvi20rocsparse_direction_NS_24const_host_device_scalarIT2_EEPKiS8_PKS5_SA_S6_PS5_21rocsparse_index_base_b.num_vgpr, 38
	.set _ZN9rocsparseL19gebsrmvn_2xn_kernelILj128ELj7ELj8E21rocsparse_complex_numIfEEEvi20rocsparse_direction_NS_24const_host_device_scalarIT2_EEPKiS8_PKS5_SA_S6_PS5_21rocsparse_index_base_b.num_agpr, 0
	.set _ZN9rocsparseL19gebsrmvn_2xn_kernelILj128ELj7ELj8E21rocsparse_complex_numIfEEEvi20rocsparse_direction_NS_24const_host_device_scalarIT2_EEPKiS8_PKS5_SA_S6_PS5_21rocsparse_index_base_b.numbered_sgpr, 16
	.set _ZN9rocsparseL19gebsrmvn_2xn_kernelILj128ELj7ELj8E21rocsparse_complex_numIfEEEvi20rocsparse_direction_NS_24const_host_device_scalarIT2_EEPKiS8_PKS5_SA_S6_PS5_21rocsparse_index_base_b.num_named_barrier, 0
	.set _ZN9rocsparseL19gebsrmvn_2xn_kernelILj128ELj7ELj8E21rocsparse_complex_numIfEEEvi20rocsparse_direction_NS_24const_host_device_scalarIT2_EEPKiS8_PKS5_SA_S6_PS5_21rocsparse_index_base_b.private_seg_size, 0
	.set _ZN9rocsparseL19gebsrmvn_2xn_kernelILj128ELj7ELj8E21rocsparse_complex_numIfEEEvi20rocsparse_direction_NS_24const_host_device_scalarIT2_EEPKiS8_PKS5_SA_S6_PS5_21rocsparse_index_base_b.uses_vcc, 1
	.set _ZN9rocsparseL19gebsrmvn_2xn_kernelILj128ELj7ELj8E21rocsparse_complex_numIfEEEvi20rocsparse_direction_NS_24const_host_device_scalarIT2_EEPKiS8_PKS5_SA_S6_PS5_21rocsparse_index_base_b.uses_flat_scratch, 0
	.set _ZN9rocsparseL19gebsrmvn_2xn_kernelILj128ELj7ELj8E21rocsparse_complex_numIfEEEvi20rocsparse_direction_NS_24const_host_device_scalarIT2_EEPKiS8_PKS5_SA_S6_PS5_21rocsparse_index_base_b.has_dyn_sized_stack, 0
	.set _ZN9rocsparseL19gebsrmvn_2xn_kernelILj128ELj7ELj8E21rocsparse_complex_numIfEEEvi20rocsparse_direction_NS_24const_host_device_scalarIT2_EEPKiS8_PKS5_SA_S6_PS5_21rocsparse_index_base_b.has_recursion, 0
	.set _ZN9rocsparseL19gebsrmvn_2xn_kernelILj128ELj7ELj8E21rocsparse_complex_numIfEEEvi20rocsparse_direction_NS_24const_host_device_scalarIT2_EEPKiS8_PKS5_SA_S6_PS5_21rocsparse_index_base_b.has_indirect_call, 0
	.section	.AMDGPU.csdata,"",@progbits
; Kernel info:
; codeLenInByte = 2592
; TotalNumSgprs: 20
; NumVgprs: 38
; ScratchSize: 0
; MemoryBound: 0
; FloatMode: 240
; IeeeMode: 1
; LDSByteSize: 0 bytes/workgroup (compile time only)
; SGPRBlocks: 2
; VGPRBlocks: 9
; NumSGPRsForWavesPerEU: 20
; NumVGPRsForWavesPerEU: 38
; Occupancy: 6
; WaveLimiterHint : 1
; COMPUTE_PGM_RSRC2:SCRATCH_EN: 0
; COMPUTE_PGM_RSRC2:USER_SGPR: 6
; COMPUTE_PGM_RSRC2:TRAP_HANDLER: 0
; COMPUTE_PGM_RSRC2:TGID_X_EN: 1
; COMPUTE_PGM_RSRC2:TGID_Y_EN: 0
; COMPUTE_PGM_RSRC2:TGID_Z_EN: 0
; COMPUTE_PGM_RSRC2:TIDIG_COMP_CNT: 0
	.section	.text._ZN9rocsparseL19gebsrmvn_2xn_kernelILj128ELj7ELj16E21rocsparse_complex_numIfEEEvi20rocsparse_direction_NS_24const_host_device_scalarIT2_EEPKiS8_PKS5_SA_S6_PS5_21rocsparse_index_base_b,"axG",@progbits,_ZN9rocsparseL19gebsrmvn_2xn_kernelILj128ELj7ELj16E21rocsparse_complex_numIfEEEvi20rocsparse_direction_NS_24const_host_device_scalarIT2_EEPKiS8_PKS5_SA_S6_PS5_21rocsparse_index_base_b,comdat
	.globl	_ZN9rocsparseL19gebsrmvn_2xn_kernelILj128ELj7ELj16E21rocsparse_complex_numIfEEEvi20rocsparse_direction_NS_24const_host_device_scalarIT2_EEPKiS8_PKS5_SA_S6_PS5_21rocsparse_index_base_b ; -- Begin function _ZN9rocsparseL19gebsrmvn_2xn_kernelILj128ELj7ELj16E21rocsparse_complex_numIfEEEvi20rocsparse_direction_NS_24const_host_device_scalarIT2_EEPKiS8_PKS5_SA_S6_PS5_21rocsparse_index_base_b
	.p2align	8
	.type	_ZN9rocsparseL19gebsrmvn_2xn_kernelILj128ELj7ELj16E21rocsparse_complex_numIfEEEvi20rocsparse_direction_NS_24const_host_device_scalarIT2_EEPKiS8_PKS5_SA_S6_PS5_21rocsparse_index_base_b,@function
_ZN9rocsparseL19gebsrmvn_2xn_kernelILj128ELj7ELj16E21rocsparse_complex_numIfEEEvi20rocsparse_direction_NS_24const_host_device_scalarIT2_EEPKiS8_PKS5_SA_S6_PS5_21rocsparse_index_base_b: ; @_ZN9rocsparseL19gebsrmvn_2xn_kernelILj128ELj7ELj16E21rocsparse_complex_numIfEEEvi20rocsparse_direction_NS_24const_host_device_scalarIT2_EEPKiS8_PKS5_SA_S6_PS5_21rocsparse_index_base_b
; %bb.0:
	s_load_dwordx2 s[0:1], s[4:5], 0x8
	s_load_dwordx2 s[8:9], s[4:5], 0x30
	;; [unrolled: 1-line block ×3, first 2 shown]
	s_add_u32 s7, s4, 8
	s_addc_u32 s10, s5, 0
	s_add_u32 s11, s4, 48
	s_addc_u32 s12, s5, 0
	s_waitcnt lgkmcnt(0)
	s_bitcmp1_b32 s3, 0
	s_cselect_b32 s1, s10, s1
	s_cselect_b32 s0, s7, s0
	v_mov_b32_e32 v1, s0
	v_mov_b32_e32 v2, s1
	flat_load_dwordx2 v[1:2], v[1:2]
	s_cselect_b32 s0, s12, s9
	s_cselect_b32 s1, s11, s8
	v_mov_b32_e32 v3, s1
	v_mov_b32_e32 v4, s0
	flat_load_dwordx2 v[3:4], v[3:4]
	s_waitcnt vmcnt(0) lgkmcnt(0)
	v_cmp_eq_f32_e32 vcc, 0, v1
	v_cmp_eq_f32_e64 s[0:1], 0, v2
	s_and_b64 s[10:11], vcc, s[0:1]
	s_mov_b64 s[0:1], -1
	s_and_saveexec_b64 s[8:9], s[10:11]
; %bb.1:
	v_cmp_neq_f32_e32 vcc, 1.0, v3
	v_cmp_neq_f32_e64 s[0:1], 0, v4
	s_or_b64 s[0:1], vcc, s[0:1]
	s_orn2_b64 s[0:1], s[0:1], exec
; %bb.2:
	s_or_b64 exec, exec, s[8:9]
	s_and_saveexec_b64 s[8:9], s[0:1]
	s_cbranch_execz .LBB179_21
; %bb.3:
	s_load_dwordx2 s[0:1], s[4:5], 0x0
	v_lshrrev_b32_e32 v5, 4, v0
	v_lshl_or_b32 v5, s6, 3, v5
	s_waitcnt lgkmcnt(0)
	v_cmp_gt_i32_e32 vcc, s0, v5
	s_and_b64 exec, exec, vcc
	s_cbranch_execz .LBB179_21
; %bb.4:
	s_load_dwordx8 s[8:15], s[4:5], 0x10
	v_ashrrev_i32_e32 v6, 31, v5
	v_lshlrev_b64 v[6:7], 2, v[5:6]
	v_and_b32_e32 v0, 15, v0
	s_cmp_lg_u32 s1, 0
	s_waitcnt lgkmcnt(0)
	v_mov_b32_e32 v8, s9
	v_add_co_u32_e32 v6, vcc, s8, v6
	v_addc_co_u32_e32 v7, vcc, v8, v7, vcc
	global_load_dwordx2 v[6:7], v[6:7], off
	s_waitcnt vmcnt(0)
	v_subrev_u32_e32 v6, s2, v6
	v_subrev_u32_e32 v13, s2, v7
	v_add_u32_e32 v6, v6, v0
	v_cmp_lt_i32_e64 s[0:1], v6, v13
	s_cbranch_scc0 .LBB179_10
; %bb.5:
	v_mov_b32_e32 v14, 0
	v_mov_b32_e32 v17, 0
	;; [unrolled: 1-line block ×4, first 2 shown]
	s_and_saveexec_b64 s[6:7], s[0:1]
	s_cbranch_execz .LBB179_9
; %bb.6:
	v_mad_u64_u32 v[7:8], s[8:9], v6, 14, 12
	v_mov_b32_e32 v10, 0
	s_mov_b64 s[8:9], 0
	v_mov_b32_e32 v18, s11
	v_mov_b32_e32 v19, s13
	;; [unrolled: 1-line block ×8, first 2 shown]
.LBB179_7:                              ; =>This Inner Loop Header: Depth=1
	v_ashrrev_i32_e32 v12, 31, v11
	v_lshlrev_b64 v[21:22], 2, v[11:12]
	v_add_u32_e32 v9, -12, v7
	v_lshlrev_b64 v[23:24], 3, v[9:10]
	v_add_co_u32_e32 v27, vcc, s10, v21
	v_addc_co_u32_e32 v28, vcc, v18, v22, vcc
	v_add_co_u32_e32 v31, vcc, s12, v23
	v_addc_co_u32_e32 v32, vcc, v19, v24, vcc
	global_load_dword v12, v[27:28], off
	global_load_dwordx4 v[21:24], v[31:32], off
	v_mov_b32_e32 v8, v10
	v_lshlrev_b64 v[25:26], 3, v[7:8]
	v_add_u32_e32 v9, -10, v7
	v_lshlrev_b64 v[8:9], 3, v[9:10]
	v_add_co_u32_e32 v33, vcc, s12, v25
	v_mov_b32_e32 v30, v10
	v_addc_co_u32_e32 v34, vcc, v19, v26, vcc
	v_add_co_u32_e32 v8, vcc, s12, v8
	v_addc_co_u32_e32 v9, vcc, v19, v9, vcc
	v_add_u32_e32 v11, 16, v11
	s_waitcnt vmcnt(1)
	v_subrev_u32_e32 v12, s2, v12
	v_mul_lo_u32 v29, v12, 7
	v_lshlrev_b64 v[25:26], 3, v[29:30]
	v_add_co_u32_e32 v30, vcc, s14, v25
	v_addc_co_u32_e32 v31, vcc, v20, v26, vcc
	global_load_dwordx4 v[25:28], v[33:34], off
	global_load_dwordx2 v[35:36], v[30:31], off
	s_waitcnt vmcnt(0)
	v_fmac_f32_e32 v17, v21, v35
	v_fmac_f32_e32 v14, v22, v35
	;; [unrolled: 1-line block ×4, first 2 shown]
	v_fma_f32 v12, -v22, v36, v17
	v_fmac_f32_e32 v14, v21, v36
	v_fma_f32 v32, -v24, v36, v16
	v_fmac_f32_e32 v15, v23, v36
	global_load_dwordx4 v[21:24], v[8:9], off
	v_add_u32_e32 v9, 1, v29
	v_lshlrev_b64 v[16:17], 3, v[9:10]
	v_add_u32_e32 v9, -8, v7
	v_add_co_u32_e32 v16, vcc, s14, v16
	v_addc_co_u32_e32 v17, vcc, v20, v17, vcc
	global_load_dwordx2 v[16:17], v[16:17], off
	v_lshlrev_b64 v[30:31], 3, v[9:10]
	v_add_u32_e32 v9, 2, v29
	v_add_co_u32_e32 v30, vcc, s12, v30
	v_addc_co_u32_e32 v31, vcc, v19, v31, vcc
	s_waitcnt vmcnt(0)
	v_fmac_f32_e32 v12, v21, v16
	v_fmac_f32_e32 v14, v22, v16
	;; [unrolled: 1-line block ×4, first 2 shown]
	v_fma_f32 v8, -v22, v17, v12
	v_fmac_f32_e32 v14, v21, v17
	v_fma_f32 v12, -v24, v17, v32
	v_fmac_f32_e32 v15, v23, v17
	v_lshlrev_b64 v[16:17], 3, v[9:10]
	v_add_u32_e32 v9, -6, v7
	v_add_co_u32_e32 v16, vcc, s14, v16
	v_addc_co_u32_e32 v17, vcc, v20, v17, vcc
	global_load_dwordx4 v[21:24], v[30:31], off
	global_load_dwordx2 v[34:35], v[16:17], off
	v_lshlrev_b64 v[32:33], 3, v[9:10]
	v_add_u32_e32 v9, 3, v29
	v_lshlrev_b64 v[16:17], 3, v[9:10]
	v_add_co_u32_e32 v30, vcc, s12, v32
	v_addc_co_u32_e32 v31, vcc, v19, v33, vcc
	v_add_co_u32_e32 v16, vcc, s14, v16
	v_addc_co_u32_e32 v17, vcc, v20, v17, vcc
	v_add_u32_e32 v9, -4, v7
	v_lshlrev_b64 v[32:33], 3, v[9:10]
	v_add_u32_e32 v9, 4, v29
	s_waitcnt vmcnt(0)
	v_fmac_f32_e32 v8, v21, v34
	v_fmac_f32_e32 v14, v22, v34
	;; [unrolled: 1-line block ×4, first 2 shown]
	v_fma_f32 v8, -v22, v35, v8
	v_fmac_f32_e32 v14, v21, v35
	v_fma_f32 v12, -v24, v35, v12
	v_fmac_f32_e32 v15, v23, v35
	global_load_dwordx4 v[21:24], v[30:31], off
	global_load_dwordx2 v[34:35], v[16:17], off
	v_lshlrev_b64 v[16:17], 3, v[9:10]
	v_add_co_u32_e32 v30, vcc, s12, v32
	v_add_u32_e32 v9, -2, v7
	v_addc_co_u32_e32 v31, vcc, v19, v33, vcc
	v_add_co_u32_e32 v16, vcc, s14, v16
	v_addc_co_u32_e32 v17, vcc, v20, v17, vcc
	v_add_u32_e32 v7, 0xe0, v7
	s_waitcnt vmcnt(0)
	v_fmac_f32_e32 v8, v21, v34
	v_fmac_f32_e32 v14, v22, v34
	v_fma_f32 v8, -v22, v35, v8
	v_fmac_f32_e32 v14, v21, v35
	v_lshlrev_b64 v[21:22], 3, v[9:10]
	v_fmac_f32_e32 v12, v23, v34
	v_fmac_f32_e32 v15, v24, v34
	v_add_co_u32_e32 v34, vcc, s12, v21
	v_fma_f32 v12, -v24, v35, v12
	v_fmac_f32_e32 v15, v23, v35
	v_addc_co_u32_e32 v35, vcc, v19, v22, vcc
	global_load_dwordx4 v[21:24], v[30:31], off
	global_load_dwordx2 v[36:37], v[16:17], off
	v_add_u32_e32 v9, 5, v29
	v_lshlrev_b64 v[32:33], 3, v[9:10]
	v_add_u32_e32 v9, 6, v29
	v_add_co_u32_e32 v16, vcc, s14, v32
	v_addc_co_u32_e32 v17, vcc, v20, v33, vcc
	s_waitcnt vmcnt(0)
	v_fmac_f32_e32 v8, v21, v36
	v_fma_f32 v31, -v22, v37, v8
	v_lshlrev_b64 v[8:9], 3, v[9:10]
	v_fmac_f32_e32 v14, v22, v36
	v_fmac_f32_e32 v12, v23, v36
	;; [unrolled: 1-line block ×4, first 2 shown]
	v_fma_f32 v12, -v24, v37, v12
	v_fmac_f32_e32 v15, v23, v37
	global_load_dwordx4 v[21:24], v[34:35], off
	global_load_dwordx2 v[29:30], v[16:17], off
	v_add_co_u32_e32 v8, vcc, s14, v8
	v_addc_co_u32_e32 v9, vcc, v20, v9, vcc
	global_load_dwordx2 v[8:9], v[8:9], off
	v_cmp_ge_i32_e32 vcc, v11, v13
	s_or_b64 s[8:9], vcc, s[8:9]
	s_waitcnt vmcnt(1)
	v_fmac_f32_e32 v31, v21, v29
	v_fmac_f32_e32 v14, v22, v29
	v_fmac_f32_e32 v12, v23, v29
	v_fmac_f32_e32 v15, v24, v29
	v_fma_f32 v16, -v22, v30, v31
	v_fmac_f32_e32 v14, v21, v30
	v_fma_f32 v12, -v24, v30, v12
	v_fmac_f32_e32 v15, v23, v30
	s_waitcnt vmcnt(0)
	v_fmac_f32_e32 v16, v25, v8
	v_fmac_f32_e32 v14, v26, v8
	;; [unrolled: 1-line block ×4, first 2 shown]
	v_fma_f32 v17, -v26, v9, v16
	v_fmac_f32_e32 v14, v25, v9
	v_fma_f32 v16, -v28, v9, v12
	v_fmac_f32_e32 v15, v27, v9
	s_andn2_b64 exec, exec, s[8:9]
	s_cbranch_execnz .LBB179_7
; %bb.8:
	s_or_b64 exec, exec, s[8:9]
.LBB179_9:
	s_or_b64 exec, exec, s[6:7]
	s_cbranch_execz .LBB179_11
	s_branch .LBB179_16
.LBB179_10:
                                        ; implicit-def: $vgpr14
                                        ; implicit-def: $vgpr17
                                        ; implicit-def: $vgpr16
                                        ; implicit-def: $vgpr15
.LBB179_11:
	v_mov_b32_e32 v14, 0
	v_mov_b32_e32 v17, 0
	;; [unrolled: 1-line block ×4, first 2 shown]
	s_and_saveexec_b64 s[6:7], s[0:1]
	s_cbranch_execz .LBB179_15
; %bb.12:
	v_mad_u64_u32 v[8:9], s[0:1], v6, 14, 13
	v_mov_b32_e32 v11, 0
	s_mov_b64 s[0:1], 0
	v_mov_b32_e32 v12, s11
	v_mov_b32_e32 v18, s13
	;; [unrolled: 1-line block ×7, first 2 shown]
.LBB179_13:                             ; =>This Inner Loop Header: Depth=1
	v_ashrrev_i32_e32 v7, 31, v6
	v_lshlrev_b64 v[22:23], 2, v[6:7]
	v_add_u32_e32 v10, -13, v8
	v_add_co_u32_e32 v22, vcc, s10, v22
	v_addc_co_u32_e32 v23, vcc, v12, v23, vcc
	global_load_dword v7, v[22:23], off
	v_lshlrev_b64 v[24:25], 3, v[10:11]
	v_add_u32_e32 v20, -6, v8
	v_mov_b32_e32 v21, v11
	v_lshlrev_b64 v[20:21], 3, v[20:21]
	v_add_co_u32_e32 v24, vcc, s12, v24
	v_mov_b32_e32 v9, v11
	v_addc_co_u32_e32 v25, vcc, v18, v25, vcc
	v_lshlrev_b64 v[9:10], 3, v[8:9]
	v_add_co_u32_e32 v20, vcc, s12, v20
	v_addc_co_u32_e32 v21, vcc, v18, v21, vcc
	v_add_co_u32_e32 v26, vcc, s12, v9
	v_addc_co_u32_e32 v27, vcc, v18, v10, vcc
	v_mov_b32_e32 v10, v11
	v_add_u32_e32 v6, 16, v6
	s_waitcnt vmcnt(0)
	v_subrev_u32_e32 v7, s2, v7
	v_mul_lo_u32 v9, v7, 7
	v_lshlrev_b64 v[22:23], 3, v[9:10]
	v_add_u32_e32 v10, 1, v9
	v_add_co_u32_e32 v22, vcc, s14, v22
	v_addc_co_u32_e32 v23, vcc, v19, v23, vcc
	global_load_dwordx2 v[30:31], v[20:21], off
	global_load_dwordx2 v[32:33], v[22:23], off
	v_lshlrev_b64 v[28:29], 3, v[10:11]
	global_load_dwordx4 v[20:23], v[24:25], off
	v_add_co_u32_e32 v28, vcc, s14, v28
	v_addc_co_u32_e32 v29, vcc, v19, v29, vcc
	v_add_u32_e32 v10, -5, v8
	s_waitcnt vmcnt(1)
	v_fmac_f32_e32 v16, v30, v32
	v_fma_f32 v7, -v31, v33, v16
	s_waitcnt vmcnt(0)
	v_fmac_f32_e32 v17, v20, v32
	v_fmac_f32_e32 v14, v21, v32
	v_fma_f32 v21, -v21, v33, v17
	global_load_dwordx2 v[16:17], v[28:29], off
	v_fmac_f32_e32 v15, v31, v32
	v_fmac_f32_e32 v15, v30, v33
	;; [unrolled: 1-line block ×3, first 2 shown]
	s_waitcnt vmcnt(0)
	v_fmac_f32_e32 v21, v22, v16
	v_fma_f32 v30, -v23, v17, v21
	v_lshlrev_b64 v[20:21], 3, v[10:11]
	v_fmac_f32_e32 v14, v23, v16
	v_add_u32_e32 v10, -11, v8
	v_fmac_f32_e32 v14, v22, v17
	v_add_co_u32_e32 v20, vcc, s12, v20
	v_lshlrev_b64 v[22:23], 3, v[10:11]
	v_addc_co_u32_e32 v21, vcc, v18, v21, vcc
	v_add_co_u32_e32 v22, vcc, s12, v22
	v_addc_co_u32_e32 v23, vcc, v18, v23, vcc
	global_load_dwordx2 v[24:25], v[20:21], off
	global_load_dwordx2 v[28:29], v[22:23], off
	v_add_u32_e32 v10, 2, v9
	s_waitcnt vmcnt(1)
	v_fmac_f32_e32 v7, v24, v16
	v_fmac_f32_e32 v15, v25, v16
	v_fma_f32 v7, -v25, v17, v7
	v_fmac_f32_e32 v15, v24, v17
	v_lshlrev_b64 v[16:17], 3, v[10:11]
	v_add_u32_e32 v10, -4, v8
	v_add_co_u32_e32 v16, vcc, s14, v16
	v_addc_co_u32_e32 v17, vcc, v19, v17, vcc
	global_load_dwordx2 v[16:17], v[16:17], off
	v_lshlrev_b64 v[20:21], 3, v[10:11]
	v_add_u32_e32 v10, -10, v8
	v_add_co_u32_e32 v20, vcc, s12, v20
	v_lshlrev_b64 v[22:23], 3, v[10:11]
	v_addc_co_u32_e32 v21, vcc, v18, v21, vcc
	v_add_co_u32_e32 v22, vcc, s12, v22
	v_addc_co_u32_e32 v23, vcc, v18, v23, vcc
	v_add_u32_e32 v10, 3, v9
	s_waitcnt vmcnt(0)
	v_fmac_f32_e32 v30, v28, v16
	v_fmac_f32_e32 v14, v29, v16
	v_fma_f32 v30, -v29, v17, v30
	v_fmac_f32_e32 v14, v28, v17
	global_load_dwordx2 v[24:25], v[20:21], off
	global_load_dwordx2 v[28:29], v[22:23], off
	s_waitcnt vmcnt(1)
	v_fmac_f32_e32 v7, v24, v16
	v_fmac_f32_e32 v15, v25, v16
	v_fma_f32 v7, -v25, v17, v7
	v_fmac_f32_e32 v15, v24, v17
	v_lshlrev_b64 v[16:17], 3, v[10:11]
	v_add_u32_e32 v10, -3, v8
	v_add_co_u32_e32 v16, vcc, s14, v16
	v_addc_co_u32_e32 v17, vcc, v19, v17, vcc
	global_load_dwordx2 v[16:17], v[16:17], off
	v_lshlrev_b64 v[20:21], 3, v[10:11]
	v_add_u32_e32 v10, -9, v8
	v_add_co_u32_e32 v20, vcc, s12, v20
	v_lshlrev_b64 v[22:23], 3, v[10:11]
	v_addc_co_u32_e32 v21, vcc, v18, v21, vcc
	v_add_co_u32_e32 v22, vcc, s12, v22
	v_addc_co_u32_e32 v23, vcc, v18, v23, vcc
	v_add_u32_e32 v10, 4, v9
	s_waitcnt vmcnt(0)
	v_fmac_f32_e32 v30, v28, v16
	v_fmac_f32_e32 v14, v29, v16
	v_fma_f32 v30, -v29, v17, v30
	v_fmac_f32_e32 v14, v28, v17
	global_load_dwordx2 v[24:25], v[20:21], off
	global_load_dwordx2 v[28:29], v[22:23], off
	;; [unrolled: 25-line block ×3, first 2 shown]
	s_waitcnt vmcnt(1)
	v_fmac_f32_e32 v7, v24, v16
	v_fmac_f32_e32 v15, v25, v16
	v_fma_f32 v7, -v25, v17, v7
	v_fmac_f32_e32 v15, v24, v17
	v_lshlrev_b64 v[16:17], 3, v[10:11]
	v_add_u32_e32 v10, -1, v8
	v_add_co_u32_e32 v16, vcc, s14, v16
	v_addc_co_u32_e32 v17, vcc, v19, v17, vcc
	global_load_dwordx2 v[16:17], v[16:17], off
	v_lshlrev_b64 v[20:21], 3, v[10:11]
	v_add_u32_e32 v10, -7, v8
	v_lshlrev_b64 v[22:23], 3, v[10:11]
	v_add_co_u32_e32 v20, vcc, s12, v20
	v_add_u32_e32 v10, 6, v9
	v_addc_co_u32_e32 v21, vcc, v18, v21, vcc
	v_add_co_u32_e32 v22, vcc, s12, v22
	v_lshlrev_b64 v[9:10], 3, v[10:11]
	v_addc_co_u32_e32 v23, vcc, v18, v23, vcc
	v_add_co_u32_e32 v9, vcc, s14, v9
	v_addc_co_u32_e32 v10, vcc, v19, v10, vcc
	v_cmp_ge_i32_e32 vcc, v6, v13
	s_or_b64 s[0:1], vcc, s[0:1]
	v_add_u32_e32 v8, 0xe0, v8
	s_waitcnt vmcnt(0)
	v_fmac_f32_e32 v30, v28, v16
	v_fmac_f32_e32 v14, v29, v16
	v_fma_f32 v34, -v29, v17, v30
	v_fmac_f32_e32 v14, v28, v17
	global_load_dwordx2 v[24:25], v[26:27], off
	global_load_dwordx2 v[28:29], v[20:21], off
	global_load_dwordx2 v[30:31], v[22:23], off
	global_load_dwordx2 v[32:33], v[9:10], off
	s_waitcnt vmcnt(2)
	v_fmac_f32_e32 v7, v28, v16
	v_fmac_f32_e32 v15, v29, v16
	v_fma_f32 v7, -v29, v17, v7
	v_fmac_f32_e32 v15, v28, v17
	s_waitcnt vmcnt(0)
	v_fmac_f32_e32 v34, v30, v32
	v_fmac_f32_e32 v14, v31, v32
	;; [unrolled: 1-line block ×4, first 2 shown]
	v_fma_f32 v17, -v31, v33, v34
	v_fmac_f32_e32 v14, v30, v33
	v_fma_f32 v16, -v25, v33, v7
	v_fmac_f32_e32 v15, v24, v33
	s_andn2_b64 exec, exec, s[0:1]
	s_cbranch_execnz .LBB179_13
; %bb.14:
	s_or_b64 exec, exec, s[0:1]
.LBB179_15:
	s_or_b64 exec, exec, s[6:7]
.LBB179_16:
	v_mov_b32_dpp v6, v17 row_shr:1 row_mask:0xf bank_mask:0xf
	v_mov_b32_dpp v8, v14 row_shr:1 row_mask:0xf bank_mask:0xf
	v_mov_b32_dpp v10, v16 row_shr:1 row_mask:0xf bank_mask:0xf
	v_mov_b32_dpp v12, v15 row_shr:1 row_mask:0xf bank_mask:0xf
	v_add_f32_e32 v6, v17, v6
	v_add_f32_e32 v8, v14, v8
	v_add_f32_e32 v10, v16, v10
	v_add_f32_e32 v12, v15, v12
	v_mov_b32_dpp v7, v6 row_shr:2 row_mask:0xf bank_mask:0xf
	v_mov_b32_dpp v9, v8 row_shr:2 row_mask:0xf bank_mask:0xf
	v_mov_b32_dpp v11, v10 row_shr:2 row_mask:0xf bank_mask:0xf
	v_mov_b32_dpp v13, v12 row_shr:2 row_mask:0xf bank_mask:0xf
	v_add_f32_e32 v6, v6, v7
	v_add_f32_e32 v8, v8, v9
	v_add_f32_e32 v10, v10, v11
	v_add_f32_e32 v12, v12, v13
	;; [unrolled: 8-line block ×3, first 2 shown]
	v_mov_b32_dpp v7, v6 row_shr:8 row_mask:0xf bank_mask:0xc
	v_mov_b32_dpp v9, v8 row_shr:8 row_mask:0xf bank_mask:0xc
	;; [unrolled: 1-line block ×4, first 2 shown]
	v_cmp_eq_u32_e32 vcc, 15, v0
	s_and_b64 exec, exec, vcc
	s_cbranch_execz .LBB179_21
; %bb.17:
	s_load_dwordx2 s[2:3], s[4:5], 0x38
	v_cmp_eq_f32_e32 vcc, 0, v3
	v_cmp_eq_f32_e64 s[0:1], 0, v4
	v_add_f32_e32 v7, v6, v7
	v_add_f32_e32 v8, v8, v9
	;; [unrolled: 1-line block ×4, first 2 shown]
	s_and_b64 s[0:1], vcc, s[0:1]
	s_and_saveexec_b64 s[4:5], s[0:1]
	s_xor_b64 s[0:1], exec, s[4:5]
	s_cbranch_execz .LBB179_19
; %bb.18:
	v_mul_f32_e64 v3, v8, -v2
	v_mul_f32_e32 v4, v1, v8
	v_fmac_f32_e32 v3, v1, v7
	v_fmac_f32_e32 v4, v2, v7
	v_lshlrev_b32_e32 v7, 1, v5
	v_ashrrev_i32_e32 v8, 31, v7
	v_lshlrev_b64 v[7:8], 3, v[7:8]
	s_waitcnt lgkmcnt(0)
	v_mov_b32_e32 v5, s3
	v_add_co_u32_e32 v7, vcc, s2, v7
	v_addc_co_u32_e32 v8, vcc, v5, v8, vcc
	v_mul_f32_e64 v5, v6, -v2
	v_mul_f32_e32 v6, v1, v6
	v_fmac_f32_e32 v5, v1, v0
	v_fmac_f32_e32 v6, v2, v0
	global_store_dwordx4 v[7:8], v[3:6], off
                                        ; implicit-def: $vgpr5
                                        ; implicit-def: $vgpr1_vgpr2
                                        ; implicit-def: $vgpr8
                                        ; implicit-def: $vgpr7
                                        ; implicit-def: $vgpr3_vgpr4
                                        ; implicit-def: $vgpr6
                                        ; implicit-def: $vgpr0
.LBB179_19:
	s_andn2_saveexec_b64 s[0:1], s[0:1]
	s_cbranch_execz .LBB179_21
; %bb.20:
	v_lshlrev_b32_e32 v9, 1, v5
	v_ashrrev_i32_e32 v10, 31, v9
	v_lshlrev_b64 v[9:10], 3, v[9:10]
	s_waitcnt lgkmcnt(0)
	v_mov_b32_e32 v5, s3
	v_add_co_u32_e32 v17, vcc, s2, v9
	v_addc_co_u32_e32 v18, vcc, v5, v10, vcc
	global_load_dwordx4 v[9:12], v[17:18], off
	v_mul_f32_e64 v5, v8, -v2
	v_mul_f32_e32 v14, v1, v8
	v_mul_f32_e64 v8, v6, -v2
	v_mul_f32_e32 v16, v1, v6
	v_fmac_f32_e32 v5, v1, v7
	v_fmac_f32_e32 v14, v2, v7
	;; [unrolled: 1-line block ×4, first 2 shown]
	s_waitcnt vmcnt(0)
	v_fmac_f32_e32 v5, v3, v9
	v_fmac_f32_e32 v14, v4, v9
	;; [unrolled: 1-line block ×4, first 2 shown]
	v_fma_f32 v13, -v4, v10, v5
	v_fmac_f32_e32 v14, v3, v10
	v_fma_f32 v15, -v4, v12, v8
	v_fmac_f32_e32 v16, v3, v12
	global_store_dwordx4 v[17:18], v[13:16], off
.LBB179_21:
	s_endpgm
	.section	.rodata,"a",@progbits
	.p2align	6, 0x0
	.amdhsa_kernel _ZN9rocsparseL19gebsrmvn_2xn_kernelILj128ELj7ELj16E21rocsparse_complex_numIfEEEvi20rocsparse_direction_NS_24const_host_device_scalarIT2_EEPKiS8_PKS5_SA_S6_PS5_21rocsparse_index_base_b
		.amdhsa_group_segment_fixed_size 0
		.amdhsa_private_segment_fixed_size 0
		.amdhsa_kernarg_size 72
		.amdhsa_user_sgpr_count 6
		.amdhsa_user_sgpr_private_segment_buffer 1
		.amdhsa_user_sgpr_dispatch_ptr 0
		.amdhsa_user_sgpr_queue_ptr 0
		.amdhsa_user_sgpr_kernarg_segment_ptr 1
		.amdhsa_user_sgpr_dispatch_id 0
		.amdhsa_user_sgpr_flat_scratch_init 0
		.amdhsa_user_sgpr_private_segment_size 0
		.amdhsa_uses_dynamic_stack 0
		.amdhsa_system_sgpr_private_segment_wavefront_offset 0
		.amdhsa_system_sgpr_workgroup_id_x 1
		.amdhsa_system_sgpr_workgroup_id_y 0
		.amdhsa_system_sgpr_workgroup_id_z 0
		.amdhsa_system_sgpr_workgroup_info 0
		.amdhsa_system_vgpr_workitem_id 0
		.amdhsa_next_free_vgpr 38
		.amdhsa_next_free_sgpr 16
		.amdhsa_reserve_vcc 1
		.amdhsa_reserve_flat_scratch 0
		.amdhsa_float_round_mode_32 0
		.amdhsa_float_round_mode_16_64 0
		.amdhsa_float_denorm_mode_32 3
		.amdhsa_float_denorm_mode_16_64 3
		.amdhsa_dx10_clamp 1
		.amdhsa_ieee_mode 1
		.amdhsa_fp16_overflow 0
		.amdhsa_exception_fp_ieee_invalid_op 0
		.amdhsa_exception_fp_denorm_src 0
		.amdhsa_exception_fp_ieee_div_zero 0
		.amdhsa_exception_fp_ieee_overflow 0
		.amdhsa_exception_fp_ieee_underflow 0
		.amdhsa_exception_fp_ieee_inexact 0
		.amdhsa_exception_int_div_zero 0
	.end_amdhsa_kernel
	.section	.text._ZN9rocsparseL19gebsrmvn_2xn_kernelILj128ELj7ELj16E21rocsparse_complex_numIfEEEvi20rocsparse_direction_NS_24const_host_device_scalarIT2_EEPKiS8_PKS5_SA_S6_PS5_21rocsparse_index_base_b,"axG",@progbits,_ZN9rocsparseL19gebsrmvn_2xn_kernelILj128ELj7ELj16E21rocsparse_complex_numIfEEEvi20rocsparse_direction_NS_24const_host_device_scalarIT2_EEPKiS8_PKS5_SA_S6_PS5_21rocsparse_index_base_b,comdat
.Lfunc_end179:
	.size	_ZN9rocsparseL19gebsrmvn_2xn_kernelILj128ELj7ELj16E21rocsparse_complex_numIfEEEvi20rocsparse_direction_NS_24const_host_device_scalarIT2_EEPKiS8_PKS5_SA_S6_PS5_21rocsparse_index_base_b, .Lfunc_end179-_ZN9rocsparseL19gebsrmvn_2xn_kernelILj128ELj7ELj16E21rocsparse_complex_numIfEEEvi20rocsparse_direction_NS_24const_host_device_scalarIT2_EEPKiS8_PKS5_SA_S6_PS5_21rocsparse_index_base_b
                                        ; -- End function
	.set _ZN9rocsparseL19gebsrmvn_2xn_kernelILj128ELj7ELj16E21rocsparse_complex_numIfEEEvi20rocsparse_direction_NS_24const_host_device_scalarIT2_EEPKiS8_PKS5_SA_S6_PS5_21rocsparse_index_base_b.num_vgpr, 38
	.set _ZN9rocsparseL19gebsrmvn_2xn_kernelILj128ELj7ELj16E21rocsparse_complex_numIfEEEvi20rocsparse_direction_NS_24const_host_device_scalarIT2_EEPKiS8_PKS5_SA_S6_PS5_21rocsparse_index_base_b.num_agpr, 0
	.set _ZN9rocsparseL19gebsrmvn_2xn_kernelILj128ELj7ELj16E21rocsparse_complex_numIfEEEvi20rocsparse_direction_NS_24const_host_device_scalarIT2_EEPKiS8_PKS5_SA_S6_PS5_21rocsparse_index_base_b.numbered_sgpr, 16
	.set _ZN9rocsparseL19gebsrmvn_2xn_kernelILj128ELj7ELj16E21rocsparse_complex_numIfEEEvi20rocsparse_direction_NS_24const_host_device_scalarIT2_EEPKiS8_PKS5_SA_S6_PS5_21rocsparse_index_base_b.num_named_barrier, 0
	.set _ZN9rocsparseL19gebsrmvn_2xn_kernelILj128ELj7ELj16E21rocsparse_complex_numIfEEEvi20rocsparse_direction_NS_24const_host_device_scalarIT2_EEPKiS8_PKS5_SA_S6_PS5_21rocsparse_index_base_b.private_seg_size, 0
	.set _ZN9rocsparseL19gebsrmvn_2xn_kernelILj128ELj7ELj16E21rocsparse_complex_numIfEEEvi20rocsparse_direction_NS_24const_host_device_scalarIT2_EEPKiS8_PKS5_SA_S6_PS5_21rocsparse_index_base_b.uses_vcc, 1
	.set _ZN9rocsparseL19gebsrmvn_2xn_kernelILj128ELj7ELj16E21rocsparse_complex_numIfEEEvi20rocsparse_direction_NS_24const_host_device_scalarIT2_EEPKiS8_PKS5_SA_S6_PS5_21rocsparse_index_base_b.uses_flat_scratch, 0
	.set _ZN9rocsparseL19gebsrmvn_2xn_kernelILj128ELj7ELj16E21rocsparse_complex_numIfEEEvi20rocsparse_direction_NS_24const_host_device_scalarIT2_EEPKiS8_PKS5_SA_S6_PS5_21rocsparse_index_base_b.has_dyn_sized_stack, 0
	.set _ZN9rocsparseL19gebsrmvn_2xn_kernelILj128ELj7ELj16E21rocsparse_complex_numIfEEEvi20rocsparse_direction_NS_24const_host_device_scalarIT2_EEPKiS8_PKS5_SA_S6_PS5_21rocsparse_index_base_b.has_recursion, 0
	.set _ZN9rocsparseL19gebsrmvn_2xn_kernelILj128ELj7ELj16E21rocsparse_complex_numIfEEEvi20rocsparse_direction_NS_24const_host_device_scalarIT2_EEPKiS8_PKS5_SA_S6_PS5_21rocsparse_index_base_b.has_indirect_call, 0
	.section	.AMDGPU.csdata,"",@progbits
; Kernel info:
; codeLenInByte = 2640
; TotalNumSgprs: 20
; NumVgprs: 38
; ScratchSize: 0
; MemoryBound: 0
; FloatMode: 240
; IeeeMode: 1
; LDSByteSize: 0 bytes/workgroup (compile time only)
; SGPRBlocks: 2
; VGPRBlocks: 9
; NumSGPRsForWavesPerEU: 20
; NumVGPRsForWavesPerEU: 38
; Occupancy: 6
; WaveLimiterHint : 1
; COMPUTE_PGM_RSRC2:SCRATCH_EN: 0
; COMPUTE_PGM_RSRC2:USER_SGPR: 6
; COMPUTE_PGM_RSRC2:TRAP_HANDLER: 0
; COMPUTE_PGM_RSRC2:TGID_X_EN: 1
; COMPUTE_PGM_RSRC2:TGID_Y_EN: 0
; COMPUTE_PGM_RSRC2:TGID_Z_EN: 0
; COMPUTE_PGM_RSRC2:TIDIG_COMP_CNT: 0
	.section	.text._ZN9rocsparseL19gebsrmvn_2xn_kernelILj128ELj7ELj32E21rocsparse_complex_numIfEEEvi20rocsparse_direction_NS_24const_host_device_scalarIT2_EEPKiS8_PKS5_SA_S6_PS5_21rocsparse_index_base_b,"axG",@progbits,_ZN9rocsparseL19gebsrmvn_2xn_kernelILj128ELj7ELj32E21rocsparse_complex_numIfEEEvi20rocsparse_direction_NS_24const_host_device_scalarIT2_EEPKiS8_PKS5_SA_S6_PS5_21rocsparse_index_base_b,comdat
	.globl	_ZN9rocsparseL19gebsrmvn_2xn_kernelILj128ELj7ELj32E21rocsparse_complex_numIfEEEvi20rocsparse_direction_NS_24const_host_device_scalarIT2_EEPKiS8_PKS5_SA_S6_PS5_21rocsparse_index_base_b ; -- Begin function _ZN9rocsparseL19gebsrmvn_2xn_kernelILj128ELj7ELj32E21rocsparse_complex_numIfEEEvi20rocsparse_direction_NS_24const_host_device_scalarIT2_EEPKiS8_PKS5_SA_S6_PS5_21rocsparse_index_base_b
	.p2align	8
	.type	_ZN9rocsparseL19gebsrmvn_2xn_kernelILj128ELj7ELj32E21rocsparse_complex_numIfEEEvi20rocsparse_direction_NS_24const_host_device_scalarIT2_EEPKiS8_PKS5_SA_S6_PS5_21rocsparse_index_base_b,@function
_ZN9rocsparseL19gebsrmvn_2xn_kernelILj128ELj7ELj32E21rocsparse_complex_numIfEEEvi20rocsparse_direction_NS_24const_host_device_scalarIT2_EEPKiS8_PKS5_SA_S6_PS5_21rocsparse_index_base_b: ; @_ZN9rocsparseL19gebsrmvn_2xn_kernelILj128ELj7ELj32E21rocsparse_complex_numIfEEEvi20rocsparse_direction_NS_24const_host_device_scalarIT2_EEPKiS8_PKS5_SA_S6_PS5_21rocsparse_index_base_b
; %bb.0:
	s_load_dwordx2 s[0:1], s[4:5], 0x8
	s_load_dwordx2 s[8:9], s[4:5], 0x30
	s_load_dwordx2 s[2:3], s[4:5], 0x40
	s_add_u32 s7, s4, 8
	s_addc_u32 s10, s5, 0
	s_add_u32 s11, s4, 48
	s_addc_u32 s12, s5, 0
	s_waitcnt lgkmcnt(0)
	s_bitcmp1_b32 s3, 0
	s_cselect_b32 s1, s10, s1
	s_cselect_b32 s0, s7, s0
	v_mov_b32_e32 v1, s0
	v_mov_b32_e32 v2, s1
	flat_load_dwordx2 v[1:2], v[1:2]
	s_cselect_b32 s0, s12, s9
	s_cselect_b32 s1, s11, s8
	v_mov_b32_e32 v3, s1
	v_mov_b32_e32 v4, s0
	flat_load_dwordx2 v[3:4], v[3:4]
	s_waitcnt vmcnt(0) lgkmcnt(0)
	v_cmp_eq_f32_e32 vcc, 0, v1
	v_cmp_eq_f32_e64 s[0:1], 0, v2
	s_and_b64 s[10:11], vcc, s[0:1]
	s_mov_b64 s[0:1], -1
	s_and_saveexec_b64 s[8:9], s[10:11]
; %bb.1:
	v_cmp_neq_f32_e32 vcc, 1.0, v3
	v_cmp_neq_f32_e64 s[0:1], 0, v4
	s_or_b64 s[0:1], vcc, s[0:1]
	s_orn2_b64 s[0:1], s[0:1], exec
; %bb.2:
	s_or_b64 exec, exec, s[8:9]
	s_and_saveexec_b64 s[8:9], s[0:1]
	s_cbranch_execz .LBB180_21
; %bb.3:
	s_load_dwordx2 s[0:1], s[4:5], 0x0
	v_lshrrev_b32_e32 v5, 5, v0
	v_lshl_or_b32 v5, s6, 2, v5
	s_waitcnt lgkmcnt(0)
	v_cmp_gt_i32_e32 vcc, s0, v5
	s_and_b64 exec, exec, vcc
	s_cbranch_execz .LBB180_21
; %bb.4:
	s_load_dwordx8 s[8:15], s[4:5], 0x10
	v_ashrrev_i32_e32 v6, 31, v5
	v_lshlrev_b64 v[6:7], 2, v[5:6]
	v_and_b32_e32 v0, 31, v0
	s_cmp_lg_u32 s1, 0
	s_waitcnt lgkmcnt(0)
	v_mov_b32_e32 v8, s9
	v_add_co_u32_e32 v6, vcc, s8, v6
	v_addc_co_u32_e32 v7, vcc, v8, v7, vcc
	global_load_dwordx2 v[6:7], v[6:7], off
	s_waitcnt vmcnt(0)
	v_subrev_u32_e32 v6, s2, v6
	v_subrev_u32_e32 v15, s2, v7
	v_add_u32_e32 v6, v6, v0
	v_cmp_lt_i32_e64 s[0:1], v6, v15
	s_cbranch_scc0 .LBB180_10
; %bb.5:
	v_mov_b32_e32 v14, 0
	v_mov_b32_e32 v17, 0
	;; [unrolled: 1-line block ×4, first 2 shown]
	s_and_saveexec_b64 s[6:7], s[0:1]
	s_cbranch_execz .LBB180_9
; %bb.6:
	v_mad_u64_u32 v[7:8], s[8:9], v6, 14, 12
	v_mov_b32_e32 v10, 0
	s_mov_b64 s[8:9], 0
	v_mov_b32_e32 v18, s11
	v_mov_b32_e32 v19, s13
	;; [unrolled: 1-line block ×8, first 2 shown]
.LBB180_7:                              ; =>This Inner Loop Header: Depth=1
	v_ashrrev_i32_e32 v12, 31, v11
	v_lshlrev_b64 v[21:22], 2, v[11:12]
	v_add_u32_e32 v9, -12, v7
	v_lshlrev_b64 v[23:24], 3, v[9:10]
	v_add_co_u32_e32 v27, vcc, s10, v21
	v_addc_co_u32_e32 v28, vcc, v18, v22, vcc
	v_add_co_u32_e32 v31, vcc, s12, v23
	v_addc_co_u32_e32 v32, vcc, v19, v24, vcc
	global_load_dword v12, v[27:28], off
	global_load_dwordx4 v[21:24], v[31:32], off
	v_mov_b32_e32 v8, v10
	v_lshlrev_b64 v[25:26], 3, v[7:8]
	v_add_u32_e32 v9, -10, v7
	v_lshlrev_b64 v[8:9], 3, v[9:10]
	v_add_co_u32_e32 v33, vcc, s12, v25
	v_mov_b32_e32 v30, v10
	v_addc_co_u32_e32 v34, vcc, v19, v26, vcc
	v_add_co_u32_e32 v8, vcc, s12, v8
	v_addc_co_u32_e32 v9, vcc, v19, v9, vcc
	v_add_u32_e32 v11, 32, v11
	s_waitcnt vmcnt(1)
	v_subrev_u32_e32 v12, s2, v12
	v_mul_lo_u32 v29, v12, 7
	v_lshlrev_b64 v[25:26], 3, v[29:30]
	v_add_co_u32_e32 v30, vcc, s14, v25
	v_addc_co_u32_e32 v31, vcc, v20, v26, vcc
	global_load_dwordx4 v[25:28], v[33:34], off
	global_load_dwordx2 v[35:36], v[30:31], off
	s_waitcnt vmcnt(0)
	v_fmac_f32_e32 v17, v21, v35
	v_fmac_f32_e32 v14, v22, v35
	;; [unrolled: 1-line block ×4, first 2 shown]
	v_fma_f32 v12, -v22, v36, v17
	v_fmac_f32_e32 v14, v21, v36
	v_fma_f32 v32, -v24, v36, v16
	v_fmac_f32_e32 v13, v23, v36
	global_load_dwordx4 v[21:24], v[8:9], off
	v_add_u32_e32 v9, 1, v29
	v_lshlrev_b64 v[16:17], 3, v[9:10]
	v_add_u32_e32 v9, -8, v7
	v_add_co_u32_e32 v16, vcc, s14, v16
	v_addc_co_u32_e32 v17, vcc, v20, v17, vcc
	global_load_dwordx2 v[16:17], v[16:17], off
	v_lshlrev_b64 v[30:31], 3, v[9:10]
	v_add_u32_e32 v9, 2, v29
	v_add_co_u32_e32 v30, vcc, s12, v30
	v_addc_co_u32_e32 v31, vcc, v19, v31, vcc
	s_waitcnt vmcnt(0)
	v_fmac_f32_e32 v12, v21, v16
	v_fmac_f32_e32 v14, v22, v16
	;; [unrolled: 1-line block ×4, first 2 shown]
	v_fma_f32 v8, -v22, v17, v12
	v_fmac_f32_e32 v14, v21, v17
	v_fma_f32 v12, -v24, v17, v32
	v_fmac_f32_e32 v13, v23, v17
	v_lshlrev_b64 v[16:17], 3, v[9:10]
	v_add_u32_e32 v9, -6, v7
	v_add_co_u32_e32 v16, vcc, s14, v16
	v_addc_co_u32_e32 v17, vcc, v20, v17, vcc
	global_load_dwordx4 v[21:24], v[30:31], off
	global_load_dwordx2 v[34:35], v[16:17], off
	v_lshlrev_b64 v[32:33], 3, v[9:10]
	v_add_u32_e32 v9, 3, v29
	v_lshlrev_b64 v[16:17], 3, v[9:10]
	v_add_co_u32_e32 v30, vcc, s12, v32
	v_addc_co_u32_e32 v31, vcc, v19, v33, vcc
	v_add_co_u32_e32 v16, vcc, s14, v16
	v_addc_co_u32_e32 v17, vcc, v20, v17, vcc
	v_add_u32_e32 v9, -4, v7
	v_lshlrev_b64 v[32:33], 3, v[9:10]
	v_add_u32_e32 v9, 4, v29
	s_waitcnt vmcnt(0)
	v_fmac_f32_e32 v8, v21, v34
	v_fmac_f32_e32 v14, v22, v34
	;; [unrolled: 1-line block ×4, first 2 shown]
	v_fma_f32 v8, -v22, v35, v8
	v_fmac_f32_e32 v14, v21, v35
	v_fma_f32 v12, -v24, v35, v12
	v_fmac_f32_e32 v13, v23, v35
	global_load_dwordx4 v[21:24], v[30:31], off
	global_load_dwordx2 v[34:35], v[16:17], off
	v_lshlrev_b64 v[16:17], 3, v[9:10]
	v_add_co_u32_e32 v30, vcc, s12, v32
	v_add_u32_e32 v9, -2, v7
	v_addc_co_u32_e32 v31, vcc, v19, v33, vcc
	v_add_co_u32_e32 v16, vcc, s14, v16
	v_addc_co_u32_e32 v17, vcc, v20, v17, vcc
	v_add_u32_e32 v7, 0x1c0, v7
	s_waitcnt vmcnt(0)
	v_fmac_f32_e32 v8, v21, v34
	v_fmac_f32_e32 v14, v22, v34
	v_fma_f32 v8, -v22, v35, v8
	v_fmac_f32_e32 v14, v21, v35
	v_lshlrev_b64 v[21:22], 3, v[9:10]
	v_fmac_f32_e32 v12, v23, v34
	v_fmac_f32_e32 v13, v24, v34
	v_add_co_u32_e32 v34, vcc, s12, v21
	v_fma_f32 v12, -v24, v35, v12
	v_fmac_f32_e32 v13, v23, v35
	v_addc_co_u32_e32 v35, vcc, v19, v22, vcc
	global_load_dwordx4 v[21:24], v[30:31], off
	global_load_dwordx2 v[36:37], v[16:17], off
	v_add_u32_e32 v9, 5, v29
	v_lshlrev_b64 v[32:33], 3, v[9:10]
	v_add_u32_e32 v9, 6, v29
	v_add_co_u32_e32 v16, vcc, s14, v32
	v_addc_co_u32_e32 v17, vcc, v20, v33, vcc
	s_waitcnt vmcnt(0)
	v_fmac_f32_e32 v8, v21, v36
	v_fma_f32 v31, -v22, v37, v8
	v_lshlrev_b64 v[8:9], 3, v[9:10]
	v_fmac_f32_e32 v14, v22, v36
	v_fmac_f32_e32 v12, v23, v36
	v_fmac_f32_e32 v13, v24, v36
	v_fmac_f32_e32 v14, v21, v37
	v_fma_f32 v12, -v24, v37, v12
	v_fmac_f32_e32 v13, v23, v37
	global_load_dwordx4 v[21:24], v[34:35], off
	global_load_dwordx2 v[29:30], v[16:17], off
	v_add_co_u32_e32 v8, vcc, s14, v8
	v_addc_co_u32_e32 v9, vcc, v20, v9, vcc
	global_load_dwordx2 v[8:9], v[8:9], off
	v_cmp_ge_i32_e32 vcc, v11, v15
	s_or_b64 s[8:9], vcc, s[8:9]
	s_waitcnt vmcnt(1)
	v_fmac_f32_e32 v31, v21, v29
	v_fmac_f32_e32 v14, v22, v29
	;; [unrolled: 1-line block ×4, first 2 shown]
	v_fma_f32 v16, -v22, v30, v31
	v_fmac_f32_e32 v14, v21, v30
	v_fma_f32 v12, -v24, v30, v12
	v_fmac_f32_e32 v13, v23, v30
	s_waitcnt vmcnt(0)
	v_fmac_f32_e32 v16, v25, v8
	v_fmac_f32_e32 v14, v26, v8
	;; [unrolled: 1-line block ×4, first 2 shown]
	v_fma_f32 v17, -v26, v9, v16
	v_fmac_f32_e32 v14, v25, v9
	v_fma_f32 v16, -v28, v9, v12
	v_fmac_f32_e32 v13, v27, v9
	s_andn2_b64 exec, exec, s[8:9]
	s_cbranch_execnz .LBB180_7
; %bb.8:
	s_or_b64 exec, exec, s[8:9]
.LBB180_9:
	s_or_b64 exec, exec, s[6:7]
	s_cbranch_execz .LBB180_11
	s_branch .LBB180_16
.LBB180_10:
                                        ; implicit-def: $vgpr14
                                        ; implicit-def: $vgpr17
                                        ; implicit-def: $vgpr16
                                        ; implicit-def: $vgpr13
.LBB180_11:
	v_mov_b32_e32 v14, 0
	v_mov_b32_e32 v17, 0
	;; [unrolled: 1-line block ×4, first 2 shown]
	s_and_saveexec_b64 s[6:7], s[0:1]
	s_cbranch_execz .LBB180_15
; %bb.12:
	v_mad_u64_u32 v[8:9], s[0:1], v6, 14, 13
	v_mov_b32_e32 v11, 0
	s_mov_b64 s[0:1], 0
	v_mov_b32_e32 v12, s11
	v_mov_b32_e32 v18, s13
	v_mov_b32_e32 v19, s15
	v_mov_b32_e32 v14, 0
	v_mov_b32_e32 v17, 0
	v_mov_b32_e32 v16, 0
	v_mov_b32_e32 v13, 0
.LBB180_13:                             ; =>This Inner Loop Header: Depth=1
	v_ashrrev_i32_e32 v7, 31, v6
	v_lshlrev_b64 v[22:23], 2, v[6:7]
	v_add_u32_e32 v10, -13, v8
	v_add_co_u32_e32 v22, vcc, s10, v22
	v_addc_co_u32_e32 v23, vcc, v12, v23, vcc
	global_load_dword v7, v[22:23], off
	v_lshlrev_b64 v[24:25], 3, v[10:11]
	v_add_u32_e32 v20, -6, v8
	v_mov_b32_e32 v21, v11
	v_lshlrev_b64 v[20:21], 3, v[20:21]
	v_add_co_u32_e32 v24, vcc, s12, v24
	v_mov_b32_e32 v9, v11
	v_addc_co_u32_e32 v25, vcc, v18, v25, vcc
	v_lshlrev_b64 v[9:10], 3, v[8:9]
	v_add_co_u32_e32 v20, vcc, s12, v20
	v_addc_co_u32_e32 v21, vcc, v18, v21, vcc
	v_add_co_u32_e32 v26, vcc, s12, v9
	v_addc_co_u32_e32 v27, vcc, v18, v10, vcc
	v_mov_b32_e32 v10, v11
	v_add_u32_e32 v6, 32, v6
	s_waitcnt vmcnt(0)
	v_subrev_u32_e32 v7, s2, v7
	v_mul_lo_u32 v9, v7, 7
	v_lshlrev_b64 v[22:23], 3, v[9:10]
	v_add_u32_e32 v10, 1, v9
	v_add_co_u32_e32 v22, vcc, s14, v22
	v_addc_co_u32_e32 v23, vcc, v19, v23, vcc
	global_load_dwordx2 v[30:31], v[20:21], off
	global_load_dwordx2 v[32:33], v[22:23], off
	v_lshlrev_b64 v[28:29], 3, v[10:11]
	global_load_dwordx4 v[20:23], v[24:25], off
	v_add_co_u32_e32 v28, vcc, s14, v28
	v_addc_co_u32_e32 v29, vcc, v19, v29, vcc
	v_add_u32_e32 v10, -5, v8
	s_waitcnt vmcnt(1)
	v_fmac_f32_e32 v16, v30, v32
	v_fma_f32 v7, -v31, v33, v16
	s_waitcnt vmcnt(0)
	v_fmac_f32_e32 v17, v20, v32
	v_fmac_f32_e32 v14, v21, v32
	v_fma_f32 v21, -v21, v33, v17
	global_load_dwordx2 v[16:17], v[28:29], off
	v_fmac_f32_e32 v13, v31, v32
	v_fmac_f32_e32 v13, v30, v33
	v_fmac_f32_e32 v14, v20, v33
	s_waitcnt vmcnt(0)
	v_fmac_f32_e32 v21, v22, v16
	v_fma_f32 v30, -v23, v17, v21
	v_lshlrev_b64 v[20:21], 3, v[10:11]
	v_fmac_f32_e32 v14, v23, v16
	v_add_u32_e32 v10, -11, v8
	v_fmac_f32_e32 v14, v22, v17
	v_add_co_u32_e32 v20, vcc, s12, v20
	v_lshlrev_b64 v[22:23], 3, v[10:11]
	v_addc_co_u32_e32 v21, vcc, v18, v21, vcc
	v_add_co_u32_e32 v22, vcc, s12, v22
	v_addc_co_u32_e32 v23, vcc, v18, v23, vcc
	global_load_dwordx2 v[24:25], v[20:21], off
	global_load_dwordx2 v[28:29], v[22:23], off
	v_add_u32_e32 v10, 2, v9
	s_waitcnt vmcnt(1)
	v_fmac_f32_e32 v7, v24, v16
	v_fmac_f32_e32 v13, v25, v16
	v_fma_f32 v7, -v25, v17, v7
	v_fmac_f32_e32 v13, v24, v17
	v_lshlrev_b64 v[16:17], 3, v[10:11]
	v_add_u32_e32 v10, -4, v8
	v_add_co_u32_e32 v16, vcc, s14, v16
	v_addc_co_u32_e32 v17, vcc, v19, v17, vcc
	global_load_dwordx2 v[16:17], v[16:17], off
	v_lshlrev_b64 v[20:21], 3, v[10:11]
	v_add_u32_e32 v10, -10, v8
	v_add_co_u32_e32 v20, vcc, s12, v20
	v_lshlrev_b64 v[22:23], 3, v[10:11]
	v_addc_co_u32_e32 v21, vcc, v18, v21, vcc
	v_add_co_u32_e32 v22, vcc, s12, v22
	v_addc_co_u32_e32 v23, vcc, v18, v23, vcc
	v_add_u32_e32 v10, 3, v9
	s_waitcnt vmcnt(0)
	v_fmac_f32_e32 v30, v28, v16
	v_fmac_f32_e32 v14, v29, v16
	v_fma_f32 v30, -v29, v17, v30
	v_fmac_f32_e32 v14, v28, v17
	global_load_dwordx2 v[24:25], v[20:21], off
	global_load_dwordx2 v[28:29], v[22:23], off
	s_waitcnt vmcnt(1)
	v_fmac_f32_e32 v7, v24, v16
	v_fmac_f32_e32 v13, v25, v16
	v_fma_f32 v7, -v25, v17, v7
	v_fmac_f32_e32 v13, v24, v17
	v_lshlrev_b64 v[16:17], 3, v[10:11]
	v_add_u32_e32 v10, -3, v8
	v_add_co_u32_e32 v16, vcc, s14, v16
	v_addc_co_u32_e32 v17, vcc, v19, v17, vcc
	global_load_dwordx2 v[16:17], v[16:17], off
	v_lshlrev_b64 v[20:21], 3, v[10:11]
	v_add_u32_e32 v10, -9, v8
	v_add_co_u32_e32 v20, vcc, s12, v20
	v_lshlrev_b64 v[22:23], 3, v[10:11]
	v_addc_co_u32_e32 v21, vcc, v18, v21, vcc
	v_add_co_u32_e32 v22, vcc, s12, v22
	v_addc_co_u32_e32 v23, vcc, v18, v23, vcc
	v_add_u32_e32 v10, 4, v9
	s_waitcnt vmcnt(0)
	v_fmac_f32_e32 v30, v28, v16
	v_fmac_f32_e32 v14, v29, v16
	v_fma_f32 v30, -v29, v17, v30
	v_fmac_f32_e32 v14, v28, v17
	global_load_dwordx2 v[24:25], v[20:21], off
	global_load_dwordx2 v[28:29], v[22:23], off
	;; [unrolled: 25-line block ×3, first 2 shown]
	s_waitcnt vmcnt(1)
	v_fmac_f32_e32 v7, v24, v16
	v_fmac_f32_e32 v13, v25, v16
	v_fma_f32 v7, -v25, v17, v7
	v_fmac_f32_e32 v13, v24, v17
	v_lshlrev_b64 v[16:17], 3, v[10:11]
	v_add_u32_e32 v10, -1, v8
	v_add_co_u32_e32 v16, vcc, s14, v16
	v_addc_co_u32_e32 v17, vcc, v19, v17, vcc
	global_load_dwordx2 v[16:17], v[16:17], off
	v_lshlrev_b64 v[20:21], 3, v[10:11]
	v_add_u32_e32 v10, -7, v8
	v_lshlrev_b64 v[22:23], 3, v[10:11]
	v_add_co_u32_e32 v20, vcc, s12, v20
	v_add_u32_e32 v10, 6, v9
	v_addc_co_u32_e32 v21, vcc, v18, v21, vcc
	v_add_co_u32_e32 v22, vcc, s12, v22
	v_lshlrev_b64 v[9:10], 3, v[10:11]
	v_addc_co_u32_e32 v23, vcc, v18, v23, vcc
	v_add_co_u32_e32 v9, vcc, s14, v9
	v_addc_co_u32_e32 v10, vcc, v19, v10, vcc
	v_cmp_ge_i32_e32 vcc, v6, v15
	s_or_b64 s[0:1], vcc, s[0:1]
	v_add_u32_e32 v8, 0x1c0, v8
	s_waitcnt vmcnt(0)
	v_fmac_f32_e32 v30, v28, v16
	v_fmac_f32_e32 v14, v29, v16
	v_fma_f32 v34, -v29, v17, v30
	v_fmac_f32_e32 v14, v28, v17
	global_load_dwordx2 v[24:25], v[26:27], off
	global_load_dwordx2 v[28:29], v[20:21], off
	;; [unrolled: 1-line block ×4, first 2 shown]
	s_waitcnt vmcnt(2)
	v_fmac_f32_e32 v7, v28, v16
	v_fmac_f32_e32 v13, v29, v16
	v_fma_f32 v7, -v29, v17, v7
	v_fmac_f32_e32 v13, v28, v17
	s_waitcnt vmcnt(0)
	v_fmac_f32_e32 v34, v30, v32
	v_fmac_f32_e32 v14, v31, v32
	;; [unrolled: 1-line block ×4, first 2 shown]
	v_fma_f32 v17, -v31, v33, v34
	v_fmac_f32_e32 v14, v30, v33
	v_fma_f32 v16, -v25, v33, v7
	v_fmac_f32_e32 v13, v24, v33
	s_andn2_b64 exec, exec, s[0:1]
	s_cbranch_execnz .LBB180_13
; %bb.14:
	s_or_b64 exec, exec, s[0:1]
.LBB180_15:
	s_or_b64 exec, exec, s[6:7]
.LBB180_16:
	v_mov_b32_dpp v6, v17 row_shr:1 row_mask:0xf bank_mask:0xf
	v_mov_b32_dpp v8, v14 row_shr:1 row_mask:0xf bank_mask:0xf
	v_mov_b32_dpp v10, v16 row_shr:1 row_mask:0xf bank_mask:0xf
	v_mov_b32_dpp v12, v13 row_shr:1 row_mask:0xf bank_mask:0xf
	v_add_f32_e32 v6, v17, v6
	v_add_f32_e32 v8, v14, v8
	v_add_f32_e32 v10, v16, v10
	v_add_f32_e32 v12, v13, v12
	v_mov_b32_dpp v7, v6 row_shr:2 row_mask:0xf bank_mask:0xf
	v_mov_b32_dpp v9, v8 row_shr:2 row_mask:0xf bank_mask:0xf
	v_mov_b32_dpp v11, v10 row_shr:2 row_mask:0xf bank_mask:0xf
	v_mov_b32_dpp v13, v12 row_shr:2 row_mask:0xf bank_mask:0xf
	v_add_f32_e32 v6, v6, v7
	v_add_f32_e32 v8, v8, v9
	v_add_f32_e32 v10, v10, v11
	v_add_f32_e32 v12, v12, v13
	;; [unrolled: 8-line block ×4, first 2 shown]
	v_mov_b32_dpp v7, v6 row_bcast:15 row_mask:0xa bank_mask:0xf
	v_mov_b32_dpp v9, v8 row_bcast:15 row_mask:0xa bank_mask:0xf
	;; [unrolled: 1-line block ×4, first 2 shown]
	v_cmp_eq_u32_e32 vcc, 31, v0
	s_and_b64 exec, exec, vcc
	s_cbranch_execz .LBB180_21
; %bb.17:
	s_load_dwordx2 s[2:3], s[4:5], 0x38
	v_cmp_eq_f32_e32 vcc, 0, v3
	v_cmp_eq_f32_e64 s[0:1], 0, v4
	v_add_f32_e32 v7, v6, v7
	v_add_f32_e32 v8, v8, v9
	v_add_f32_e32 v0, v10, v11
	v_add_f32_e32 v6, v12, v13
	s_and_b64 s[0:1], vcc, s[0:1]
	s_and_saveexec_b64 s[4:5], s[0:1]
	s_xor_b64 s[0:1], exec, s[4:5]
	s_cbranch_execz .LBB180_19
; %bb.18:
	v_mul_f32_e64 v3, v8, -v2
	v_mul_f32_e32 v4, v1, v8
	v_fmac_f32_e32 v3, v1, v7
	v_fmac_f32_e32 v4, v2, v7
	v_lshlrev_b32_e32 v7, 1, v5
	v_ashrrev_i32_e32 v8, 31, v7
	v_lshlrev_b64 v[7:8], 3, v[7:8]
	s_waitcnt lgkmcnt(0)
	v_mov_b32_e32 v5, s3
	v_add_co_u32_e32 v7, vcc, s2, v7
	v_addc_co_u32_e32 v8, vcc, v5, v8, vcc
	v_mul_f32_e64 v5, v6, -v2
	v_mul_f32_e32 v6, v1, v6
	v_fmac_f32_e32 v5, v1, v0
	v_fmac_f32_e32 v6, v2, v0
	global_store_dwordx4 v[7:8], v[3:6], off
                                        ; implicit-def: $vgpr5
                                        ; implicit-def: $vgpr1_vgpr2
                                        ; implicit-def: $vgpr8
                                        ; implicit-def: $vgpr7
                                        ; implicit-def: $vgpr3_vgpr4
                                        ; implicit-def: $vgpr6
                                        ; implicit-def: $vgpr0
.LBB180_19:
	s_andn2_saveexec_b64 s[0:1], s[0:1]
	s_cbranch_execz .LBB180_21
; %bb.20:
	v_lshlrev_b32_e32 v9, 1, v5
	v_ashrrev_i32_e32 v10, 31, v9
	v_lshlrev_b64 v[9:10], 3, v[9:10]
	s_waitcnt lgkmcnt(0)
	v_mov_b32_e32 v5, s3
	v_add_co_u32_e32 v17, vcc, s2, v9
	v_addc_co_u32_e32 v18, vcc, v5, v10, vcc
	global_load_dwordx4 v[9:12], v[17:18], off
	v_mul_f32_e64 v5, v8, -v2
	v_mul_f32_e32 v14, v1, v8
	v_mul_f32_e64 v8, v6, -v2
	v_mul_f32_e32 v16, v1, v6
	v_fmac_f32_e32 v5, v1, v7
	v_fmac_f32_e32 v14, v2, v7
	;; [unrolled: 1-line block ×4, first 2 shown]
	s_waitcnt vmcnt(0)
	v_fmac_f32_e32 v5, v3, v9
	v_fmac_f32_e32 v14, v4, v9
	;; [unrolled: 1-line block ×4, first 2 shown]
	v_fma_f32 v13, -v4, v10, v5
	v_fmac_f32_e32 v14, v3, v10
	v_fma_f32 v15, -v4, v12, v8
	v_fmac_f32_e32 v16, v3, v12
	global_store_dwordx4 v[17:18], v[13:16], off
.LBB180_21:
	s_endpgm
	.section	.rodata,"a",@progbits
	.p2align	6, 0x0
	.amdhsa_kernel _ZN9rocsparseL19gebsrmvn_2xn_kernelILj128ELj7ELj32E21rocsparse_complex_numIfEEEvi20rocsparse_direction_NS_24const_host_device_scalarIT2_EEPKiS8_PKS5_SA_S6_PS5_21rocsparse_index_base_b
		.amdhsa_group_segment_fixed_size 0
		.amdhsa_private_segment_fixed_size 0
		.amdhsa_kernarg_size 72
		.amdhsa_user_sgpr_count 6
		.amdhsa_user_sgpr_private_segment_buffer 1
		.amdhsa_user_sgpr_dispatch_ptr 0
		.amdhsa_user_sgpr_queue_ptr 0
		.amdhsa_user_sgpr_kernarg_segment_ptr 1
		.amdhsa_user_sgpr_dispatch_id 0
		.amdhsa_user_sgpr_flat_scratch_init 0
		.amdhsa_user_sgpr_private_segment_size 0
		.amdhsa_uses_dynamic_stack 0
		.amdhsa_system_sgpr_private_segment_wavefront_offset 0
		.amdhsa_system_sgpr_workgroup_id_x 1
		.amdhsa_system_sgpr_workgroup_id_y 0
		.amdhsa_system_sgpr_workgroup_id_z 0
		.amdhsa_system_sgpr_workgroup_info 0
		.amdhsa_system_vgpr_workitem_id 0
		.amdhsa_next_free_vgpr 38
		.amdhsa_next_free_sgpr 16
		.amdhsa_reserve_vcc 1
		.amdhsa_reserve_flat_scratch 0
		.amdhsa_float_round_mode_32 0
		.amdhsa_float_round_mode_16_64 0
		.amdhsa_float_denorm_mode_32 3
		.amdhsa_float_denorm_mode_16_64 3
		.amdhsa_dx10_clamp 1
		.amdhsa_ieee_mode 1
		.amdhsa_fp16_overflow 0
		.amdhsa_exception_fp_ieee_invalid_op 0
		.amdhsa_exception_fp_denorm_src 0
		.amdhsa_exception_fp_ieee_div_zero 0
		.amdhsa_exception_fp_ieee_overflow 0
		.amdhsa_exception_fp_ieee_underflow 0
		.amdhsa_exception_fp_ieee_inexact 0
		.amdhsa_exception_int_div_zero 0
	.end_amdhsa_kernel
	.section	.text._ZN9rocsparseL19gebsrmvn_2xn_kernelILj128ELj7ELj32E21rocsparse_complex_numIfEEEvi20rocsparse_direction_NS_24const_host_device_scalarIT2_EEPKiS8_PKS5_SA_S6_PS5_21rocsparse_index_base_b,"axG",@progbits,_ZN9rocsparseL19gebsrmvn_2xn_kernelILj128ELj7ELj32E21rocsparse_complex_numIfEEEvi20rocsparse_direction_NS_24const_host_device_scalarIT2_EEPKiS8_PKS5_SA_S6_PS5_21rocsparse_index_base_b,comdat
.Lfunc_end180:
	.size	_ZN9rocsparseL19gebsrmvn_2xn_kernelILj128ELj7ELj32E21rocsparse_complex_numIfEEEvi20rocsparse_direction_NS_24const_host_device_scalarIT2_EEPKiS8_PKS5_SA_S6_PS5_21rocsparse_index_base_b, .Lfunc_end180-_ZN9rocsparseL19gebsrmvn_2xn_kernelILj128ELj7ELj32E21rocsparse_complex_numIfEEEvi20rocsparse_direction_NS_24const_host_device_scalarIT2_EEPKiS8_PKS5_SA_S6_PS5_21rocsparse_index_base_b
                                        ; -- End function
	.set _ZN9rocsparseL19gebsrmvn_2xn_kernelILj128ELj7ELj32E21rocsparse_complex_numIfEEEvi20rocsparse_direction_NS_24const_host_device_scalarIT2_EEPKiS8_PKS5_SA_S6_PS5_21rocsparse_index_base_b.num_vgpr, 38
	.set _ZN9rocsparseL19gebsrmvn_2xn_kernelILj128ELj7ELj32E21rocsparse_complex_numIfEEEvi20rocsparse_direction_NS_24const_host_device_scalarIT2_EEPKiS8_PKS5_SA_S6_PS5_21rocsparse_index_base_b.num_agpr, 0
	.set _ZN9rocsparseL19gebsrmvn_2xn_kernelILj128ELj7ELj32E21rocsparse_complex_numIfEEEvi20rocsparse_direction_NS_24const_host_device_scalarIT2_EEPKiS8_PKS5_SA_S6_PS5_21rocsparse_index_base_b.numbered_sgpr, 16
	.set _ZN9rocsparseL19gebsrmvn_2xn_kernelILj128ELj7ELj32E21rocsparse_complex_numIfEEEvi20rocsparse_direction_NS_24const_host_device_scalarIT2_EEPKiS8_PKS5_SA_S6_PS5_21rocsparse_index_base_b.num_named_barrier, 0
	.set _ZN9rocsparseL19gebsrmvn_2xn_kernelILj128ELj7ELj32E21rocsparse_complex_numIfEEEvi20rocsparse_direction_NS_24const_host_device_scalarIT2_EEPKiS8_PKS5_SA_S6_PS5_21rocsparse_index_base_b.private_seg_size, 0
	.set _ZN9rocsparseL19gebsrmvn_2xn_kernelILj128ELj7ELj32E21rocsparse_complex_numIfEEEvi20rocsparse_direction_NS_24const_host_device_scalarIT2_EEPKiS8_PKS5_SA_S6_PS5_21rocsparse_index_base_b.uses_vcc, 1
	.set _ZN9rocsparseL19gebsrmvn_2xn_kernelILj128ELj7ELj32E21rocsparse_complex_numIfEEEvi20rocsparse_direction_NS_24const_host_device_scalarIT2_EEPKiS8_PKS5_SA_S6_PS5_21rocsparse_index_base_b.uses_flat_scratch, 0
	.set _ZN9rocsparseL19gebsrmvn_2xn_kernelILj128ELj7ELj32E21rocsparse_complex_numIfEEEvi20rocsparse_direction_NS_24const_host_device_scalarIT2_EEPKiS8_PKS5_SA_S6_PS5_21rocsparse_index_base_b.has_dyn_sized_stack, 0
	.set _ZN9rocsparseL19gebsrmvn_2xn_kernelILj128ELj7ELj32E21rocsparse_complex_numIfEEEvi20rocsparse_direction_NS_24const_host_device_scalarIT2_EEPKiS8_PKS5_SA_S6_PS5_21rocsparse_index_base_b.has_recursion, 0
	.set _ZN9rocsparseL19gebsrmvn_2xn_kernelILj128ELj7ELj32E21rocsparse_complex_numIfEEEvi20rocsparse_direction_NS_24const_host_device_scalarIT2_EEPKiS8_PKS5_SA_S6_PS5_21rocsparse_index_base_b.has_indirect_call, 0
	.section	.AMDGPU.csdata,"",@progbits
; Kernel info:
; codeLenInByte = 2688
; TotalNumSgprs: 20
; NumVgprs: 38
; ScratchSize: 0
; MemoryBound: 0
; FloatMode: 240
; IeeeMode: 1
; LDSByteSize: 0 bytes/workgroup (compile time only)
; SGPRBlocks: 2
; VGPRBlocks: 9
; NumSGPRsForWavesPerEU: 20
; NumVGPRsForWavesPerEU: 38
; Occupancy: 6
; WaveLimiterHint : 1
; COMPUTE_PGM_RSRC2:SCRATCH_EN: 0
; COMPUTE_PGM_RSRC2:USER_SGPR: 6
; COMPUTE_PGM_RSRC2:TRAP_HANDLER: 0
; COMPUTE_PGM_RSRC2:TGID_X_EN: 1
; COMPUTE_PGM_RSRC2:TGID_Y_EN: 0
; COMPUTE_PGM_RSRC2:TGID_Z_EN: 0
; COMPUTE_PGM_RSRC2:TIDIG_COMP_CNT: 0
	.section	.text._ZN9rocsparseL19gebsrmvn_2xn_kernelILj128ELj7ELj64E21rocsparse_complex_numIfEEEvi20rocsparse_direction_NS_24const_host_device_scalarIT2_EEPKiS8_PKS5_SA_S6_PS5_21rocsparse_index_base_b,"axG",@progbits,_ZN9rocsparseL19gebsrmvn_2xn_kernelILj128ELj7ELj64E21rocsparse_complex_numIfEEEvi20rocsparse_direction_NS_24const_host_device_scalarIT2_EEPKiS8_PKS5_SA_S6_PS5_21rocsparse_index_base_b,comdat
	.globl	_ZN9rocsparseL19gebsrmvn_2xn_kernelILj128ELj7ELj64E21rocsparse_complex_numIfEEEvi20rocsparse_direction_NS_24const_host_device_scalarIT2_EEPKiS8_PKS5_SA_S6_PS5_21rocsparse_index_base_b ; -- Begin function _ZN9rocsparseL19gebsrmvn_2xn_kernelILj128ELj7ELj64E21rocsparse_complex_numIfEEEvi20rocsparse_direction_NS_24const_host_device_scalarIT2_EEPKiS8_PKS5_SA_S6_PS5_21rocsparse_index_base_b
	.p2align	8
	.type	_ZN9rocsparseL19gebsrmvn_2xn_kernelILj128ELj7ELj64E21rocsparse_complex_numIfEEEvi20rocsparse_direction_NS_24const_host_device_scalarIT2_EEPKiS8_PKS5_SA_S6_PS5_21rocsparse_index_base_b,@function
_ZN9rocsparseL19gebsrmvn_2xn_kernelILj128ELj7ELj64E21rocsparse_complex_numIfEEEvi20rocsparse_direction_NS_24const_host_device_scalarIT2_EEPKiS8_PKS5_SA_S6_PS5_21rocsparse_index_base_b: ; @_ZN9rocsparseL19gebsrmvn_2xn_kernelILj128ELj7ELj64E21rocsparse_complex_numIfEEEvi20rocsparse_direction_NS_24const_host_device_scalarIT2_EEPKiS8_PKS5_SA_S6_PS5_21rocsparse_index_base_b
; %bb.0:
	s_load_dwordx2 s[0:1], s[4:5], 0x8
	s_load_dwordx2 s[8:9], s[4:5], 0x30
	;; [unrolled: 1-line block ×3, first 2 shown]
	s_add_u32 s7, s4, 8
	s_addc_u32 s10, s5, 0
	s_add_u32 s11, s4, 48
	s_addc_u32 s12, s5, 0
	s_waitcnt lgkmcnt(0)
	s_bitcmp1_b32 s3, 0
	s_cselect_b32 s1, s10, s1
	s_cselect_b32 s0, s7, s0
	v_mov_b32_e32 v1, s0
	v_mov_b32_e32 v2, s1
	flat_load_dwordx2 v[1:2], v[1:2]
	s_cselect_b32 s0, s12, s9
	s_cselect_b32 s1, s11, s8
	v_mov_b32_e32 v3, s1
	v_mov_b32_e32 v4, s0
	flat_load_dwordx2 v[3:4], v[3:4]
	s_waitcnt vmcnt(0) lgkmcnt(0)
	v_cmp_eq_f32_e32 vcc, 0, v1
	v_cmp_eq_f32_e64 s[0:1], 0, v2
	s_and_b64 s[10:11], vcc, s[0:1]
	s_mov_b64 s[0:1], -1
	s_and_saveexec_b64 s[8:9], s[10:11]
; %bb.1:
	v_cmp_neq_f32_e32 vcc, 1.0, v3
	v_cmp_neq_f32_e64 s[0:1], 0, v4
	s_or_b64 s[0:1], vcc, s[0:1]
	s_orn2_b64 s[0:1], s[0:1], exec
; %bb.2:
	s_or_b64 exec, exec, s[8:9]
	s_and_saveexec_b64 s[8:9], s[0:1]
	s_cbranch_execz .LBB181_21
; %bb.3:
	s_load_dwordx2 s[0:1], s[4:5], 0x0
	v_lshrrev_b32_e32 v5, 6, v0
	v_lshl_or_b32 v5, s6, 1, v5
	s_waitcnt lgkmcnt(0)
	v_cmp_gt_i32_e32 vcc, s0, v5
	s_and_b64 exec, exec, vcc
	s_cbranch_execz .LBB181_21
; %bb.4:
	s_load_dwordx8 s[8:15], s[4:5], 0x10
	v_ashrrev_i32_e32 v6, 31, v5
	v_lshlrev_b64 v[6:7], 2, v[5:6]
	v_and_b32_e32 v0, 63, v0
	s_cmp_lg_u32 s1, 0
	s_waitcnt lgkmcnt(0)
	v_mov_b32_e32 v8, s9
	v_add_co_u32_e32 v6, vcc, s8, v6
	v_addc_co_u32_e32 v7, vcc, v8, v7, vcc
	global_load_dwordx2 v[6:7], v[6:7], off
	s_waitcnt vmcnt(0)
	v_subrev_u32_e32 v6, s2, v6
	v_subrev_u32_e32 v15, s2, v7
	v_add_u32_e32 v6, v6, v0
	v_cmp_lt_i32_e64 s[0:1], v6, v15
	s_cbranch_scc0 .LBB181_10
; %bb.5:
	v_mov_b32_e32 v14, 0
	v_mov_b32_e32 v17, 0
	v_mov_b32_e32 v16, 0
	v_mov_b32_e32 v13, 0
	s_and_saveexec_b64 s[6:7], s[0:1]
	s_cbranch_execz .LBB181_9
; %bb.6:
	v_mad_u64_u32 v[7:8], s[8:9], v6, 14, 12
	v_mov_b32_e32 v10, 0
	s_mov_b64 s[8:9], 0
	v_mov_b32_e32 v18, s11
	v_mov_b32_e32 v19, s13
	;; [unrolled: 1-line block ×8, first 2 shown]
.LBB181_7:                              ; =>This Inner Loop Header: Depth=1
	v_ashrrev_i32_e32 v12, 31, v11
	v_lshlrev_b64 v[21:22], 2, v[11:12]
	v_add_u32_e32 v9, -12, v7
	v_lshlrev_b64 v[23:24], 3, v[9:10]
	v_add_co_u32_e32 v27, vcc, s10, v21
	v_addc_co_u32_e32 v28, vcc, v18, v22, vcc
	v_add_co_u32_e32 v31, vcc, s12, v23
	v_addc_co_u32_e32 v32, vcc, v19, v24, vcc
	global_load_dword v12, v[27:28], off
	global_load_dwordx4 v[21:24], v[31:32], off
	v_mov_b32_e32 v8, v10
	v_lshlrev_b64 v[25:26], 3, v[7:8]
	v_add_u32_e32 v9, -10, v7
	v_lshlrev_b64 v[8:9], 3, v[9:10]
	v_add_co_u32_e32 v33, vcc, s12, v25
	v_mov_b32_e32 v30, v10
	v_addc_co_u32_e32 v34, vcc, v19, v26, vcc
	v_add_co_u32_e32 v8, vcc, s12, v8
	v_addc_co_u32_e32 v9, vcc, v19, v9, vcc
	v_add_u32_e32 v11, 64, v11
	s_waitcnt vmcnt(1)
	v_subrev_u32_e32 v12, s2, v12
	v_mul_lo_u32 v29, v12, 7
	v_lshlrev_b64 v[25:26], 3, v[29:30]
	v_add_co_u32_e32 v30, vcc, s14, v25
	v_addc_co_u32_e32 v31, vcc, v20, v26, vcc
	global_load_dwordx4 v[25:28], v[33:34], off
	global_load_dwordx2 v[35:36], v[30:31], off
	s_waitcnt vmcnt(0)
	v_fmac_f32_e32 v17, v21, v35
	v_fmac_f32_e32 v14, v22, v35
	;; [unrolled: 1-line block ×4, first 2 shown]
	v_fma_f32 v12, -v22, v36, v17
	v_fmac_f32_e32 v14, v21, v36
	v_fma_f32 v32, -v24, v36, v16
	v_fmac_f32_e32 v13, v23, v36
	global_load_dwordx4 v[21:24], v[8:9], off
	v_add_u32_e32 v9, 1, v29
	v_lshlrev_b64 v[16:17], 3, v[9:10]
	v_add_u32_e32 v9, -8, v7
	v_add_co_u32_e32 v16, vcc, s14, v16
	v_addc_co_u32_e32 v17, vcc, v20, v17, vcc
	global_load_dwordx2 v[16:17], v[16:17], off
	v_lshlrev_b64 v[30:31], 3, v[9:10]
	v_add_u32_e32 v9, 2, v29
	v_add_co_u32_e32 v30, vcc, s12, v30
	v_addc_co_u32_e32 v31, vcc, v19, v31, vcc
	s_waitcnt vmcnt(0)
	v_fmac_f32_e32 v12, v21, v16
	v_fmac_f32_e32 v14, v22, v16
	;; [unrolled: 1-line block ×4, first 2 shown]
	v_fma_f32 v8, -v22, v17, v12
	v_fmac_f32_e32 v14, v21, v17
	v_fma_f32 v12, -v24, v17, v32
	v_fmac_f32_e32 v13, v23, v17
	v_lshlrev_b64 v[16:17], 3, v[9:10]
	v_add_u32_e32 v9, -6, v7
	v_add_co_u32_e32 v16, vcc, s14, v16
	v_addc_co_u32_e32 v17, vcc, v20, v17, vcc
	global_load_dwordx4 v[21:24], v[30:31], off
	global_load_dwordx2 v[34:35], v[16:17], off
	v_lshlrev_b64 v[32:33], 3, v[9:10]
	v_add_u32_e32 v9, 3, v29
	v_lshlrev_b64 v[16:17], 3, v[9:10]
	v_add_co_u32_e32 v30, vcc, s12, v32
	v_addc_co_u32_e32 v31, vcc, v19, v33, vcc
	v_add_co_u32_e32 v16, vcc, s14, v16
	v_addc_co_u32_e32 v17, vcc, v20, v17, vcc
	v_add_u32_e32 v9, -4, v7
	v_lshlrev_b64 v[32:33], 3, v[9:10]
	v_add_u32_e32 v9, 4, v29
	s_waitcnt vmcnt(0)
	v_fmac_f32_e32 v8, v21, v34
	v_fmac_f32_e32 v14, v22, v34
	;; [unrolled: 1-line block ×4, first 2 shown]
	v_fma_f32 v8, -v22, v35, v8
	v_fmac_f32_e32 v14, v21, v35
	v_fma_f32 v12, -v24, v35, v12
	v_fmac_f32_e32 v13, v23, v35
	global_load_dwordx4 v[21:24], v[30:31], off
	global_load_dwordx2 v[34:35], v[16:17], off
	v_lshlrev_b64 v[16:17], 3, v[9:10]
	v_add_co_u32_e32 v30, vcc, s12, v32
	v_add_u32_e32 v9, -2, v7
	v_addc_co_u32_e32 v31, vcc, v19, v33, vcc
	v_add_co_u32_e32 v16, vcc, s14, v16
	v_addc_co_u32_e32 v17, vcc, v20, v17, vcc
	v_add_u32_e32 v7, 0x380, v7
	s_waitcnt vmcnt(0)
	v_fmac_f32_e32 v8, v21, v34
	v_fmac_f32_e32 v14, v22, v34
	v_fma_f32 v8, -v22, v35, v8
	v_fmac_f32_e32 v14, v21, v35
	v_lshlrev_b64 v[21:22], 3, v[9:10]
	v_fmac_f32_e32 v12, v23, v34
	v_fmac_f32_e32 v13, v24, v34
	v_add_co_u32_e32 v34, vcc, s12, v21
	v_fma_f32 v12, -v24, v35, v12
	v_fmac_f32_e32 v13, v23, v35
	v_addc_co_u32_e32 v35, vcc, v19, v22, vcc
	global_load_dwordx4 v[21:24], v[30:31], off
	global_load_dwordx2 v[36:37], v[16:17], off
	v_add_u32_e32 v9, 5, v29
	v_lshlrev_b64 v[32:33], 3, v[9:10]
	v_add_u32_e32 v9, 6, v29
	v_add_co_u32_e32 v16, vcc, s14, v32
	v_addc_co_u32_e32 v17, vcc, v20, v33, vcc
	s_waitcnt vmcnt(0)
	v_fmac_f32_e32 v8, v21, v36
	v_fma_f32 v31, -v22, v37, v8
	v_lshlrev_b64 v[8:9], 3, v[9:10]
	v_fmac_f32_e32 v14, v22, v36
	v_fmac_f32_e32 v12, v23, v36
	v_fmac_f32_e32 v13, v24, v36
	v_fmac_f32_e32 v14, v21, v37
	v_fma_f32 v12, -v24, v37, v12
	v_fmac_f32_e32 v13, v23, v37
	global_load_dwordx4 v[21:24], v[34:35], off
	global_load_dwordx2 v[29:30], v[16:17], off
	v_add_co_u32_e32 v8, vcc, s14, v8
	v_addc_co_u32_e32 v9, vcc, v20, v9, vcc
	global_load_dwordx2 v[8:9], v[8:9], off
	v_cmp_ge_i32_e32 vcc, v11, v15
	s_or_b64 s[8:9], vcc, s[8:9]
	s_waitcnt vmcnt(1)
	v_fmac_f32_e32 v31, v21, v29
	v_fmac_f32_e32 v14, v22, v29
	;; [unrolled: 1-line block ×4, first 2 shown]
	v_fma_f32 v16, -v22, v30, v31
	v_fmac_f32_e32 v14, v21, v30
	v_fma_f32 v12, -v24, v30, v12
	v_fmac_f32_e32 v13, v23, v30
	s_waitcnt vmcnt(0)
	v_fmac_f32_e32 v16, v25, v8
	v_fmac_f32_e32 v14, v26, v8
	;; [unrolled: 1-line block ×4, first 2 shown]
	v_fma_f32 v17, -v26, v9, v16
	v_fmac_f32_e32 v14, v25, v9
	v_fma_f32 v16, -v28, v9, v12
	v_fmac_f32_e32 v13, v27, v9
	s_andn2_b64 exec, exec, s[8:9]
	s_cbranch_execnz .LBB181_7
; %bb.8:
	s_or_b64 exec, exec, s[8:9]
.LBB181_9:
	s_or_b64 exec, exec, s[6:7]
	s_cbranch_execz .LBB181_11
	s_branch .LBB181_16
.LBB181_10:
                                        ; implicit-def: $vgpr14
                                        ; implicit-def: $vgpr17
                                        ; implicit-def: $vgpr16
                                        ; implicit-def: $vgpr13
.LBB181_11:
	v_mov_b32_e32 v14, 0
	v_mov_b32_e32 v17, 0
	;; [unrolled: 1-line block ×4, first 2 shown]
	s_and_saveexec_b64 s[6:7], s[0:1]
	s_cbranch_execz .LBB181_15
; %bb.12:
	v_mad_u64_u32 v[8:9], s[0:1], v6, 14, 13
	v_mov_b32_e32 v11, 0
	s_mov_b64 s[0:1], 0
	v_mov_b32_e32 v12, s11
	v_mov_b32_e32 v18, s13
	;; [unrolled: 1-line block ×7, first 2 shown]
.LBB181_13:                             ; =>This Inner Loop Header: Depth=1
	v_ashrrev_i32_e32 v7, 31, v6
	v_lshlrev_b64 v[22:23], 2, v[6:7]
	v_add_u32_e32 v10, -13, v8
	v_add_co_u32_e32 v22, vcc, s10, v22
	v_addc_co_u32_e32 v23, vcc, v12, v23, vcc
	global_load_dword v7, v[22:23], off
	v_lshlrev_b64 v[24:25], 3, v[10:11]
	v_add_u32_e32 v20, -6, v8
	v_mov_b32_e32 v21, v11
	v_lshlrev_b64 v[20:21], 3, v[20:21]
	v_add_co_u32_e32 v24, vcc, s12, v24
	v_mov_b32_e32 v9, v11
	v_addc_co_u32_e32 v25, vcc, v18, v25, vcc
	v_lshlrev_b64 v[9:10], 3, v[8:9]
	v_add_co_u32_e32 v20, vcc, s12, v20
	v_addc_co_u32_e32 v21, vcc, v18, v21, vcc
	v_add_co_u32_e32 v26, vcc, s12, v9
	v_addc_co_u32_e32 v27, vcc, v18, v10, vcc
	v_mov_b32_e32 v10, v11
	v_add_u32_e32 v6, 64, v6
	s_waitcnt vmcnt(0)
	v_subrev_u32_e32 v7, s2, v7
	v_mul_lo_u32 v9, v7, 7
	v_lshlrev_b64 v[22:23], 3, v[9:10]
	v_add_u32_e32 v10, 1, v9
	v_add_co_u32_e32 v22, vcc, s14, v22
	v_addc_co_u32_e32 v23, vcc, v19, v23, vcc
	global_load_dwordx2 v[30:31], v[20:21], off
	global_load_dwordx2 v[32:33], v[22:23], off
	v_lshlrev_b64 v[28:29], 3, v[10:11]
	global_load_dwordx4 v[20:23], v[24:25], off
	v_add_co_u32_e32 v28, vcc, s14, v28
	v_addc_co_u32_e32 v29, vcc, v19, v29, vcc
	v_add_u32_e32 v10, -5, v8
	s_waitcnt vmcnt(1)
	v_fmac_f32_e32 v16, v30, v32
	v_fma_f32 v7, -v31, v33, v16
	s_waitcnt vmcnt(0)
	v_fmac_f32_e32 v17, v20, v32
	v_fmac_f32_e32 v14, v21, v32
	v_fma_f32 v21, -v21, v33, v17
	global_load_dwordx2 v[16:17], v[28:29], off
	v_fmac_f32_e32 v13, v31, v32
	v_fmac_f32_e32 v13, v30, v33
	;; [unrolled: 1-line block ×3, first 2 shown]
	s_waitcnt vmcnt(0)
	v_fmac_f32_e32 v21, v22, v16
	v_fma_f32 v30, -v23, v17, v21
	v_lshlrev_b64 v[20:21], 3, v[10:11]
	v_fmac_f32_e32 v14, v23, v16
	v_add_u32_e32 v10, -11, v8
	v_fmac_f32_e32 v14, v22, v17
	v_add_co_u32_e32 v20, vcc, s12, v20
	v_lshlrev_b64 v[22:23], 3, v[10:11]
	v_addc_co_u32_e32 v21, vcc, v18, v21, vcc
	v_add_co_u32_e32 v22, vcc, s12, v22
	v_addc_co_u32_e32 v23, vcc, v18, v23, vcc
	global_load_dwordx2 v[24:25], v[20:21], off
	global_load_dwordx2 v[28:29], v[22:23], off
	v_add_u32_e32 v10, 2, v9
	s_waitcnt vmcnt(1)
	v_fmac_f32_e32 v7, v24, v16
	v_fmac_f32_e32 v13, v25, v16
	v_fma_f32 v7, -v25, v17, v7
	v_fmac_f32_e32 v13, v24, v17
	v_lshlrev_b64 v[16:17], 3, v[10:11]
	v_add_u32_e32 v10, -4, v8
	v_add_co_u32_e32 v16, vcc, s14, v16
	v_addc_co_u32_e32 v17, vcc, v19, v17, vcc
	global_load_dwordx2 v[16:17], v[16:17], off
	v_lshlrev_b64 v[20:21], 3, v[10:11]
	v_add_u32_e32 v10, -10, v8
	v_add_co_u32_e32 v20, vcc, s12, v20
	v_lshlrev_b64 v[22:23], 3, v[10:11]
	v_addc_co_u32_e32 v21, vcc, v18, v21, vcc
	v_add_co_u32_e32 v22, vcc, s12, v22
	v_addc_co_u32_e32 v23, vcc, v18, v23, vcc
	v_add_u32_e32 v10, 3, v9
	s_waitcnt vmcnt(0)
	v_fmac_f32_e32 v30, v28, v16
	v_fmac_f32_e32 v14, v29, v16
	v_fma_f32 v30, -v29, v17, v30
	v_fmac_f32_e32 v14, v28, v17
	global_load_dwordx2 v[24:25], v[20:21], off
	global_load_dwordx2 v[28:29], v[22:23], off
	s_waitcnt vmcnt(1)
	v_fmac_f32_e32 v7, v24, v16
	v_fmac_f32_e32 v13, v25, v16
	v_fma_f32 v7, -v25, v17, v7
	v_fmac_f32_e32 v13, v24, v17
	v_lshlrev_b64 v[16:17], 3, v[10:11]
	v_add_u32_e32 v10, -3, v8
	v_add_co_u32_e32 v16, vcc, s14, v16
	v_addc_co_u32_e32 v17, vcc, v19, v17, vcc
	global_load_dwordx2 v[16:17], v[16:17], off
	v_lshlrev_b64 v[20:21], 3, v[10:11]
	v_add_u32_e32 v10, -9, v8
	v_add_co_u32_e32 v20, vcc, s12, v20
	v_lshlrev_b64 v[22:23], 3, v[10:11]
	v_addc_co_u32_e32 v21, vcc, v18, v21, vcc
	v_add_co_u32_e32 v22, vcc, s12, v22
	v_addc_co_u32_e32 v23, vcc, v18, v23, vcc
	v_add_u32_e32 v10, 4, v9
	s_waitcnt vmcnt(0)
	v_fmac_f32_e32 v30, v28, v16
	v_fmac_f32_e32 v14, v29, v16
	v_fma_f32 v30, -v29, v17, v30
	v_fmac_f32_e32 v14, v28, v17
	global_load_dwordx2 v[24:25], v[20:21], off
	global_load_dwordx2 v[28:29], v[22:23], off
	;; [unrolled: 25-line block ×3, first 2 shown]
	s_waitcnt vmcnt(1)
	v_fmac_f32_e32 v7, v24, v16
	v_fmac_f32_e32 v13, v25, v16
	v_fma_f32 v7, -v25, v17, v7
	v_fmac_f32_e32 v13, v24, v17
	v_lshlrev_b64 v[16:17], 3, v[10:11]
	v_add_u32_e32 v10, -1, v8
	v_add_co_u32_e32 v16, vcc, s14, v16
	v_addc_co_u32_e32 v17, vcc, v19, v17, vcc
	global_load_dwordx2 v[16:17], v[16:17], off
	v_lshlrev_b64 v[20:21], 3, v[10:11]
	v_add_u32_e32 v10, -7, v8
	v_lshlrev_b64 v[22:23], 3, v[10:11]
	v_add_co_u32_e32 v20, vcc, s12, v20
	v_add_u32_e32 v10, 6, v9
	v_addc_co_u32_e32 v21, vcc, v18, v21, vcc
	v_add_co_u32_e32 v22, vcc, s12, v22
	v_lshlrev_b64 v[9:10], 3, v[10:11]
	v_addc_co_u32_e32 v23, vcc, v18, v23, vcc
	v_add_co_u32_e32 v9, vcc, s14, v9
	v_addc_co_u32_e32 v10, vcc, v19, v10, vcc
	v_cmp_ge_i32_e32 vcc, v6, v15
	s_or_b64 s[0:1], vcc, s[0:1]
	v_add_u32_e32 v8, 0x380, v8
	s_waitcnt vmcnt(0)
	v_fmac_f32_e32 v30, v28, v16
	v_fmac_f32_e32 v14, v29, v16
	v_fma_f32 v34, -v29, v17, v30
	v_fmac_f32_e32 v14, v28, v17
	global_load_dwordx2 v[24:25], v[26:27], off
	global_load_dwordx2 v[28:29], v[20:21], off
	;; [unrolled: 1-line block ×4, first 2 shown]
	s_waitcnt vmcnt(2)
	v_fmac_f32_e32 v7, v28, v16
	v_fmac_f32_e32 v13, v29, v16
	v_fma_f32 v7, -v29, v17, v7
	v_fmac_f32_e32 v13, v28, v17
	s_waitcnt vmcnt(0)
	v_fmac_f32_e32 v34, v30, v32
	v_fmac_f32_e32 v14, v31, v32
	;; [unrolled: 1-line block ×4, first 2 shown]
	v_fma_f32 v17, -v31, v33, v34
	v_fmac_f32_e32 v14, v30, v33
	v_fma_f32 v16, -v25, v33, v7
	v_fmac_f32_e32 v13, v24, v33
	s_andn2_b64 exec, exec, s[0:1]
	s_cbranch_execnz .LBB181_13
; %bb.14:
	s_or_b64 exec, exec, s[0:1]
.LBB181_15:
	s_or_b64 exec, exec, s[6:7]
.LBB181_16:
	v_mov_b32_dpp v6, v17 row_shr:1 row_mask:0xf bank_mask:0xf
	v_mov_b32_dpp v8, v14 row_shr:1 row_mask:0xf bank_mask:0xf
	v_mov_b32_dpp v10, v16 row_shr:1 row_mask:0xf bank_mask:0xf
	v_mov_b32_dpp v12, v13 row_shr:1 row_mask:0xf bank_mask:0xf
	v_add_f32_e32 v6, v17, v6
	v_add_f32_e32 v8, v14, v8
	v_add_f32_e32 v10, v16, v10
	v_add_f32_e32 v12, v13, v12
	v_mov_b32_dpp v7, v6 row_shr:2 row_mask:0xf bank_mask:0xf
	v_mov_b32_dpp v9, v8 row_shr:2 row_mask:0xf bank_mask:0xf
	v_mov_b32_dpp v11, v10 row_shr:2 row_mask:0xf bank_mask:0xf
	v_mov_b32_dpp v13, v12 row_shr:2 row_mask:0xf bank_mask:0xf
	v_add_f32_e32 v6, v6, v7
	v_add_f32_e32 v8, v8, v9
	v_add_f32_e32 v10, v10, v11
	v_add_f32_e32 v12, v12, v13
	;; [unrolled: 8-line block ×4, first 2 shown]
	v_mov_b32_dpp v7, v6 row_bcast:15 row_mask:0xa bank_mask:0xf
	v_mov_b32_dpp v9, v8 row_bcast:15 row_mask:0xa bank_mask:0xf
	;; [unrolled: 1-line block ×4, first 2 shown]
	v_add_f32_e32 v6, v6, v7
	v_add_f32_e32 v8, v8, v9
	;; [unrolled: 1-line block ×4, first 2 shown]
	v_mov_b32_dpp v7, v6 row_bcast:31 row_mask:0xc bank_mask:0xf
	v_mov_b32_dpp v9, v8 row_bcast:31 row_mask:0xc bank_mask:0xf
	;; [unrolled: 1-line block ×4, first 2 shown]
	v_cmp_eq_u32_e32 vcc, 63, v0
	s_and_b64 exec, exec, vcc
	s_cbranch_execz .LBB181_21
; %bb.17:
	s_load_dwordx2 s[2:3], s[4:5], 0x38
	v_cmp_eq_f32_e32 vcc, 0, v3
	v_cmp_eq_f32_e64 s[0:1], 0, v4
	v_add_f32_e32 v7, v6, v7
	v_add_f32_e32 v8, v8, v9
	;; [unrolled: 1-line block ×4, first 2 shown]
	s_and_b64 s[0:1], vcc, s[0:1]
	s_and_saveexec_b64 s[4:5], s[0:1]
	s_xor_b64 s[0:1], exec, s[4:5]
	s_cbranch_execz .LBB181_19
; %bb.18:
	v_mul_f32_e64 v3, v8, -v2
	v_mul_f32_e32 v4, v1, v8
	v_fmac_f32_e32 v3, v1, v7
	v_fmac_f32_e32 v4, v2, v7
	v_lshlrev_b32_e32 v7, 1, v5
	v_ashrrev_i32_e32 v8, 31, v7
	v_lshlrev_b64 v[7:8], 3, v[7:8]
	s_waitcnt lgkmcnt(0)
	v_mov_b32_e32 v5, s3
	v_add_co_u32_e32 v7, vcc, s2, v7
	v_addc_co_u32_e32 v8, vcc, v5, v8, vcc
	v_mul_f32_e64 v5, v6, -v2
	v_mul_f32_e32 v6, v1, v6
	v_fmac_f32_e32 v5, v1, v0
	v_fmac_f32_e32 v6, v2, v0
	global_store_dwordx4 v[7:8], v[3:6], off
                                        ; implicit-def: $vgpr5
                                        ; implicit-def: $vgpr1_vgpr2
                                        ; implicit-def: $vgpr8
                                        ; implicit-def: $vgpr7
                                        ; implicit-def: $vgpr3_vgpr4
                                        ; implicit-def: $vgpr6
                                        ; implicit-def: $vgpr0
.LBB181_19:
	s_andn2_saveexec_b64 s[0:1], s[0:1]
	s_cbranch_execz .LBB181_21
; %bb.20:
	v_lshlrev_b32_e32 v9, 1, v5
	v_ashrrev_i32_e32 v10, 31, v9
	v_lshlrev_b64 v[9:10], 3, v[9:10]
	s_waitcnt lgkmcnt(0)
	v_mov_b32_e32 v5, s3
	v_add_co_u32_e32 v17, vcc, s2, v9
	v_addc_co_u32_e32 v18, vcc, v5, v10, vcc
	global_load_dwordx4 v[9:12], v[17:18], off
	v_mul_f32_e64 v5, v8, -v2
	v_mul_f32_e32 v14, v1, v8
	v_mul_f32_e64 v8, v6, -v2
	v_mul_f32_e32 v16, v1, v6
	v_fmac_f32_e32 v5, v1, v7
	v_fmac_f32_e32 v14, v2, v7
	v_fmac_f32_e32 v8, v1, v0
	v_fmac_f32_e32 v16, v2, v0
	s_waitcnt vmcnt(0)
	v_fmac_f32_e32 v5, v3, v9
	v_fmac_f32_e32 v14, v4, v9
	;; [unrolled: 1-line block ×4, first 2 shown]
	v_fma_f32 v13, -v4, v10, v5
	v_fmac_f32_e32 v14, v3, v10
	v_fma_f32 v15, -v4, v12, v8
	v_fmac_f32_e32 v16, v3, v12
	global_store_dwordx4 v[17:18], v[13:16], off
.LBB181_21:
	s_endpgm
	.section	.rodata,"a",@progbits
	.p2align	6, 0x0
	.amdhsa_kernel _ZN9rocsparseL19gebsrmvn_2xn_kernelILj128ELj7ELj64E21rocsparse_complex_numIfEEEvi20rocsparse_direction_NS_24const_host_device_scalarIT2_EEPKiS8_PKS5_SA_S6_PS5_21rocsparse_index_base_b
		.amdhsa_group_segment_fixed_size 0
		.amdhsa_private_segment_fixed_size 0
		.amdhsa_kernarg_size 72
		.amdhsa_user_sgpr_count 6
		.amdhsa_user_sgpr_private_segment_buffer 1
		.amdhsa_user_sgpr_dispatch_ptr 0
		.amdhsa_user_sgpr_queue_ptr 0
		.amdhsa_user_sgpr_kernarg_segment_ptr 1
		.amdhsa_user_sgpr_dispatch_id 0
		.amdhsa_user_sgpr_flat_scratch_init 0
		.amdhsa_user_sgpr_private_segment_size 0
		.amdhsa_uses_dynamic_stack 0
		.amdhsa_system_sgpr_private_segment_wavefront_offset 0
		.amdhsa_system_sgpr_workgroup_id_x 1
		.amdhsa_system_sgpr_workgroup_id_y 0
		.amdhsa_system_sgpr_workgroup_id_z 0
		.amdhsa_system_sgpr_workgroup_info 0
		.amdhsa_system_vgpr_workitem_id 0
		.amdhsa_next_free_vgpr 38
		.amdhsa_next_free_sgpr 16
		.amdhsa_reserve_vcc 1
		.amdhsa_reserve_flat_scratch 0
		.amdhsa_float_round_mode_32 0
		.amdhsa_float_round_mode_16_64 0
		.amdhsa_float_denorm_mode_32 3
		.amdhsa_float_denorm_mode_16_64 3
		.amdhsa_dx10_clamp 1
		.amdhsa_ieee_mode 1
		.amdhsa_fp16_overflow 0
		.amdhsa_exception_fp_ieee_invalid_op 0
		.amdhsa_exception_fp_denorm_src 0
		.amdhsa_exception_fp_ieee_div_zero 0
		.amdhsa_exception_fp_ieee_overflow 0
		.amdhsa_exception_fp_ieee_underflow 0
		.amdhsa_exception_fp_ieee_inexact 0
		.amdhsa_exception_int_div_zero 0
	.end_amdhsa_kernel
	.section	.text._ZN9rocsparseL19gebsrmvn_2xn_kernelILj128ELj7ELj64E21rocsparse_complex_numIfEEEvi20rocsparse_direction_NS_24const_host_device_scalarIT2_EEPKiS8_PKS5_SA_S6_PS5_21rocsparse_index_base_b,"axG",@progbits,_ZN9rocsparseL19gebsrmvn_2xn_kernelILj128ELj7ELj64E21rocsparse_complex_numIfEEEvi20rocsparse_direction_NS_24const_host_device_scalarIT2_EEPKiS8_PKS5_SA_S6_PS5_21rocsparse_index_base_b,comdat
.Lfunc_end181:
	.size	_ZN9rocsparseL19gebsrmvn_2xn_kernelILj128ELj7ELj64E21rocsparse_complex_numIfEEEvi20rocsparse_direction_NS_24const_host_device_scalarIT2_EEPKiS8_PKS5_SA_S6_PS5_21rocsparse_index_base_b, .Lfunc_end181-_ZN9rocsparseL19gebsrmvn_2xn_kernelILj128ELj7ELj64E21rocsparse_complex_numIfEEEvi20rocsparse_direction_NS_24const_host_device_scalarIT2_EEPKiS8_PKS5_SA_S6_PS5_21rocsparse_index_base_b
                                        ; -- End function
	.set _ZN9rocsparseL19gebsrmvn_2xn_kernelILj128ELj7ELj64E21rocsparse_complex_numIfEEEvi20rocsparse_direction_NS_24const_host_device_scalarIT2_EEPKiS8_PKS5_SA_S6_PS5_21rocsparse_index_base_b.num_vgpr, 38
	.set _ZN9rocsparseL19gebsrmvn_2xn_kernelILj128ELj7ELj64E21rocsparse_complex_numIfEEEvi20rocsparse_direction_NS_24const_host_device_scalarIT2_EEPKiS8_PKS5_SA_S6_PS5_21rocsparse_index_base_b.num_agpr, 0
	.set _ZN9rocsparseL19gebsrmvn_2xn_kernelILj128ELj7ELj64E21rocsparse_complex_numIfEEEvi20rocsparse_direction_NS_24const_host_device_scalarIT2_EEPKiS8_PKS5_SA_S6_PS5_21rocsparse_index_base_b.numbered_sgpr, 16
	.set _ZN9rocsparseL19gebsrmvn_2xn_kernelILj128ELj7ELj64E21rocsparse_complex_numIfEEEvi20rocsparse_direction_NS_24const_host_device_scalarIT2_EEPKiS8_PKS5_SA_S6_PS5_21rocsparse_index_base_b.num_named_barrier, 0
	.set _ZN9rocsparseL19gebsrmvn_2xn_kernelILj128ELj7ELj64E21rocsparse_complex_numIfEEEvi20rocsparse_direction_NS_24const_host_device_scalarIT2_EEPKiS8_PKS5_SA_S6_PS5_21rocsparse_index_base_b.private_seg_size, 0
	.set _ZN9rocsparseL19gebsrmvn_2xn_kernelILj128ELj7ELj64E21rocsparse_complex_numIfEEEvi20rocsparse_direction_NS_24const_host_device_scalarIT2_EEPKiS8_PKS5_SA_S6_PS5_21rocsparse_index_base_b.uses_vcc, 1
	.set _ZN9rocsparseL19gebsrmvn_2xn_kernelILj128ELj7ELj64E21rocsparse_complex_numIfEEEvi20rocsparse_direction_NS_24const_host_device_scalarIT2_EEPKiS8_PKS5_SA_S6_PS5_21rocsparse_index_base_b.uses_flat_scratch, 0
	.set _ZN9rocsparseL19gebsrmvn_2xn_kernelILj128ELj7ELj64E21rocsparse_complex_numIfEEEvi20rocsparse_direction_NS_24const_host_device_scalarIT2_EEPKiS8_PKS5_SA_S6_PS5_21rocsparse_index_base_b.has_dyn_sized_stack, 0
	.set _ZN9rocsparseL19gebsrmvn_2xn_kernelILj128ELj7ELj64E21rocsparse_complex_numIfEEEvi20rocsparse_direction_NS_24const_host_device_scalarIT2_EEPKiS8_PKS5_SA_S6_PS5_21rocsparse_index_base_b.has_recursion, 0
	.set _ZN9rocsparseL19gebsrmvn_2xn_kernelILj128ELj7ELj64E21rocsparse_complex_numIfEEEvi20rocsparse_direction_NS_24const_host_device_scalarIT2_EEPKiS8_PKS5_SA_S6_PS5_21rocsparse_index_base_b.has_indirect_call, 0
	.section	.AMDGPU.csdata,"",@progbits
; Kernel info:
; codeLenInByte = 2736
; TotalNumSgprs: 20
; NumVgprs: 38
; ScratchSize: 0
; MemoryBound: 0
; FloatMode: 240
; IeeeMode: 1
; LDSByteSize: 0 bytes/workgroup (compile time only)
; SGPRBlocks: 2
; VGPRBlocks: 9
; NumSGPRsForWavesPerEU: 20
; NumVGPRsForWavesPerEU: 38
; Occupancy: 6
; WaveLimiterHint : 1
; COMPUTE_PGM_RSRC2:SCRATCH_EN: 0
; COMPUTE_PGM_RSRC2:USER_SGPR: 6
; COMPUTE_PGM_RSRC2:TRAP_HANDLER: 0
; COMPUTE_PGM_RSRC2:TGID_X_EN: 1
; COMPUTE_PGM_RSRC2:TGID_Y_EN: 0
; COMPUTE_PGM_RSRC2:TGID_Z_EN: 0
; COMPUTE_PGM_RSRC2:TIDIG_COMP_CNT: 0
	.section	.text._ZN9rocsparseL19gebsrmvn_2xn_kernelILj128ELj8ELj4E21rocsparse_complex_numIfEEEvi20rocsparse_direction_NS_24const_host_device_scalarIT2_EEPKiS8_PKS5_SA_S6_PS5_21rocsparse_index_base_b,"axG",@progbits,_ZN9rocsparseL19gebsrmvn_2xn_kernelILj128ELj8ELj4E21rocsparse_complex_numIfEEEvi20rocsparse_direction_NS_24const_host_device_scalarIT2_EEPKiS8_PKS5_SA_S6_PS5_21rocsparse_index_base_b,comdat
	.globl	_ZN9rocsparseL19gebsrmvn_2xn_kernelILj128ELj8ELj4E21rocsparse_complex_numIfEEEvi20rocsparse_direction_NS_24const_host_device_scalarIT2_EEPKiS8_PKS5_SA_S6_PS5_21rocsparse_index_base_b ; -- Begin function _ZN9rocsparseL19gebsrmvn_2xn_kernelILj128ELj8ELj4E21rocsparse_complex_numIfEEEvi20rocsparse_direction_NS_24const_host_device_scalarIT2_EEPKiS8_PKS5_SA_S6_PS5_21rocsparse_index_base_b
	.p2align	8
	.type	_ZN9rocsparseL19gebsrmvn_2xn_kernelILj128ELj8ELj4E21rocsparse_complex_numIfEEEvi20rocsparse_direction_NS_24const_host_device_scalarIT2_EEPKiS8_PKS5_SA_S6_PS5_21rocsparse_index_base_b,@function
_ZN9rocsparseL19gebsrmvn_2xn_kernelILj128ELj8ELj4E21rocsparse_complex_numIfEEEvi20rocsparse_direction_NS_24const_host_device_scalarIT2_EEPKiS8_PKS5_SA_S6_PS5_21rocsparse_index_base_b: ; @_ZN9rocsparseL19gebsrmvn_2xn_kernelILj128ELj8ELj4E21rocsparse_complex_numIfEEEvi20rocsparse_direction_NS_24const_host_device_scalarIT2_EEPKiS8_PKS5_SA_S6_PS5_21rocsparse_index_base_b
; %bb.0:
	s_load_dwordx2 s[0:1], s[4:5], 0x8
	s_load_dwordx2 s[8:9], s[4:5], 0x30
	;; [unrolled: 1-line block ×3, first 2 shown]
	s_add_u32 s7, s4, 8
	s_addc_u32 s10, s5, 0
	s_add_u32 s11, s4, 48
	s_addc_u32 s12, s5, 0
	s_waitcnt lgkmcnt(0)
	s_bitcmp1_b32 s3, 0
	s_cselect_b32 s1, s10, s1
	s_cselect_b32 s0, s7, s0
	v_mov_b32_e32 v1, s0
	v_mov_b32_e32 v2, s1
	flat_load_dwordx2 v[1:2], v[1:2]
	s_cselect_b32 s0, s12, s9
	s_cselect_b32 s1, s11, s8
	v_mov_b32_e32 v3, s1
	v_mov_b32_e32 v4, s0
	flat_load_dwordx2 v[3:4], v[3:4]
	s_waitcnt vmcnt(0) lgkmcnt(0)
	v_cmp_eq_f32_e32 vcc, 0, v1
	v_cmp_eq_f32_e64 s[0:1], 0, v2
	s_and_b64 s[10:11], vcc, s[0:1]
	s_mov_b64 s[0:1], -1
	s_and_saveexec_b64 s[8:9], s[10:11]
; %bb.1:
	v_cmp_neq_f32_e32 vcc, 1.0, v3
	v_cmp_neq_f32_e64 s[0:1], 0, v4
	s_or_b64 s[0:1], vcc, s[0:1]
	s_orn2_b64 s[0:1], s[0:1], exec
; %bb.2:
	s_or_b64 exec, exec, s[8:9]
	s_and_saveexec_b64 s[8:9], s[0:1]
	s_cbranch_execz .LBB182_21
; %bb.3:
	s_load_dwordx2 s[0:1], s[4:5], 0x0
	v_lshrrev_b32_e32 v5, 2, v0
	v_lshl_or_b32 v5, s6, 5, v5
	s_waitcnt lgkmcnt(0)
	v_cmp_gt_i32_e32 vcc, s0, v5
	s_and_b64 exec, exec, vcc
	s_cbranch_execz .LBB182_21
; %bb.4:
	s_load_dwordx8 s[8:15], s[4:5], 0x10
	v_ashrrev_i32_e32 v6, 31, v5
	v_lshlrev_b64 v[6:7], 2, v[5:6]
	v_and_b32_e32 v0, 3, v0
	s_cmp_lg_u32 s1, 0
	s_waitcnt lgkmcnt(0)
	v_mov_b32_e32 v8, s9
	v_add_co_u32_e32 v6, vcc, s8, v6
	v_addc_co_u32_e32 v7, vcc, v8, v7, vcc
	global_load_dwordx2 v[6:7], v[6:7], off
	s_waitcnt vmcnt(0)
	v_subrev_u32_e32 v6, s2, v6
	v_subrev_u32_e32 v11, s2, v7
	v_add_u32_e32 v6, v6, v0
	v_cmp_lt_i32_e64 s[0:1], v6, v11
	s_cbranch_scc0 .LBB182_10
; %bb.5:
	v_mov_b32_e32 v12, 0
	v_mov_b32_e32 v15, 0
	;; [unrolled: 1-line block ×4, first 2 shown]
	s_and_saveexec_b64 s[6:7], s[0:1]
	s_cbranch_execz .LBB182_9
; %bb.6:
	v_mov_b32_e32 v8, 0
	v_lshlrev_b32_e32 v7, 4, v6
	s_mov_b64 s[8:9], 0
	v_mov_b32_e32 v16, s11
	v_mov_b32_e32 v17, s13
	;; [unrolled: 1-line block ×8, first 2 shown]
.LBB182_7:                              ; =>This Inner Loop Header: Depth=1
	v_lshlrev_b64 v[19:20], 3, v[7:8]
	v_ashrrev_i32_e32 v10, 31, v9
	v_lshlrev_b64 v[21:22], 2, v[9:10]
	v_add_co_u32_e32 v51, vcc, s12, v19
	v_addc_co_u32_e32 v52, vcc, v17, v20, vcc
	v_add_co_u32_e32 v41, vcc, s10, v21
	v_addc_co_u32_e32 v42, vcc, v16, v22, vcc
	global_load_dwordx4 v[19:22], v[51:52], off
	global_load_dwordx4 v[23:26], v[51:52], off offset:16
	global_load_dwordx4 v[27:30], v[51:52], off offset:32
	;; [unrolled: 1-line block ×4, first 2 shown]
	global_load_dword v10, v[41:42], off
	v_mov_b32_e32 v40, v8
	v_add_u32_e32 v9, 4, v9
	v_add_u32_e32 v7, 64, v7
	s_waitcnt vmcnt(0)
	v_subrev_u32_e32 v10, s2, v10
	v_lshlrev_b32_e32 v39, 3, v10
	v_lshlrev_b64 v[39:40], 3, v[39:40]
	v_add_co_u32_e32 v53, vcc, s14, v39
	v_addc_co_u32_e32 v54, vcc, v18, v40, vcc
	global_load_dwordx4 v[39:42], v[53:54], off
	global_load_dwordx4 v[43:46], v[53:54], off offset:16
	v_cmp_ge_i32_e32 vcc, v9, v11
	s_or_b64 s[8:9], vcc, s[8:9]
	s_waitcnt vmcnt(1)
	v_fmac_f32_e32 v15, v19, v39
	v_fmac_f32_e32 v12, v20, v39
	;; [unrolled: 1-line block ×4, first 2 shown]
	v_fma_f32 v10, -v20, v40, v15
	v_fmac_f32_e32 v12, v19, v40
	v_fma_f32 v14, -v22, v40, v14
	v_fmac_f32_e32 v13, v21, v40
	v_fmac_f32_e32 v10, v23, v41
	;; [unrolled: 1-line block ×5, first 2 shown]
	global_load_dwordx4 v[19:22], v[51:52], off offset:80
	v_fma_f32 v10, -v24, v42, v10
	v_fmac_f32_e32 v12, v23, v42
	v_fma_f32 v14, -v26, v42, v14
	v_fmac_f32_e32 v13, v25, v42
	global_load_dwordx4 v[23:26], v[51:52], off offset:96
	global_load_dwordx4 v[39:42], v[53:54], off offset:32
	s_waitcnt vmcnt(3)
	v_fmac_f32_e32 v10, v27, v43
	v_fmac_f32_e32 v12, v28, v43
	;; [unrolled: 1-line block ×4, first 2 shown]
	v_fma_f32 v10, -v28, v44, v10
	v_fmac_f32_e32 v12, v27, v44
	v_fma_f32 v14, -v30, v44, v14
	v_fmac_f32_e32 v13, v29, v44
	global_load_dwordx4 v[27:30], v[53:54], off offset:48
	global_load_dwordx4 v[47:50], v[51:52], off offset:112
	v_fmac_f32_e32 v10, v31, v45
	v_fmac_f32_e32 v12, v32, v45
	;; [unrolled: 1-line block ×4, first 2 shown]
	v_fma_f32 v10, -v32, v46, v10
	v_fmac_f32_e32 v12, v31, v46
	v_fma_f32 v14, -v34, v46, v14
	v_fmac_f32_e32 v13, v33, v46
	s_waitcnt vmcnt(2)
	v_fmac_f32_e32 v10, v35, v39
	v_fmac_f32_e32 v12, v36, v39
	;; [unrolled: 1-line block ×4, first 2 shown]
	v_fma_f32 v10, -v36, v40, v10
	v_fmac_f32_e32 v12, v35, v40
	v_fma_f32 v14, -v38, v40, v14
	v_fmac_f32_e32 v13, v37, v40
	v_fmac_f32_e32 v10, v19, v41
	;; [unrolled: 1-line block ×5, first 2 shown]
	v_fma_f32 v10, -v20, v42, v10
	v_fmac_f32_e32 v12, v19, v42
	v_fma_f32 v14, -v22, v42, v14
	v_fmac_f32_e32 v13, v21, v42
	s_waitcnt vmcnt(1)
	v_fmac_f32_e32 v10, v23, v27
	v_fmac_f32_e32 v12, v24, v27
	;; [unrolled: 1-line block ×4, first 2 shown]
	v_fma_f32 v10, -v24, v28, v10
	v_fmac_f32_e32 v12, v23, v28
	v_fma_f32 v14, -v26, v28, v14
	v_fmac_f32_e32 v13, v25, v28
	s_waitcnt vmcnt(0)
	v_fmac_f32_e32 v10, v47, v29
	v_fmac_f32_e32 v12, v48, v29
	;; [unrolled: 1-line block ×4, first 2 shown]
	v_fma_f32 v15, -v48, v30, v10
	v_fmac_f32_e32 v12, v47, v30
	v_fma_f32 v14, -v50, v30, v14
	v_fmac_f32_e32 v13, v49, v30
	s_andn2_b64 exec, exec, s[8:9]
	s_cbranch_execnz .LBB182_7
; %bb.8:
	s_or_b64 exec, exec, s[8:9]
.LBB182_9:
	s_or_b64 exec, exec, s[6:7]
	s_cbranch_execz .LBB182_11
	s_branch .LBB182_16
.LBB182_10:
                                        ; implicit-def: $vgpr12
                                        ; implicit-def: $vgpr15
                                        ; implicit-def: $vgpr14
                                        ; implicit-def: $vgpr13
.LBB182_11:
	v_mov_b32_e32 v12, 0
	v_mov_b32_e32 v15, 0
	;; [unrolled: 1-line block ×4, first 2 shown]
	s_and_saveexec_b64 s[6:7], s[0:1]
	s_cbranch_execz .LBB182_15
; %bb.12:
	v_mov_b32_e32 v9, 0
	v_lshlrev_b32_e32 v8, 4, v6
	s_mov_b64 s[0:1], 0
	v_mov_b32_e32 v10, s11
	v_mov_b32_e32 v16, s13
	;; [unrolled: 1-line block ×7, first 2 shown]
.LBB182_13:                             ; =>This Inner Loop Header: Depth=1
	v_lshlrev_b64 v[18:19], 3, v[8:9]
	v_ashrrev_i32_e32 v7, 31, v6
	v_lshlrev_b64 v[20:21], 2, v[6:7]
	v_add_co_u32_e32 v38, vcc, s12, v18
	v_addc_co_u32_e32 v39, vcc, v16, v19, vcc
	v_add_co_u32_e32 v28, vcc, s10, v20
	v_addc_co_u32_e32 v29, vcc, v10, v21, vcc
	global_load_dwordx4 v[18:21], v[38:39], off
	global_load_dwordx4 v[22:25], v[38:39], off offset:16
	global_load_dword v7, v[28:29], off
	v_mov_b32_e32 v27, v9
	v_add_u32_e32 v6, 4, v6
	v_add_u32_e32 v8, 64, v8
	s_waitcnt vmcnt(0)
	v_subrev_u32_e32 v7, s2, v7
	v_lshlrev_b32_e32 v26, 3, v7
	v_lshlrev_b64 v[26:27], 3, v[26:27]
	v_add_co_u32_e32 v40, vcc, s14, v26
	v_addc_co_u32_e32 v41, vcc, v17, v27, vcc
	global_load_dwordx4 v[26:29], v[40:41], off
	global_load_dwordx4 v[30:33], v[40:41], off offset:16
	v_cmp_ge_i32_e32 vcc, v6, v11
	s_or_b64 s[0:1], vcc, s[0:1]
	s_waitcnt vmcnt(1)
	v_fmac_f32_e32 v15, v18, v26
	v_fmac_f32_e32 v12, v19, v26
	v_fma_f32 v7, -v19, v27, v15
	v_fmac_f32_e32 v12, v18, v27
	v_fmac_f32_e32 v7, v20, v28
	;; [unrolled: 1-line block ×3, first 2 shown]
	v_fma_f32 v7, -v21, v29, v7
	v_fmac_f32_e32 v12, v20, v29
	global_load_dwordx4 v[18:21], v[38:39], off offset:64
	global_load_dwordx4 v[34:37], v[38:39], off offset:80
	s_waitcnt vmcnt(2)
	v_fmac_f32_e32 v7, v22, v30
	v_fmac_f32_e32 v12, v23, v30
	v_fma_f32 v7, -v23, v31, v7
	v_fmac_f32_e32 v12, v22, v31
	v_fmac_f32_e32 v7, v24, v32
	;; [unrolled: 1-line block ×3, first 2 shown]
	v_fma_f32 v7, -v25, v33, v7
	v_fmac_f32_e32 v12, v24, v33
	s_waitcnt vmcnt(1)
	v_fmac_f32_e32 v14, v18, v26
	v_fmac_f32_e32 v13, v19, v26
	v_fma_f32 v14, -v19, v27, v14
	v_fmac_f32_e32 v13, v18, v27
	v_fmac_f32_e32 v14, v20, v28
	;; [unrolled: 1-line block ×3, first 2 shown]
	v_fma_f32 v14, -v21, v29, v14
	v_fmac_f32_e32 v13, v20, v29
	s_waitcnt vmcnt(0)
	v_fmac_f32_e32 v14, v34, v30
	v_fmac_f32_e32 v13, v35, v30
	v_fma_f32 v14, -v35, v31, v14
	v_fmac_f32_e32 v13, v34, v31
	global_load_dwordx4 v[18:21], v[38:39], off offset:32
	v_fmac_f32_e32 v14, v36, v32
	v_fmac_f32_e32 v13, v37, v32
	v_fma_f32 v14, -v37, v33, v14
	v_fmac_f32_e32 v13, v36, v33
	global_load_dwordx4 v[22:25], v[38:39], off offset:48
	global_load_dwordx4 v[26:29], v[40:41], off offset:32
	;; [unrolled: 1-line block ×3, first 2 shown]
	s_waitcnt vmcnt(1)
	v_fmac_f32_e32 v7, v18, v26
	v_fmac_f32_e32 v12, v19, v26
	v_fma_f32 v7, -v19, v27, v7
	v_fmac_f32_e32 v12, v18, v27
	v_fmac_f32_e32 v7, v20, v28
	;; [unrolled: 1-line block ×3, first 2 shown]
	v_fma_f32 v7, -v21, v29, v7
	v_fmac_f32_e32 v12, v20, v29
	global_load_dwordx4 v[18:21], v[38:39], off offset:96
	global_load_dwordx4 v[34:37], v[38:39], off offset:112
	s_waitcnt vmcnt(2)
	v_fmac_f32_e32 v7, v22, v30
	v_fmac_f32_e32 v12, v23, v30
	v_fma_f32 v7, -v23, v31, v7
	v_fmac_f32_e32 v12, v22, v31
	v_fmac_f32_e32 v7, v24, v32
	v_fmac_f32_e32 v12, v25, v32
	v_fma_f32 v15, -v25, v33, v7
	v_fmac_f32_e32 v12, v24, v33
	s_waitcnt vmcnt(1)
	v_fmac_f32_e32 v14, v18, v26
	v_fmac_f32_e32 v13, v19, v26
	v_fma_f32 v14, -v19, v27, v14
	v_fmac_f32_e32 v13, v18, v27
	v_fmac_f32_e32 v14, v20, v28
	v_fmac_f32_e32 v13, v21, v28
	v_fma_f32 v14, -v21, v29, v14
	v_fmac_f32_e32 v13, v20, v29
	;; [unrolled: 9-line block ×3, first 2 shown]
	s_andn2_b64 exec, exec, s[0:1]
	s_cbranch_execnz .LBB182_13
; %bb.14:
	s_or_b64 exec, exec, s[0:1]
.LBB182_15:
	s_or_b64 exec, exec, s[6:7]
.LBB182_16:
	v_mov_b32_dpp v8, v12 row_shr:1 row_mask:0xf bank_mask:0xf
	v_mov_b32_dpp v6, v15 row_shr:1 row_mask:0xf bank_mask:0xf
	v_add_f32_e32 v8, v12, v8
	v_mov_b32_dpp v10, v14 row_shr:1 row_mask:0xf bank_mask:0xf
	v_mov_b32_dpp v12, v13 row_shr:1 row_mask:0xf bank_mask:0xf
	v_add_f32_e32 v6, v15, v6
	v_add_f32_e32 v10, v14, v10
	;; [unrolled: 1-line block ×3, first 2 shown]
	v_mov_b32_dpp v7, v6 row_shr:2 row_mask:0xf bank_mask:0xf
	v_mov_b32_dpp v9, v8 row_shr:2 row_mask:0xf bank_mask:0xf
	;; [unrolled: 1-line block ×4, first 2 shown]
	v_cmp_eq_u32_e32 vcc, 3, v0
	s_and_b64 exec, exec, vcc
	s_cbranch_execz .LBB182_21
; %bb.17:
	s_load_dwordx2 s[2:3], s[4:5], 0x38
	v_cmp_eq_f32_e32 vcc, 0, v3
	v_cmp_eq_f32_e64 s[0:1], 0, v4
	v_add_f32_e32 v7, v6, v7
	v_add_f32_e32 v8, v8, v9
	;; [unrolled: 1-line block ×4, first 2 shown]
	s_and_b64 s[0:1], vcc, s[0:1]
	s_and_saveexec_b64 s[4:5], s[0:1]
	s_xor_b64 s[0:1], exec, s[4:5]
	s_cbranch_execz .LBB182_19
; %bb.18:
	v_mul_f32_e64 v3, v8, -v2
	v_mul_f32_e32 v4, v1, v8
	v_fmac_f32_e32 v3, v1, v7
	v_fmac_f32_e32 v4, v2, v7
	v_lshlrev_b32_e32 v7, 1, v5
	v_ashrrev_i32_e32 v8, 31, v7
	v_lshlrev_b64 v[7:8], 3, v[7:8]
	s_waitcnt lgkmcnt(0)
	v_mov_b32_e32 v5, s3
	v_add_co_u32_e32 v7, vcc, s2, v7
	v_addc_co_u32_e32 v8, vcc, v5, v8, vcc
	v_mul_f32_e64 v5, v6, -v2
	v_mul_f32_e32 v6, v1, v6
	v_fmac_f32_e32 v5, v1, v0
	v_fmac_f32_e32 v6, v2, v0
	global_store_dwordx4 v[7:8], v[3:6], off
                                        ; implicit-def: $vgpr5
                                        ; implicit-def: $vgpr1_vgpr2
                                        ; implicit-def: $vgpr8
                                        ; implicit-def: $vgpr7
                                        ; implicit-def: $vgpr3_vgpr4
                                        ; implicit-def: $vgpr6
                                        ; implicit-def: $vgpr0
.LBB182_19:
	s_andn2_saveexec_b64 s[0:1], s[0:1]
	s_cbranch_execz .LBB182_21
; %bb.20:
	v_lshlrev_b32_e32 v9, 1, v5
	v_ashrrev_i32_e32 v10, 31, v9
	v_lshlrev_b64 v[9:10], 3, v[9:10]
	s_waitcnt lgkmcnt(0)
	v_mov_b32_e32 v5, s3
	v_add_co_u32_e32 v17, vcc, s2, v9
	v_addc_co_u32_e32 v18, vcc, v5, v10, vcc
	global_load_dwordx4 v[9:12], v[17:18], off
	v_mul_f32_e64 v5, v8, -v2
	v_mul_f32_e32 v14, v1, v8
	v_mul_f32_e64 v8, v6, -v2
	v_mul_f32_e32 v16, v1, v6
	v_fmac_f32_e32 v5, v1, v7
	v_fmac_f32_e32 v14, v2, v7
	;; [unrolled: 1-line block ×4, first 2 shown]
	s_waitcnt vmcnt(0)
	v_fmac_f32_e32 v5, v3, v9
	v_fmac_f32_e32 v14, v4, v9
	;; [unrolled: 1-line block ×4, first 2 shown]
	v_fma_f32 v13, -v4, v10, v5
	v_fmac_f32_e32 v14, v3, v10
	v_fma_f32 v15, -v4, v12, v8
	v_fmac_f32_e32 v16, v3, v12
	global_store_dwordx4 v[17:18], v[13:16], off
.LBB182_21:
	s_endpgm
	.section	.rodata,"a",@progbits
	.p2align	6, 0x0
	.amdhsa_kernel _ZN9rocsparseL19gebsrmvn_2xn_kernelILj128ELj8ELj4E21rocsparse_complex_numIfEEEvi20rocsparse_direction_NS_24const_host_device_scalarIT2_EEPKiS8_PKS5_SA_S6_PS5_21rocsparse_index_base_b
		.amdhsa_group_segment_fixed_size 0
		.amdhsa_private_segment_fixed_size 0
		.amdhsa_kernarg_size 72
		.amdhsa_user_sgpr_count 6
		.amdhsa_user_sgpr_private_segment_buffer 1
		.amdhsa_user_sgpr_dispatch_ptr 0
		.amdhsa_user_sgpr_queue_ptr 0
		.amdhsa_user_sgpr_kernarg_segment_ptr 1
		.amdhsa_user_sgpr_dispatch_id 0
		.amdhsa_user_sgpr_flat_scratch_init 0
		.amdhsa_user_sgpr_private_segment_size 0
		.amdhsa_uses_dynamic_stack 0
		.amdhsa_system_sgpr_private_segment_wavefront_offset 0
		.amdhsa_system_sgpr_workgroup_id_x 1
		.amdhsa_system_sgpr_workgroup_id_y 0
		.amdhsa_system_sgpr_workgroup_id_z 0
		.amdhsa_system_sgpr_workgroup_info 0
		.amdhsa_system_vgpr_workitem_id 0
		.amdhsa_next_free_vgpr 55
		.amdhsa_next_free_sgpr 16
		.amdhsa_reserve_vcc 1
		.amdhsa_reserve_flat_scratch 0
		.amdhsa_float_round_mode_32 0
		.amdhsa_float_round_mode_16_64 0
		.amdhsa_float_denorm_mode_32 3
		.amdhsa_float_denorm_mode_16_64 3
		.amdhsa_dx10_clamp 1
		.amdhsa_ieee_mode 1
		.amdhsa_fp16_overflow 0
		.amdhsa_exception_fp_ieee_invalid_op 0
		.amdhsa_exception_fp_denorm_src 0
		.amdhsa_exception_fp_ieee_div_zero 0
		.amdhsa_exception_fp_ieee_overflow 0
		.amdhsa_exception_fp_ieee_underflow 0
		.amdhsa_exception_fp_ieee_inexact 0
		.amdhsa_exception_int_div_zero 0
	.end_amdhsa_kernel
	.section	.text._ZN9rocsparseL19gebsrmvn_2xn_kernelILj128ELj8ELj4E21rocsparse_complex_numIfEEEvi20rocsparse_direction_NS_24const_host_device_scalarIT2_EEPKiS8_PKS5_SA_S6_PS5_21rocsparse_index_base_b,"axG",@progbits,_ZN9rocsparseL19gebsrmvn_2xn_kernelILj128ELj8ELj4E21rocsparse_complex_numIfEEEvi20rocsparse_direction_NS_24const_host_device_scalarIT2_EEPKiS8_PKS5_SA_S6_PS5_21rocsparse_index_base_b,comdat
.Lfunc_end182:
	.size	_ZN9rocsparseL19gebsrmvn_2xn_kernelILj128ELj8ELj4E21rocsparse_complex_numIfEEEvi20rocsparse_direction_NS_24const_host_device_scalarIT2_EEPKiS8_PKS5_SA_S6_PS5_21rocsparse_index_base_b, .Lfunc_end182-_ZN9rocsparseL19gebsrmvn_2xn_kernelILj128ELj8ELj4E21rocsparse_complex_numIfEEEvi20rocsparse_direction_NS_24const_host_device_scalarIT2_EEPKiS8_PKS5_SA_S6_PS5_21rocsparse_index_base_b
                                        ; -- End function
	.set _ZN9rocsparseL19gebsrmvn_2xn_kernelILj128ELj8ELj4E21rocsparse_complex_numIfEEEvi20rocsparse_direction_NS_24const_host_device_scalarIT2_EEPKiS8_PKS5_SA_S6_PS5_21rocsparse_index_base_b.num_vgpr, 55
	.set _ZN9rocsparseL19gebsrmvn_2xn_kernelILj128ELj8ELj4E21rocsparse_complex_numIfEEEvi20rocsparse_direction_NS_24const_host_device_scalarIT2_EEPKiS8_PKS5_SA_S6_PS5_21rocsparse_index_base_b.num_agpr, 0
	.set _ZN9rocsparseL19gebsrmvn_2xn_kernelILj128ELj8ELj4E21rocsparse_complex_numIfEEEvi20rocsparse_direction_NS_24const_host_device_scalarIT2_EEPKiS8_PKS5_SA_S6_PS5_21rocsparse_index_base_b.numbered_sgpr, 16
	.set _ZN9rocsparseL19gebsrmvn_2xn_kernelILj128ELj8ELj4E21rocsparse_complex_numIfEEEvi20rocsparse_direction_NS_24const_host_device_scalarIT2_EEPKiS8_PKS5_SA_S6_PS5_21rocsparse_index_base_b.num_named_barrier, 0
	.set _ZN9rocsparseL19gebsrmvn_2xn_kernelILj128ELj8ELj4E21rocsparse_complex_numIfEEEvi20rocsparse_direction_NS_24const_host_device_scalarIT2_EEPKiS8_PKS5_SA_S6_PS5_21rocsparse_index_base_b.private_seg_size, 0
	.set _ZN9rocsparseL19gebsrmvn_2xn_kernelILj128ELj8ELj4E21rocsparse_complex_numIfEEEvi20rocsparse_direction_NS_24const_host_device_scalarIT2_EEPKiS8_PKS5_SA_S6_PS5_21rocsparse_index_base_b.uses_vcc, 1
	.set _ZN9rocsparseL19gebsrmvn_2xn_kernelILj128ELj8ELj4E21rocsparse_complex_numIfEEEvi20rocsparse_direction_NS_24const_host_device_scalarIT2_EEPKiS8_PKS5_SA_S6_PS5_21rocsparse_index_base_b.uses_flat_scratch, 0
	.set _ZN9rocsparseL19gebsrmvn_2xn_kernelILj128ELj8ELj4E21rocsparse_complex_numIfEEEvi20rocsparse_direction_NS_24const_host_device_scalarIT2_EEPKiS8_PKS5_SA_S6_PS5_21rocsparse_index_base_b.has_dyn_sized_stack, 0
	.set _ZN9rocsparseL19gebsrmvn_2xn_kernelILj128ELj8ELj4E21rocsparse_complex_numIfEEEvi20rocsparse_direction_NS_24const_host_device_scalarIT2_EEPKiS8_PKS5_SA_S6_PS5_21rocsparse_index_base_b.has_recursion, 0
	.set _ZN9rocsparseL19gebsrmvn_2xn_kernelILj128ELj8ELj4E21rocsparse_complex_numIfEEEvi20rocsparse_direction_NS_24const_host_device_scalarIT2_EEPKiS8_PKS5_SA_S6_PS5_21rocsparse_index_base_b.has_indirect_call, 0
	.section	.AMDGPU.csdata,"",@progbits
; Kernel info:
; codeLenInByte = 1880
; TotalNumSgprs: 20
; NumVgprs: 55
; ScratchSize: 0
; MemoryBound: 0
; FloatMode: 240
; IeeeMode: 1
; LDSByteSize: 0 bytes/workgroup (compile time only)
; SGPRBlocks: 2
; VGPRBlocks: 13
; NumSGPRsForWavesPerEU: 20
; NumVGPRsForWavesPerEU: 55
; Occupancy: 4
; WaveLimiterHint : 1
; COMPUTE_PGM_RSRC2:SCRATCH_EN: 0
; COMPUTE_PGM_RSRC2:USER_SGPR: 6
; COMPUTE_PGM_RSRC2:TRAP_HANDLER: 0
; COMPUTE_PGM_RSRC2:TGID_X_EN: 1
; COMPUTE_PGM_RSRC2:TGID_Y_EN: 0
; COMPUTE_PGM_RSRC2:TGID_Z_EN: 0
; COMPUTE_PGM_RSRC2:TIDIG_COMP_CNT: 0
	.section	.text._ZN9rocsparseL19gebsrmvn_2xn_kernelILj128ELj8ELj8E21rocsparse_complex_numIfEEEvi20rocsparse_direction_NS_24const_host_device_scalarIT2_EEPKiS8_PKS5_SA_S6_PS5_21rocsparse_index_base_b,"axG",@progbits,_ZN9rocsparseL19gebsrmvn_2xn_kernelILj128ELj8ELj8E21rocsparse_complex_numIfEEEvi20rocsparse_direction_NS_24const_host_device_scalarIT2_EEPKiS8_PKS5_SA_S6_PS5_21rocsparse_index_base_b,comdat
	.globl	_ZN9rocsparseL19gebsrmvn_2xn_kernelILj128ELj8ELj8E21rocsparse_complex_numIfEEEvi20rocsparse_direction_NS_24const_host_device_scalarIT2_EEPKiS8_PKS5_SA_S6_PS5_21rocsparse_index_base_b ; -- Begin function _ZN9rocsparseL19gebsrmvn_2xn_kernelILj128ELj8ELj8E21rocsparse_complex_numIfEEEvi20rocsparse_direction_NS_24const_host_device_scalarIT2_EEPKiS8_PKS5_SA_S6_PS5_21rocsparse_index_base_b
	.p2align	8
	.type	_ZN9rocsparseL19gebsrmvn_2xn_kernelILj128ELj8ELj8E21rocsparse_complex_numIfEEEvi20rocsparse_direction_NS_24const_host_device_scalarIT2_EEPKiS8_PKS5_SA_S6_PS5_21rocsparse_index_base_b,@function
_ZN9rocsparseL19gebsrmvn_2xn_kernelILj128ELj8ELj8E21rocsparse_complex_numIfEEEvi20rocsparse_direction_NS_24const_host_device_scalarIT2_EEPKiS8_PKS5_SA_S6_PS5_21rocsparse_index_base_b: ; @_ZN9rocsparseL19gebsrmvn_2xn_kernelILj128ELj8ELj8E21rocsparse_complex_numIfEEEvi20rocsparse_direction_NS_24const_host_device_scalarIT2_EEPKiS8_PKS5_SA_S6_PS5_21rocsparse_index_base_b
; %bb.0:
	s_load_dwordx2 s[0:1], s[4:5], 0x8
	s_load_dwordx2 s[8:9], s[4:5], 0x30
	;; [unrolled: 1-line block ×3, first 2 shown]
	s_add_u32 s7, s4, 8
	s_addc_u32 s10, s5, 0
	s_add_u32 s11, s4, 48
	s_addc_u32 s12, s5, 0
	s_waitcnt lgkmcnt(0)
	s_bitcmp1_b32 s3, 0
	s_cselect_b32 s1, s10, s1
	s_cselect_b32 s0, s7, s0
	v_mov_b32_e32 v1, s0
	v_mov_b32_e32 v2, s1
	flat_load_dwordx2 v[1:2], v[1:2]
	s_cselect_b32 s0, s12, s9
	s_cselect_b32 s1, s11, s8
	v_mov_b32_e32 v3, s1
	v_mov_b32_e32 v4, s0
	flat_load_dwordx2 v[3:4], v[3:4]
	s_waitcnt vmcnt(0) lgkmcnt(0)
	v_cmp_eq_f32_e32 vcc, 0, v1
	v_cmp_eq_f32_e64 s[0:1], 0, v2
	s_and_b64 s[10:11], vcc, s[0:1]
	s_mov_b64 s[0:1], -1
	s_and_saveexec_b64 s[8:9], s[10:11]
; %bb.1:
	v_cmp_neq_f32_e32 vcc, 1.0, v3
	v_cmp_neq_f32_e64 s[0:1], 0, v4
	s_or_b64 s[0:1], vcc, s[0:1]
	s_orn2_b64 s[0:1], s[0:1], exec
; %bb.2:
	s_or_b64 exec, exec, s[8:9]
	s_and_saveexec_b64 s[8:9], s[0:1]
	s_cbranch_execz .LBB183_21
; %bb.3:
	s_load_dwordx2 s[0:1], s[4:5], 0x0
	v_lshrrev_b32_e32 v5, 3, v0
	v_lshl_or_b32 v5, s6, 4, v5
	s_waitcnt lgkmcnt(0)
	v_cmp_gt_i32_e32 vcc, s0, v5
	s_and_b64 exec, exec, vcc
	s_cbranch_execz .LBB183_21
; %bb.4:
	s_load_dwordx8 s[8:15], s[4:5], 0x10
	v_ashrrev_i32_e32 v6, 31, v5
	v_lshlrev_b64 v[6:7], 2, v[5:6]
	v_and_b32_e32 v0, 7, v0
	s_cmp_lg_u32 s1, 0
	s_waitcnt lgkmcnt(0)
	v_mov_b32_e32 v8, s9
	v_add_co_u32_e32 v6, vcc, s8, v6
	v_addc_co_u32_e32 v7, vcc, v8, v7, vcc
	global_load_dwordx2 v[6:7], v[6:7], off
	s_waitcnt vmcnt(0)
	v_subrev_u32_e32 v6, s2, v6
	v_subrev_u32_e32 v11, s2, v7
	v_add_u32_e32 v6, v6, v0
	v_cmp_lt_i32_e64 s[0:1], v6, v11
	s_cbranch_scc0 .LBB183_10
; %bb.5:
	v_mov_b32_e32 v12, 0
	v_mov_b32_e32 v15, 0
	;; [unrolled: 1-line block ×4, first 2 shown]
	s_and_saveexec_b64 s[6:7], s[0:1]
	s_cbranch_execz .LBB183_9
; %bb.6:
	v_mov_b32_e32 v8, 0
	v_lshlrev_b32_e32 v7, 4, v6
	s_mov_b64 s[8:9], 0
	v_mov_b32_e32 v16, s11
	v_mov_b32_e32 v17, s13
	;; [unrolled: 1-line block ×8, first 2 shown]
.LBB183_7:                              ; =>This Inner Loop Header: Depth=1
	v_lshlrev_b64 v[19:20], 3, v[7:8]
	v_ashrrev_i32_e32 v10, 31, v9
	v_lshlrev_b64 v[21:22], 2, v[9:10]
	v_add_co_u32_e32 v51, vcc, s12, v19
	v_addc_co_u32_e32 v52, vcc, v17, v20, vcc
	v_add_co_u32_e32 v41, vcc, s10, v21
	v_addc_co_u32_e32 v42, vcc, v16, v22, vcc
	global_load_dwordx4 v[19:22], v[51:52], off
	global_load_dwordx4 v[23:26], v[51:52], off offset:16
	global_load_dwordx4 v[27:30], v[51:52], off offset:32
	;; [unrolled: 1-line block ×4, first 2 shown]
	global_load_dword v10, v[41:42], off
	v_mov_b32_e32 v40, v8
	v_add_u32_e32 v9, 8, v9
	v_add_u32_e32 v7, 0x80, v7
	s_waitcnt vmcnt(0)
	v_subrev_u32_e32 v10, s2, v10
	v_lshlrev_b32_e32 v39, 3, v10
	v_lshlrev_b64 v[39:40], 3, v[39:40]
	v_add_co_u32_e32 v53, vcc, s14, v39
	v_addc_co_u32_e32 v54, vcc, v18, v40, vcc
	global_load_dwordx4 v[39:42], v[53:54], off
	global_load_dwordx4 v[43:46], v[53:54], off offset:16
	v_cmp_ge_i32_e32 vcc, v9, v11
	s_or_b64 s[8:9], vcc, s[8:9]
	s_waitcnt vmcnt(1)
	v_fmac_f32_e32 v15, v19, v39
	v_fmac_f32_e32 v12, v20, v39
	;; [unrolled: 1-line block ×4, first 2 shown]
	v_fma_f32 v10, -v20, v40, v15
	v_fmac_f32_e32 v12, v19, v40
	v_fma_f32 v14, -v22, v40, v14
	v_fmac_f32_e32 v13, v21, v40
	v_fmac_f32_e32 v10, v23, v41
	;; [unrolled: 1-line block ×5, first 2 shown]
	global_load_dwordx4 v[19:22], v[51:52], off offset:80
	v_fma_f32 v10, -v24, v42, v10
	v_fmac_f32_e32 v12, v23, v42
	v_fma_f32 v14, -v26, v42, v14
	v_fmac_f32_e32 v13, v25, v42
	global_load_dwordx4 v[23:26], v[51:52], off offset:96
	global_load_dwordx4 v[39:42], v[53:54], off offset:32
	s_waitcnt vmcnt(3)
	v_fmac_f32_e32 v10, v27, v43
	v_fmac_f32_e32 v12, v28, v43
	;; [unrolled: 1-line block ×4, first 2 shown]
	v_fma_f32 v10, -v28, v44, v10
	v_fmac_f32_e32 v12, v27, v44
	v_fma_f32 v14, -v30, v44, v14
	v_fmac_f32_e32 v13, v29, v44
	global_load_dwordx4 v[27:30], v[53:54], off offset:48
	global_load_dwordx4 v[47:50], v[51:52], off offset:112
	v_fmac_f32_e32 v10, v31, v45
	v_fmac_f32_e32 v12, v32, v45
	;; [unrolled: 1-line block ×4, first 2 shown]
	v_fma_f32 v10, -v32, v46, v10
	v_fmac_f32_e32 v12, v31, v46
	v_fma_f32 v14, -v34, v46, v14
	v_fmac_f32_e32 v13, v33, v46
	s_waitcnt vmcnt(2)
	v_fmac_f32_e32 v10, v35, v39
	v_fmac_f32_e32 v12, v36, v39
	;; [unrolled: 1-line block ×4, first 2 shown]
	v_fma_f32 v10, -v36, v40, v10
	v_fmac_f32_e32 v12, v35, v40
	v_fma_f32 v14, -v38, v40, v14
	v_fmac_f32_e32 v13, v37, v40
	v_fmac_f32_e32 v10, v19, v41
	;; [unrolled: 1-line block ×5, first 2 shown]
	v_fma_f32 v10, -v20, v42, v10
	v_fmac_f32_e32 v12, v19, v42
	v_fma_f32 v14, -v22, v42, v14
	v_fmac_f32_e32 v13, v21, v42
	s_waitcnt vmcnt(1)
	v_fmac_f32_e32 v10, v23, v27
	v_fmac_f32_e32 v12, v24, v27
	;; [unrolled: 1-line block ×4, first 2 shown]
	v_fma_f32 v10, -v24, v28, v10
	v_fmac_f32_e32 v12, v23, v28
	v_fma_f32 v14, -v26, v28, v14
	v_fmac_f32_e32 v13, v25, v28
	s_waitcnt vmcnt(0)
	v_fmac_f32_e32 v10, v47, v29
	v_fmac_f32_e32 v12, v48, v29
	;; [unrolled: 1-line block ×4, first 2 shown]
	v_fma_f32 v15, -v48, v30, v10
	v_fmac_f32_e32 v12, v47, v30
	v_fma_f32 v14, -v50, v30, v14
	v_fmac_f32_e32 v13, v49, v30
	s_andn2_b64 exec, exec, s[8:9]
	s_cbranch_execnz .LBB183_7
; %bb.8:
	s_or_b64 exec, exec, s[8:9]
.LBB183_9:
	s_or_b64 exec, exec, s[6:7]
	s_cbranch_execz .LBB183_11
	s_branch .LBB183_16
.LBB183_10:
                                        ; implicit-def: $vgpr12
                                        ; implicit-def: $vgpr15
                                        ; implicit-def: $vgpr14
                                        ; implicit-def: $vgpr13
.LBB183_11:
	v_mov_b32_e32 v12, 0
	v_mov_b32_e32 v15, 0
	;; [unrolled: 1-line block ×4, first 2 shown]
	s_and_saveexec_b64 s[6:7], s[0:1]
	s_cbranch_execz .LBB183_15
; %bb.12:
	v_mov_b32_e32 v9, 0
	v_lshlrev_b32_e32 v8, 4, v6
	s_mov_b64 s[0:1], 0
	v_mov_b32_e32 v10, s11
	v_mov_b32_e32 v16, s13
	;; [unrolled: 1-line block ×7, first 2 shown]
.LBB183_13:                             ; =>This Inner Loop Header: Depth=1
	v_lshlrev_b64 v[18:19], 3, v[8:9]
	v_ashrrev_i32_e32 v7, 31, v6
	v_lshlrev_b64 v[20:21], 2, v[6:7]
	v_add_co_u32_e32 v38, vcc, s12, v18
	v_addc_co_u32_e32 v39, vcc, v16, v19, vcc
	v_add_co_u32_e32 v28, vcc, s10, v20
	v_addc_co_u32_e32 v29, vcc, v10, v21, vcc
	global_load_dwordx4 v[18:21], v[38:39], off
	global_load_dwordx4 v[22:25], v[38:39], off offset:16
	global_load_dword v7, v[28:29], off
	v_mov_b32_e32 v27, v9
	v_add_u32_e32 v6, 8, v6
	v_add_u32_e32 v8, 0x80, v8
	s_waitcnt vmcnt(0)
	v_subrev_u32_e32 v7, s2, v7
	v_lshlrev_b32_e32 v26, 3, v7
	v_lshlrev_b64 v[26:27], 3, v[26:27]
	v_add_co_u32_e32 v40, vcc, s14, v26
	v_addc_co_u32_e32 v41, vcc, v17, v27, vcc
	global_load_dwordx4 v[26:29], v[40:41], off
	global_load_dwordx4 v[30:33], v[40:41], off offset:16
	v_cmp_ge_i32_e32 vcc, v6, v11
	s_or_b64 s[0:1], vcc, s[0:1]
	s_waitcnt vmcnt(1)
	v_fmac_f32_e32 v15, v18, v26
	v_fmac_f32_e32 v12, v19, v26
	v_fma_f32 v7, -v19, v27, v15
	v_fmac_f32_e32 v12, v18, v27
	v_fmac_f32_e32 v7, v20, v28
	;; [unrolled: 1-line block ×3, first 2 shown]
	v_fma_f32 v7, -v21, v29, v7
	v_fmac_f32_e32 v12, v20, v29
	global_load_dwordx4 v[18:21], v[38:39], off offset:64
	global_load_dwordx4 v[34:37], v[38:39], off offset:80
	s_waitcnt vmcnt(2)
	v_fmac_f32_e32 v7, v22, v30
	v_fmac_f32_e32 v12, v23, v30
	v_fma_f32 v7, -v23, v31, v7
	v_fmac_f32_e32 v12, v22, v31
	v_fmac_f32_e32 v7, v24, v32
	;; [unrolled: 1-line block ×3, first 2 shown]
	v_fma_f32 v7, -v25, v33, v7
	v_fmac_f32_e32 v12, v24, v33
	s_waitcnt vmcnt(1)
	v_fmac_f32_e32 v14, v18, v26
	v_fmac_f32_e32 v13, v19, v26
	v_fma_f32 v14, -v19, v27, v14
	v_fmac_f32_e32 v13, v18, v27
	v_fmac_f32_e32 v14, v20, v28
	;; [unrolled: 1-line block ×3, first 2 shown]
	v_fma_f32 v14, -v21, v29, v14
	v_fmac_f32_e32 v13, v20, v29
	s_waitcnt vmcnt(0)
	v_fmac_f32_e32 v14, v34, v30
	v_fmac_f32_e32 v13, v35, v30
	v_fma_f32 v14, -v35, v31, v14
	v_fmac_f32_e32 v13, v34, v31
	global_load_dwordx4 v[18:21], v[38:39], off offset:32
	v_fmac_f32_e32 v14, v36, v32
	v_fmac_f32_e32 v13, v37, v32
	v_fma_f32 v14, -v37, v33, v14
	v_fmac_f32_e32 v13, v36, v33
	global_load_dwordx4 v[22:25], v[38:39], off offset:48
	global_load_dwordx4 v[26:29], v[40:41], off offset:32
	;; [unrolled: 1-line block ×3, first 2 shown]
	s_waitcnt vmcnt(1)
	v_fmac_f32_e32 v7, v18, v26
	v_fmac_f32_e32 v12, v19, v26
	v_fma_f32 v7, -v19, v27, v7
	v_fmac_f32_e32 v12, v18, v27
	v_fmac_f32_e32 v7, v20, v28
	;; [unrolled: 1-line block ×3, first 2 shown]
	v_fma_f32 v7, -v21, v29, v7
	v_fmac_f32_e32 v12, v20, v29
	global_load_dwordx4 v[18:21], v[38:39], off offset:96
	global_load_dwordx4 v[34:37], v[38:39], off offset:112
	s_waitcnt vmcnt(2)
	v_fmac_f32_e32 v7, v22, v30
	v_fmac_f32_e32 v12, v23, v30
	v_fma_f32 v7, -v23, v31, v7
	v_fmac_f32_e32 v12, v22, v31
	v_fmac_f32_e32 v7, v24, v32
	v_fmac_f32_e32 v12, v25, v32
	v_fma_f32 v15, -v25, v33, v7
	v_fmac_f32_e32 v12, v24, v33
	s_waitcnt vmcnt(1)
	v_fmac_f32_e32 v14, v18, v26
	v_fmac_f32_e32 v13, v19, v26
	v_fma_f32 v14, -v19, v27, v14
	v_fmac_f32_e32 v13, v18, v27
	v_fmac_f32_e32 v14, v20, v28
	v_fmac_f32_e32 v13, v21, v28
	v_fma_f32 v14, -v21, v29, v14
	v_fmac_f32_e32 v13, v20, v29
	;; [unrolled: 9-line block ×3, first 2 shown]
	s_andn2_b64 exec, exec, s[0:1]
	s_cbranch_execnz .LBB183_13
; %bb.14:
	s_or_b64 exec, exec, s[0:1]
.LBB183_15:
	s_or_b64 exec, exec, s[6:7]
.LBB183_16:
	v_mov_b32_dpp v8, v12 row_shr:1 row_mask:0xf bank_mask:0xf
	v_mov_b32_dpp v6, v15 row_shr:1 row_mask:0xf bank_mask:0xf
	v_add_f32_e32 v8, v12, v8
	v_mov_b32_dpp v10, v14 row_shr:1 row_mask:0xf bank_mask:0xf
	v_mov_b32_dpp v12, v13 row_shr:1 row_mask:0xf bank_mask:0xf
	v_add_f32_e32 v6, v15, v6
	v_add_f32_e32 v10, v14, v10
	;; [unrolled: 1-line block ×3, first 2 shown]
	v_mov_b32_dpp v7, v6 row_shr:2 row_mask:0xf bank_mask:0xf
	v_mov_b32_dpp v9, v8 row_shr:2 row_mask:0xf bank_mask:0xf
	;; [unrolled: 1-line block ×4, first 2 shown]
	v_add_f32_e32 v6, v6, v7
	v_add_f32_e32 v8, v8, v9
	;; [unrolled: 1-line block ×4, first 2 shown]
	v_mov_b32_dpp v7, v6 row_shr:4 row_mask:0xf bank_mask:0xe
	v_mov_b32_dpp v9, v8 row_shr:4 row_mask:0xf bank_mask:0xe
	;; [unrolled: 1-line block ×4, first 2 shown]
	v_cmp_eq_u32_e32 vcc, 7, v0
	s_and_b64 exec, exec, vcc
	s_cbranch_execz .LBB183_21
; %bb.17:
	s_load_dwordx2 s[2:3], s[4:5], 0x38
	v_cmp_eq_f32_e32 vcc, 0, v3
	v_cmp_eq_f32_e64 s[0:1], 0, v4
	v_add_f32_e32 v7, v6, v7
	v_add_f32_e32 v8, v8, v9
	;; [unrolled: 1-line block ×4, first 2 shown]
	s_and_b64 s[0:1], vcc, s[0:1]
	s_and_saveexec_b64 s[4:5], s[0:1]
	s_xor_b64 s[0:1], exec, s[4:5]
	s_cbranch_execz .LBB183_19
; %bb.18:
	v_mul_f32_e64 v3, v8, -v2
	v_mul_f32_e32 v4, v1, v8
	v_fmac_f32_e32 v3, v1, v7
	v_fmac_f32_e32 v4, v2, v7
	v_lshlrev_b32_e32 v7, 1, v5
	v_ashrrev_i32_e32 v8, 31, v7
	v_lshlrev_b64 v[7:8], 3, v[7:8]
	s_waitcnt lgkmcnt(0)
	v_mov_b32_e32 v5, s3
	v_add_co_u32_e32 v7, vcc, s2, v7
	v_addc_co_u32_e32 v8, vcc, v5, v8, vcc
	v_mul_f32_e64 v5, v6, -v2
	v_mul_f32_e32 v6, v1, v6
	v_fmac_f32_e32 v5, v1, v0
	v_fmac_f32_e32 v6, v2, v0
	global_store_dwordx4 v[7:8], v[3:6], off
                                        ; implicit-def: $vgpr5
                                        ; implicit-def: $vgpr1_vgpr2
                                        ; implicit-def: $vgpr8
                                        ; implicit-def: $vgpr7
                                        ; implicit-def: $vgpr3_vgpr4
                                        ; implicit-def: $vgpr6
                                        ; implicit-def: $vgpr0
.LBB183_19:
	s_andn2_saveexec_b64 s[0:1], s[0:1]
	s_cbranch_execz .LBB183_21
; %bb.20:
	v_lshlrev_b32_e32 v9, 1, v5
	v_ashrrev_i32_e32 v10, 31, v9
	v_lshlrev_b64 v[9:10], 3, v[9:10]
	s_waitcnt lgkmcnt(0)
	v_mov_b32_e32 v5, s3
	v_add_co_u32_e32 v17, vcc, s2, v9
	v_addc_co_u32_e32 v18, vcc, v5, v10, vcc
	global_load_dwordx4 v[9:12], v[17:18], off
	v_mul_f32_e64 v5, v8, -v2
	v_mul_f32_e32 v14, v1, v8
	v_mul_f32_e64 v8, v6, -v2
	v_mul_f32_e32 v16, v1, v6
	v_fmac_f32_e32 v5, v1, v7
	v_fmac_f32_e32 v14, v2, v7
	;; [unrolled: 1-line block ×4, first 2 shown]
	s_waitcnt vmcnt(0)
	v_fmac_f32_e32 v5, v3, v9
	v_fmac_f32_e32 v14, v4, v9
	;; [unrolled: 1-line block ×4, first 2 shown]
	v_fma_f32 v13, -v4, v10, v5
	v_fmac_f32_e32 v14, v3, v10
	v_fma_f32 v15, -v4, v12, v8
	v_fmac_f32_e32 v16, v3, v12
	global_store_dwordx4 v[17:18], v[13:16], off
.LBB183_21:
	s_endpgm
	.section	.rodata,"a",@progbits
	.p2align	6, 0x0
	.amdhsa_kernel _ZN9rocsparseL19gebsrmvn_2xn_kernelILj128ELj8ELj8E21rocsparse_complex_numIfEEEvi20rocsparse_direction_NS_24const_host_device_scalarIT2_EEPKiS8_PKS5_SA_S6_PS5_21rocsparse_index_base_b
		.amdhsa_group_segment_fixed_size 0
		.amdhsa_private_segment_fixed_size 0
		.amdhsa_kernarg_size 72
		.amdhsa_user_sgpr_count 6
		.amdhsa_user_sgpr_private_segment_buffer 1
		.amdhsa_user_sgpr_dispatch_ptr 0
		.amdhsa_user_sgpr_queue_ptr 0
		.amdhsa_user_sgpr_kernarg_segment_ptr 1
		.amdhsa_user_sgpr_dispatch_id 0
		.amdhsa_user_sgpr_flat_scratch_init 0
		.amdhsa_user_sgpr_private_segment_size 0
		.amdhsa_uses_dynamic_stack 0
		.amdhsa_system_sgpr_private_segment_wavefront_offset 0
		.amdhsa_system_sgpr_workgroup_id_x 1
		.amdhsa_system_sgpr_workgroup_id_y 0
		.amdhsa_system_sgpr_workgroup_id_z 0
		.amdhsa_system_sgpr_workgroup_info 0
		.amdhsa_system_vgpr_workitem_id 0
		.amdhsa_next_free_vgpr 55
		.amdhsa_next_free_sgpr 16
		.amdhsa_reserve_vcc 1
		.amdhsa_reserve_flat_scratch 0
		.amdhsa_float_round_mode_32 0
		.amdhsa_float_round_mode_16_64 0
		.amdhsa_float_denorm_mode_32 3
		.amdhsa_float_denorm_mode_16_64 3
		.amdhsa_dx10_clamp 1
		.amdhsa_ieee_mode 1
		.amdhsa_fp16_overflow 0
		.amdhsa_exception_fp_ieee_invalid_op 0
		.amdhsa_exception_fp_denorm_src 0
		.amdhsa_exception_fp_ieee_div_zero 0
		.amdhsa_exception_fp_ieee_overflow 0
		.amdhsa_exception_fp_ieee_underflow 0
		.amdhsa_exception_fp_ieee_inexact 0
		.amdhsa_exception_int_div_zero 0
	.end_amdhsa_kernel
	.section	.text._ZN9rocsparseL19gebsrmvn_2xn_kernelILj128ELj8ELj8E21rocsparse_complex_numIfEEEvi20rocsparse_direction_NS_24const_host_device_scalarIT2_EEPKiS8_PKS5_SA_S6_PS5_21rocsparse_index_base_b,"axG",@progbits,_ZN9rocsparseL19gebsrmvn_2xn_kernelILj128ELj8ELj8E21rocsparse_complex_numIfEEEvi20rocsparse_direction_NS_24const_host_device_scalarIT2_EEPKiS8_PKS5_SA_S6_PS5_21rocsparse_index_base_b,comdat
.Lfunc_end183:
	.size	_ZN9rocsparseL19gebsrmvn_2xn_kernelILj128ELj8ELj8E21rocsparse_complex_numIfEEEvi20rocsparse_direction_NS_24const_host_device_scalarIT2_EEPKiS8_PKS5_SA_S6_PS5_21rocsparse_index_base_b, .Lfunc_end183-_ZN9rocsparseL19gebsrmvn_2xn_kernelILj128ELj8ELj8E21rocsparse_complex_numIfEEEvi20rocsparse_direction_NS_24const_host_device_scalarIT2_EEPKiS8_PKS5_SA_S6_PS5_21rocsparse_index_base_b
                                        ; -- End function
	.set _ZN9rocsparseL19gebsrmvn_2xn_kernelILj128ELj8ELj8E21rocsparse_complex_numIfEEEvi20rocsparse_direction_NS_24const_host_device_scalarIT2_EEPKiS8_PKS5_SA_S6_PS5_21rocsparse_index_base_b.num_vgpr, 55
	.set _ZN9rocsparseL19gebsrmvn_2xn_kernelILj128ELj8ELj8E21rocsparse_complex_numIfEEEvi20rocsparse_direction_NS_24const_host_device_scalarIT2_EEPKiS8_PKS5_SA_S6_PS5_21rocsparse_index_base_b.num_agpr, 0
	.set _ZN9rocsparseL19gebsrmvn_2xn_kernelILj128ELj8ELj8E21rocsparse_complex_numIfEEEvi20rocsparse_direction_NS_24const_host_device_scalarIT2_EEPKiS8_PKS5_SA_S6_PS5_21rocsparse_index_base_b.numbered_sgpr, 16
	.set _ZN9rocsparseL19gebsrmvn_2xn_kernelILj128ELj8ELj8E21rocsparse_complex_numIfEEEvi20rocsparse_direction_NS_24const_host_device_scalarIT2_EEPKiS8_PKS5_SA_S6_PS5_21rocsparse_index_base_b.num_named_barrier, 0
	.set _ZN9rocsparseL19gebsrmvn_2xn_kernelILj128ELj8ELj8E21rocsparse_complex_numIfEEEvi20rocsparse_direction_NS_24const_host_device_scalarIT2_EEPKiS8_PKS5_SA_S6_PS5_21rocsparse_index_base_b.private_seg_size, 0
	.set _ZN9rocsparseL19gebsrmvn_2xn_kernelILj128ELj8ELj8E21rocsparse_complex_numIfEEEvi20rocsparse_direction_NS_24const_host_device_scalarIT2_EEPKiS8_PKS5_SA_S6_PS5_21rocsparse_index_base_b.uses_vcc, 1
	.set _ZN9rocsparseL19gebsrmvn_2xn_kernelILj128ELj8ELj8E21rocsparse_complex_numIfEEEvi20rocsparse_direction_NS_24const_host_device_scalarIT2_EEPKiS8_PKS5_SA_S6_PS5_21rocsparse_index_base_b.uses_flat_scratch, 0
	.set _ZN9rocsparseL19gebsrmvn_2xn_kernelILj128ELj8ELj8E21rocsparse_complex_numIfEEEvi20rocsparse_direction_NS_24const_host_device_scalarIT2_EEPKiS8_PKS5_SA_S6_PS5_21rocsparse_index_base_b.has_dyn_sized_stack, 0
	.set _ZN9rocsparseL19gebsrmvn_2xn_kernelILj128ELj8ELj8E21rocsparse_complex_numIfEEEvi20rocsparse_direction_NS_24const_host_device_scalarIT2_EEPKiS8_PKS5_SA_S6_PS5_21rocsparse_index_base_b.has_recursion, 0
	.set _ZN9rocsparseL19gebsrmvn_2xn_kernelILj128ELj8ELj8E21rocsparse_complex_numIfEEEvi20rocsparse_direction_NS_24const_host_device_scalarIT2_EEPKiS8_PKS5_SA_S6_PS5_21rocsparse_index_base_b.has_indirect_call, 0
	.section	.AMDGPU.csdata,"",@progbits
; Kernel info:
; codeLenInByte = 1936
; TotalNumSgprs: 20
; NumVgprs: 55
; ScratchSize: 0
; MemoryBound: 0
; FloatMode: 240
; IeeeMode: 1
; LDSByteSize: 0 bytes/workgroup (compile time only)
; SGPRBlocks: 2
; VGPRBlocks: 13
; NumSGPRsForWavesPerEU: 20
; NumVGPRsForWavesPerEU: 55
; Occupancy: 4
; WaveLimiterHint : 1
; COMPUTE_PGM_RSRC2:SCRATCH_EN: 0
; COMPUTE_PGM_RSRC2:USER_SGPR: 6
; COMPUTE_PGM_RSRC2:TRAP_HANDLER: 0
; COMPUTE_PGM_RSRC2:TGID_X_EN: 1
; COMPUTE_PGM_RSRC2:TGID_Y_EN: 0
; COMPUTE_PGM_RSRC2:TGID_Z_EN: 0
; COMPUTE_PGM_RSRC2:TIDIG_COMP_CNT: 0
	.section	.text._ZN9rocsparseL19gebsrmvn_2xn_kernelILj128ELj8ELj16E21rocsparse_complex_numIfEEEvi20rocsparse_direction_NS_24const_host_device_scalarIT2_EEPKiS8_PKS5_SA_S6_PS5_21rocsparse_index_base_b,"axG",@progbits,_ZN9rocsparseL19gebsrmvn_2xn_kernelILj128ELj8ELj16E21rocsparse_complex_numIfEEEvi20rocsparse_direction_NS_24const_host_device_scalarIT2_EEPKiS8_PKS5_SA_S6_PS5_21rocsparse_index_base_b,comdat
	.globl	_ZN9rocsparseL19gebsrmvn_2xn_kernelILj128ELj8ELj16E21rocsparse_complex_numIfEEEvi20rocsparse_direction_NS_24const_host_device_scalarIT2_EEPKiS8_PKS5_SA_S6_PS5_21rocsparse_index_base_b ; -- Begin function _ZN9rocsparseL19gebsrmvn_2xn_kernelILj128ELj8ELj16E21rocsparse_complex_numIfEEEvi20rocsparse_direction_NS_24const_host_device_scalarIT2_EEPKiS8_PKS5_SA_S6_PS5_21rocsparse_index_base_b
	.p2align	8
	.type	_ZN9rocsparseL19gebsrmvn_2xn_kernelILj128ELj8ELj16E21rocsparse_complex_numIfEEEvi20rocsparse_direction_NS_24const_host_device_scalarIT2_EEPKiS8_PKS5_SA_S6_PS5_21rocsparse_index_base_b,@function
_ZN9rocsparseL19gebsrmvn_2xn_kernelILj128ELj8ELj16E21rocsparse_complex_numIfEEEvi20rocsparse_direction_NS_24const_host_device_scalarIT2_EEPKiS8_PKS5_SA_S6_PS5_21rocsparse_index_base_b: ; @_ZN9rocsparseL19gebsrmvn_2xn_kernelILj128ELj8ELj16E21rocsparse_complex_numIfEEEvi20rocsparse_direction_NS_24const_host_device_scalarIT2_EEPKiS8_PKS5_SA_S6_PS5_21rocsparse_index_base_b
; %bb.0:
	s_load_dwordx2 s[0:1], s[4:5], 0x8
	s_load_dwordx2 s[8:9], s[4:5], 0x30
	s_load_dwordx2 s[2:3], s[4:5], 0x40
	s_add_u32 s7, s4, 8
	s_addc_u32 s10, s5, 0
	s_add_u32 s11, s4, 48
	s_addc_u32 s12, s5, 0
	s_waitcnt lgkmcnt(0)
	s_bitcmp1_b32 s3, 0
	s_cselect_b32 s1, s10, s1
	s_cselect_b32 s0, s7, s0
	v_mov_b32_e32 v1, s0
	v_mov_b32_e32 v2, s1
	flat_load_dwordx2 v[1:2], v[1:2]
	s_cselect_b32 s0, s12, s9
	s_cselect_b32 s1, s11, s8
	v_mov_b32_e32 v3, s1
	v_mov_b32_e32 v4, s0
	flat_load_dwordx2 v[3:4], v[3:4]
	s_waitcnt vmcnt(0) lgkmcnt(0)
	v_cmp_eq_f32_e32 vcc, 0, v1
	v_cmp_eq_f32_e64 s[0:1], 0, v2
	s_and_b64 s[10:11], vcc, s[0:1]
	s_mov_b64 s[0:1], -1
	s_and_saveexec_b64 s[8:9], s[10:11]
; %bb.1:
	v_cmp_neq_f32_e32 vcc, 1.0, v3
	v_cmp_neq_f32_e64 s[0:1], 0, v4
	s_or_b64 s[0:1], vcc, s[0:1]
	s_orn2_b64 s[0:1], s[0:1], exec
; %bb.2:
	s_or_b64 exec, exec, s[8:9]
	s_and_saveexec_b64 s[8:9], s[0:1]
	s_cbranch_execz .LBB184_21
; %bb.3:
	s_load_dwordx2 s[0:1], s[4:5], 0x0
	v_lshrrev_b32_e32 v5, 4, v0
	v_lshl_or_b32 v5, s6, 3, v5
	s_waitcnt lgkmcnt(0)
	v_cmp_gt_i32_e32 vcc, s0, v5
	s_and_b64 exec, exec, vcc
	s_cbranch_execz .LBB184_21
; %bb.4:
	s_load_dwordx8 s[8:15], s[4:5], 0x10
	v_ashrrev_i32_e32 v6, 31, v5
	v_lshlrev_b64 v[6:7], 2, v[5:6]
	v_and_b32_e32 v0, 15, v0
	s_cmp_lg_u32 s1, 0
	s_waitcnt lgkmcnt(0)
	v_mov_b32_e32 v8, s9
	v_add_co_u32_e32 v6, vcc, s8, v6
	v_addc_co_u32_e32 v7, vcc, v8, v7, vcc
	global_load_dwordx2 v[6:7], v[6:7], off
	s_waitcnt vmcnt(0)
	v_subrev_u32_e32 v6, s2, v6
	v_subrev_u32_e32 v12, s2, v7
	v_add_u32_e32 v6, v6, v0
	v_cmp_lt_i32_e64 s[0:1], v6, v12
	s_cbranch_scc0 .LBB184_10
; %bb.5:
	v_mov_b32_e32 v11, 0
	v_mov_b32_e32 v15, 0
	;; [unrolled: 1-line block ×4, first 2 shown]
	s_and_saveexec_b64 s[6:7], s[0:1]
	s_cbranch_execz .LBB184_9
; %bb.6:
	v_mov_b32_e32 v8, 0
	v_lshlrev_b32_e32 v7, 4, v6
	s_mov_b64 s[8:9], 0
	v_mov_b32_e32 v16, s11
	v_mov_b32_e32 v17, s13
	;; [unrolled: 1-line block ×8, first 2 shown]
.LBB184_7:                              ; =>This Inner Loop Header: Depth=1
	v_lshlrev_b64 v[19:20], 3, v[7:8]
	v_ashrrev_i32_e32 v10, 31, v9
	v_lshlrev_b64 v[21:22], 2, v[9:10]
	v_add_co_u32_e32 v51, vcc, s12, v19
	v_addc_co_u32_e32 v52, vcc, v17, v20, vcc
	v_add_co_u32_e32 v41, vcc, s10, v21
	v_addc_co_u32_e32 v42, vcc, v16, v22, vcc
	global_load_dwordx4 v[19:22], v[51:52], off
	global_load_dwordx4 v[23:26], v[51:52], off offset:16
	global_load_dwordx4 v[27:30], v[51:52], off offset:32
	;; [unrolled: 1-line block ×4, first 2 shown]
	global_load_dword v10, v[41:42], off
	v_mov_b32_e32 v40, v8
	v_add_u32_e32 v9, 16, v9
	v_add_u32_e32 v7, 0x100, v7
	s_waitcnt vmcnt(0)
	v_subrev_u32_e32 v10, s2, v10
	v_lshlrev_b32_e32 v39, 3, v10
	v_lshlrev_b64 v[39:40], 3, v[39:40]
	v_add_co_u32_e32 v53, vcc, s14, v39
	v_addc_co_u32_e32 v54, vcc, v18, v40, vcc
	global_load_dwordx4 v[39:42], v[53:54], off
	global_load_dwordx4 v[43:46], v[53:54], off offset:16
	v_cmp_ge_i32_e32 vcc, v9, v12
	s_or_b64 s[8:9], vcc, s[8:9]
	s_waitcnt vmcnt(1)
	v_fmac_f32_e32 v15, v19, v39
	v_fmac_f32_e32 v11, v20, v39
	;; [unrolled: 1-line block ×4, first 2 shown]
	v_fma_f32 v10, -v20, v40, v15
	v_fmac_f32_e32 v11, v19, v40
	v_fma_f32 v14, -v22, v40, v14
	v_fmac_f32_e32 v13, v21, v40
	v_fmac_f32_e32 v10, v23, v41
	;; [unrolled: 1-line block ×5, first 2 shown]
	global_load_dwordx4 v[19:22], v[51:52], off offset:80
	v_fma_f32 v10, -v24, v42, v10
	v_fmac_f32_e32 v11, v23, v42
	v_fma_f32 v14, -v26, v42, v14
	v_fmac_f32_e32 v13, v25, v42
	global_load_dwordx4 v[23:26], v[51:52], off offset:96
	global_load_dwordx4 v[39:42], v[53:54], off offset:32
	s_waitcnt vmcnt(3)
	v_fmac_f32_e32 v10, v27, v43
	v_fmac_f32_e32 v11, v28, v43
	v_fmac_f32_e32 v14, v29, v43
	v_fmac_f32_e32 v13, v30, v43
	v_fma_f32 v10, -v28, v44, v10
	v_fmac_f32_e32 v11, v27, v44
	v_fma_f32 v14, -v30, v44, v14
	v_fmac_f32_e32 v13, v29, v44
	global_load_dwordx4 v[27:30], v[53:54], off offset:48
	global_load_dwordx4 v[47:50], v[51:52], off offset:112
	v_fmac_f32_e32 v10, v31, v45
	v_fmac_f32_e32 v11, v32, v45
	;; [unrolled: 1-line block ×4, first 2 shown]
	v_fma_f32 v10, -v32, v46, v10
	v_fmac_f32_e32 v11, v31, v46
	v_fma_f32 v14, -v34, v46, v14
	v_fmac_f32_e32 v13, v33, v46
	s_waitcnt vmcnt(2)
	v_fmac_f32_e32 v10, v35, v39
	v_fmac_f32_e32 v11, v36, v39
	;; [unrolled: 1-line block ×4, first 2 shown]
	v_fma_f32 v10, -v36, v40, v10
	v_fmac_f32_e32 v11, v35, v40
	v_fma_f32 v14, -v38, v40, v14
	v_fmac_f32_e32 v13, v37, v40
	v_fmac_f32_e32 v10, v19, v41
	;; [unrolled: 1-line block ×5, first 2 shown]
	v_fma_f32 v10, -v20, v42, v10
	v_fmac_f32_e32 v11, v19, v42
	v_fma_f32 v14, -v22, v42, v14
	v_fmac_f32_e32 v13, v21, v42
	s_waitcnt vmcnt(1)
	v_fmac_f32_e32 v10, v23, v27
	v_fmac_f32_e32 v11, v24, v27
	;; [unrolled: 1-line block ×4, first 2 shown]
	v_fma_f32 v10, -v24, v28, v10
	v_fmac_f32_e32 v11, v23, v28
	v_fma_f32 v14, -v26, v28, v14
	v_fmac_f32_e32 v13, v25, v28
	s_waitcnt vmcnt(0)
	v_fmac_f32_e32 v10, v47, v29
	v_fmac_f32_e32 v11, v48, v29
	;; [unrolled: 1-line block ×4, first 2 shown]
	v_fma_f32 v15, -v48, v30, v10
	v_fmac_f32_e32 v11, v47, v30
	v_fma_f32 v14, -v50, v30, v14
	v_fmac_f32_e32 v13, v49, v30
	s_andn2_b64 exec, exec, s[8:9]
	s_cbranch_execnz .LBB184_7
; %bb.8:
	s_or_b64 exec, exec, s[8:9]
.LBB184_9:
	s_or_b64 exec, exec, s[6:7]
	s_cbranch_execz .LBB184_11
	s_branch .LBB184_16
.LBB184_10:
                                        ; implicit-def: $vgpr11
                                        ; implicit-def: $vgpr15
                                        ; implicit-def: $vgpr14
                                        ; implicit-def: $vgpr13
.LBB184_11:
	v_mov_b32_e32 v11, 0
	v_mov_b32_e32 v15, 0
	;; [unrolled: 1-line block ×4, first 2 shown]
	s_and_saveexec_b64 s[6:7], s[0:1]
	s_cbranch_execz .LBB184_15
; %bb.12:
	v_mov_b32_e32 v9, 0
	v_lshlrev_b32_e32 v8, 4, v6
	s_mov_b64 s[0:1], 0
	v_mov_b32_e32 v10, s11
	v_mov_b32_e32 v16, s13
	v_mov_b32_e32 v17, s15
	v_mov_b32_e32 v11, v9
	v_mov_b32_e32 v15, v9
	v_mov_b32_e32 v14, v9
	v_mov_b32_e32 v13, v9
.LBB184_13:                             ; =>This Inner Loop Header: Depth=1
	v_lshlrev_b64 v[18:19], 3, v[8:9]
	v_ashrrev_i32_e32 v7, 31, v6
	v_lshlrev_b64 v[20:21], 2, v[6:7]
	v_add_co_u32_e32 v38, vcc, s12, v18
	v_addc_co_u32_e32 v39, vcc, v16, v19, vcc
	v_add_co_u32_e32 v28, vcc, s10, v20
	v_addc_co_u32_e32 v29, vcc, v10, v21, vcc
	global_load_dwordx4 v[18:21], v[38:39], off
	global_load_dwordx4 v[22:25], v[38:39], off offset:16
	global_load_dword v7, v[28:29], off
	v_mov_b32_e32 v27, v9
	v_add_u32_e32 v6, 16, v6
	v_add_u32_e32 v8, 0x100, v8
	s_waitcnt vmcnt(0)
	v_subrev_u32_e32 v7, s2, v7
	v_lshlrev_b32_e32 v26, 3, v7
	v_lshlrev_b64 v[26:27], 3, v[26:27]
	v_add_co_u32_e32 v40, vcc, s14, v26
	v_addc_co_u32_e32 v41, vcc, v17, v27, vcc
	global_load_dwordx4 v[26:29], v[40:41], off
	global_load_dwordx4 v[30:33], v[40:41], off offset:16
	v_cmp_ge_i32_e32 vcc, v6, v12
	s_or_b64 s[0:1], vcc, s[0:1]
	s_waitcnt vmcnt(1)
	v_fmac_f32_e32 v15, v18, v26
	v_fmac_f32_e32 v11, v19, v26
	v_fma_f32 v7, -v19, v27, v15
	v_fmac_f32_e32 v11, v18, v27
	v_fmac_f32_e32 v7, v20, v28
	;; [unrolled: 1-line block ×3, first 2 shown]
	v_fma_f32 v7, -v21, v29, v7
	v_fmac_f32_e32 v11, v20, v29
	global_load_dwordx4 v[18:21], v[38:39], off offset:64
	global_load_dwordx4 v[34:37], v[38:39], off offset:80
	s_waitcnt vmcnt(2)
	v_fmac_f32_e32 v7, v22, v30
	v_fmac_f32_e32 v11, v23, v30
	v_fma_f32 v7, -v23, v31, v7
	v_fmac_f32_e32 v11, v22, v31
	v_fmac_f32_e32 v7, v24, v32
	v_fmac_f32_e32 v11, v25, v32
	v_fma_f32 v7, -v25, v33, v7
	v_fmac_f32_e32 v11, v24, v33
	s_waitcnt vmcnt(1)
	v_fmac_f32_e32 v14, v18, v26
	v_fmac_f32_e32 v13, v19, v26
	v_fma_f32 v14, -v19, v27, v14
	v_fmac_f32_e32 v13, v18, v27
	v_fmac_f32_e32 v14, v20, v28
	;; [unrolled: 1-line block ×3, first 2 shown]
	v_fma_f32 v14, -v21, v29, v14
	v_fmac_f32_e32 v13, v20, v29
	s_waitcnt vmcnt(0)
	v_fmac_f32_e32 v14, v34, v30
	v_fmac_f32_e32 v13, v35, v30
	v_fma_f32 v14, -v35, v31, v14
	v_fmac_f32_e32 v13, v34, v31
	global_load_dwordx4 v[18:21], v[38:39], off offset:32
	v_fmac_f32_e32 v14, v36, v32
	v_fmac_f32_e32 v13, v37, v32
	v_fma_f32 v14, -v37, v33, v14
	v_fmac_f32_e32 v13, v36, v33
	global_load_dwordx4 v[22:25], v[38:39], off offset:48
	global_load_dwordx4 v[26:29], v[40:41], off offset:32
	;; [unrolled: 1-line block ×3, first 2 shown]
	s_waitcnt vmcnt(1)
	v_fmac_f32_e32 v7, v18, v26
	v_fmac_f32_e32 v11, v19, v26
	v_fma_f32 v7, -v19, v27, v7
	v_fmac_f32_e32 v11, v18, v27
	v_fmac_f32_e32 v7, v20, v28
	;; [unrolled: 1-line block ×3, first 2 shown]
	v_fma_f32 v7, -v21, v29, v7
	v_fmac_f32_e32 v11, v20, v29
	global_load_dwordx4 v[18:21], v[38:39], off offset:96
	global_load_dwordx4 v[34:37], v[38:39], off offset:112
	s_waitcnt vmcnt(2)
	v_fmac_f32_e32 v7, v22, v30
	v_fmac_f32_e32 v11, v23, v30
	v_fma_f32 v7, -v23, v31, v7
	v_fmac_f32_e32 v11, v22, v31
	v_fmac_f32_e32 v7, v24, v32
	v_fmac_f32_e32 v11, v25, v32
	v_fma_f32 v15, -v25, v33, v7
	v_fmac_f32_e32 v11, v24, v33
	s_waitcnt vmcnt(1)
	v_fmac_f32_e32 v14, v18, v26
	v_fmac_f32_e32 v13, v19, v26
	v_fma_f32 v14, -v19, v27, v14
	v_fmac_f32_e32 v13, v18, v27
	v_fmac_f32_e32 v14, v20, v28
	v_fmac_f32_e32 v13, v21, v28
	v_fma_f32 v14, -v21, v29, v14
	v_fmac_f32_e32 v13, v20, v29
	;; [unrolled: 9-line block ×3, first 2 shown]
	s_andn2_b64 exec, exec, s[0:1]
	s_cbranch_execnz .LBB184_13
; %bb.14:
	s_or_b64 exec, exec, s[0:1]
.LBB184_15:
	s_or_b64 exec, exec, s[6:7]
.LBB184_16:
	v_mov_b32_dpp v6, v15 row_shr:1 row_mask:0xf bank_mask:0xf
	v_mov_b32_dpp v8, v11 row_shr:1 row_mask:0xf bank_mask:0xf
	v_mov_b32_dpp v10, v14 row_shr:1 row_mask:0xf bank_mask:0xf
	v_mov_b32_dpp v12, v13 row_shr:1 row_mask:0xf bank_mask:0xf
	v_add_f32_e32 v6, v15, v6
	v_add_f32_e32 v8, v11, v8
	v_add_f32_e32 v10, v14, v10
	v_add_f32_e32 v12, v13, v12
	v_mov_b32_dpp v7, v6 row_shr:2 row_mask:0xf bank_mask:0xf
	v_mov_b32_dpp v9, v8 row_shr:2 row_mask:0xf bank_mask:0xf
	v_mov_b32_dpp v11, v10 row_shr:2 row_mask:0xf bank_mask:0xf
	v_mov_b32_dpp v13, v12 row_shr:2 row_mask:0xf bank_mask:0xf
	v_add_f32_e32 v6, v6, v7
	v_add_f32_e32 v8, v8, v9
	v_add_f32_e32 v10, v10, v11
	v_add_f32_e32 v12, v12, v13
	;; [unrolled: 8-line block ×3, first 2 shown]
	v_mov_b32_dpp v7, v6 row_shr:8 row_mask:0xf bank_mask:0xc
	v_mov_b32_dpp v9, v8 row_shr:8 row_mask:0xf bank_mask:0xc
	;; [unrolled: 1-line block ×4, first 2 shown]
	v_cmp_eq_u32_e32 vcc, 15, v0
	s_and_b64 exec, exec, vcc
	s_cbranch_execz .LBB184_21
; %bb.17:
	s_load_dwordx2 s[2:3], s[4:5], 0x38
	v_cmp_eq_f32_e32 vcc, 0, v3
	v_cmp_eq_f32_e64 s[0:1], 0, v4
	v_add_f32_e32 v7, v6, v7
	v_add_f32_e32 v8, v8, v9
	;; [unrolled: 1-line block ×4, first 2 shown]
	s_and_b64 s[0:1], vcc, s[0:1]
	s_and_saveexec_b64 s[4:5], s[0:1]
	s_xor_b64 s[0:1], exec, s[4:5]
	s_cbranch_execz .LBB184_19
; %bb.18:
	v_mul_f32_e64 v3, v8, -v2
	v_mul_f32_e32 v4, v1, v8
	v_fmac_f32_e32 v3, v1, v7
	v_fmac_f32_e32 v4, v2, v7
	v_lshlrev_b32_e32 v7, 1, v5
	v_ashrrev_i32_e32 v8, 31, v7
	v_lshlrev_b64 v[7:8], 3, v[7:8]
	s_waitcnt lgkmcnt(0)
	v_mov_b32_e32 v5, s3
	v_add_co_u32_e32 v7, vcc, s2, v7
	v_addc_co_u32_e32 v8, vcc, v5, v8, vcc
	v_mul_f32_e64 v5, v6, -v2
	v_mul_f32_e32 v6, v1, v6
	v_fmac_f32_e32 v5, v1, v0
	v_fmac_f32_e32 v6, v2, v0
	global_store_dwordx4 v[7:8], v[3:6], off
                                        ; implicit-def: $vgpr5
                                        ; implicit-def: $vgpr1_vgpr2
                                        ; implicit-def: $vgpr8
                                        ; implicit-def: $vgpr7
                                        ; implicit-def: $vgpr3_vgpr4
                                        ; implicit-def: $vgpr6
                                        ; implicit-def: $vgpr0
.LBB184_19:
	s_andn2_saveexec_b64 s[0:1], s[0:1]
	s_cbranch_execz .LBB184_21
; %bb.20:
	v_lshlrev_b32_e32 v9, 1, v5
	v_ashrrev_i32_e32 v10, 31, v9
	v_lshlrev_b64 v[9:10], 3, v[9:10]
	s_waitcnt lgkmcnt(0)
	v_mov_b32_e32 v5, s3
	v_add_co_u32_e32 v17, vcc, s2, v9
	v_addc_co_u32_e32 v18, vcc, v5, v10, vcc
	global_load_dwordx4 v[9:12], v[17:18], off
	v_mul_f32_e64 v5, v8, -v2
	v_mul_f32_e32 v14, v1, v8
	v_mul_f32_e64 v8, v6, -v2
	v_mul_f32_e32 v16, v1, v6
	v_fmac_f32_e32 v5, v1, v7
	v_fmac_f32_e32 v14, v2, v7
	;; [unrolled: 1-line block ×4, first 2 shown]
	s_waitcnt vmcnt(0)
	v_fmac_f32_e32 v5, v3, v9
	v_fmac_f32_e32 v14, v4, v9
	;; [unrolled: 1-line block ×4, first 2 shown]
	v_fma_f32 v13, -v4, v10, v5
	v_fmac_f32_e32 v14, v3, v10
	v_fma_f32 v15, -v4, v12, v8
	v_fmac_f32_e32 v16, v3, v12
	global_store_dwordx4 v[17:18], v[13:16], off
.LBB184_21:
	s_endpgm
	.section	.rodata,"a",@progbits
	.p2align	6, 0x0
	.amdhsa_kernel _ZN9rocsparseL19gebsrmvn_2xn_kernelILj128ELj8ELj16E21rocsparse_complex_numIfEEEvi20rocsparse_direction_NS_24const_host_device_scalarIT2_EEPKiS8_PKS5_SA_S6_PS5_21rocsparse_index_base_b
		.amdhsa_group_segment_fixed_size 0
		.amdhsa_private_segment_fixed_size 0
		.amdhsa_kernarg_size 72
		.amdhsa_user_sgpr_count 6
		.amdhsa_user_sgpr_private_segment_buffer 1
		.amdhsa_user_sgpr_dispatch_ptr 0
		.amdhsa_user_sgpr_queue_ptr 0
		.amdhsa_user_sgpr_kernarg_segment_ptr 1
		.amdhsa_user_sgpr_dispatch_id 0
		.amdhsa_user_sgpr_flat_scratch_init 0
		.amdhsa_user_sgpr_private_segment_size 0
		.amdhsa_uses_dynamic_stack 0
		.amdhsa_system_sgpr_private_segment_wavefront_offset 0
		.amdhsa_system_sgpr_workgroup_id_x 1
		.amdhsa_system_sgpr_workgroup_id_y 0
		.amdhsa_system_sgpr_workgroup_id_z 0
		.amdhsa_system_sgpr_workgroup_info 0
		.amdhsa_system_vgpr_workitem_id 0
		.amdhsa_next_free_vgpr 55
		.amdhsa_next_free_sgpr 16
		.amdhsa_reserve_vcc 1
		.amdhsa_reserve_flat_scratch 0
		.amdhsa_float_round_mode_32 0
		.amdhsa_float_round_mode_16_64 0
		.amdhsa_float_denorm_mode_32 3
		.amdhsa_float_denorm_mode_16_64 3
		.amdhsa_dx10_clamp 1
		.amdhsa_ieee_mode 1
		.amdhsa_fp16_overflow 0
		.amdhsa_exception_fp_ieee_invalid_op 0
		.amdhsa_exception_fp_denorm_src 0
		.amdhsa_exception_fp_ieee_div_zero 0
		.amdhsa_exception_fp_ieee_overflow 0
		.amdhsa_exception_fp_ieee_underflow 0
		.amdhsa_exception_fp_ieee_inexact 0
		.amdhsa_exception_int_div_zero 0
	.end_amdhsa_kernel
	.section	.text._ZN9rocsparseL19gebsrmvn_2xn_kernelILj128ELj8ELj16E21rocsparse_complex_numIfEEEvi20rocsparse_direction_NS_24const_host_device_scalarIT2_EEPKiS8_PKS5_SA_S6_PS5_21rocsparse_index_base_b,"axG",@progbits,_ZN9rocsparseL19gebsrmvn_2xn_kernelILj128ELj8ELj16E21rocsparse_complex_numIfEEEvi20rocsparse_direction_NS_24const_host_device_scalarIT2_EEPKiS8_PKS5_SA_S6_PS5_21rocsparse_index_base_b,comdat
.Lfunc_end184:
	.size	_ZN9rocsparseL19gebsrmvn_2xn_kernelILj128ELj8ELj16E21rocsparse_complex_numIfEEEvi20rocsparse_direction_NS_24const_host_device_scalarIT2_EEPKiS8_PKS5_SA_S6_PS5_21rocsparse_index_base_b, .Lfunc_end184-_ZN9rocsparseL19gebsrmvn_2xn_kernelILj128ELj8ELj16E21rocsparse_complex_numIfEEEvi20rocsparse_direction_NS_24const_host_device_scalarIT2_EEPKiS8_PKS5_SA_S6_PS5_21rocsparse_index_base_b
                                        ; -- End function
	.set _ZN9rocsparseL19gebsrmvn_2xn_kernelILj128ELj8ELj16E21rocsparse_complex_numIfEEEvi20rocsparse_direction_NS_24const_host_device_scalarIT2_EEPKiS8_PKS5_SA_S6_PS5_21rocsparse_index_base_b.num_vgpr, 55
	.set _ZN9rocsparseL19gebsrmvn_2xn_kernelILj128ELj8ELj16E21rocsparse_complex_numIfEEEvi20rocsparse_direction_NS_24const_host_device_scalarIT2_EEPKiS8_PKS5_SA_S6_PS5_21rocsparse_index_base_b.num_agpr, 0
	.set _ZN9rocsparseL19gebsrmvn_2xn_kernelILj128ELj8ELj16E21rocsparse_complex_numIfEEEvi20rocsparse_direction_NS_24const_host_device_scalarIT2_EEPKiS8_PKS5_SA_S6_PS5_21rocsparse_index_base_b.numbered_sgpr, 16
	.set _ZN9rocsparseL19gebsrmvn_2xn_kernelILj128ELj8ELj16E21rocsparse_complex_numIfEEEvi20rocsparse_direction_NS_24const_host_device_scalarIT2_EEPKiS8_PKS5_SA_S6_PS5_21rocsparse_index_base_b.num_named_barrier, 0
	.set _ZN9rocsparseL19gebsrmvn_2xn_kernelILj128ELj8ELj16E21rocsparse_complex_numIfEEEvi20rocsparse_direction_NS_24const_host_device_scalarIT2_EEPKiS8_PKS5_SA_S6_PS5_21rocsparse_index_base_b.private_seg_size, 0
	.set _ZN9rocsparseL19gebsrmvn_2xn_kernelILj128ELj8ELj16E21rocsparse_complex_numIfEEEvi20rocsparse_direction_NS_24const_host_device_scalarIT2_EEPKiS8_PKS5_SA_S6_PS5_21rocsparse_index_base_b.uses_vcc, 1
	.set _ZN9rocsparseL19gebsrmvn_2xn_kernelILj128ELj8ELj16E21rocsparse_complex_numIfEEEvi20rocsparse_direction_NS_24const_host_device_scalarIT2_EEPKiS8_PKS5_SA_S6_PS5_21rocsparse_index_base_b.uses_flat_scratch, 0
	.set _ZN9rocsparseL19gebsrmvn_2xn_kernelILj128ELj8ELj16E21rocsparse_complex_numIfEEEvi20rocsparse_direction_NS_24const_host_device_scalarIT2_EEPKiS8_PKS5_SA_S6_PS5_21rocsparse_index_base_b.has_dyn_sized_stack, 0
	.set _ZN9rocsparseL19gebsrmvn_2xn_kernelILj128ELj8ELj16E21rocsparse_complex_numIfEEEvi20rocsparse_direction_NS_24const_host_device_scalarIT2_EEPKiS8_PKS5_SA_S6_PS5_21rocsparse_index_base_b.has_recursion, 0
	.set _ZN9rocsparseL19gebsrmvn_2xn_kernelILj128ELj8ELj16E21rocsparse_complex_numIfEEEvi20rocsparse_direction_NS_24const_host_device_scalarIT2_EEPKiS8_PKS5_SA_S6_PS5_21rocsparse_index_base_b.has_indirect_call, 0
	.section	.AMDGPU.csdata,"",@progbits
; Kernel info:
; codeLenInByte = 1984
; TotalNumSgprs: 20
; NumVgprs: 55
; ScratchSize: 0
; MemoryBound: 0
; FloatMode: 240
; IeeeMode: 1
; LDSByteSize: 0 bytes/workgroup (compile time only)
; SGPRBlocks: 2
; VGPRBlocks: 13
; NumSGPRsForWavesPerEU: 20
; NumVGPRsForWavesPerEU: 55
; Occupancy: 4
; WaveLimiterHint : 1
; COMPUTE_PGM_RSRC2:SCRATCH_EN: 0
; COMPUTE_PGM_RSRC2:USER_SGPR: 6
; COMPUTE_PGM_RSRC2:TRAP_HANDLER: 0
; COMPUTE_PGM_RSRC2:TGID_X_EN: 1
; COMPUTE_PGM_RSRC2:TGID_Y_EN: 0
; COMPUTE_PGM_RSRC2:TGID_Z_EN: 0
; COMPUTE_PGM_RSRC2:TIDIG_COMP_CNT: 0
	.section	.text._ZN9rocsparseL19gebsrmvn_2xn_kernelILj128ELj8ELj32E21rocsparse_complex_numIfEEEvi20rocsparse_direction_NS_24const_host_device_scalarIT2_EEPKiS8_PKS5_SA_S6_PS5_21rocsparse_index_base_b,"axG",@progbits,_ZN9rocsparseL19gebsrmvn_2xn_kernelILj128ELj8ELj32E21rocsparse_complex_numIfEEEvi20rocsparse_direction_NS_24const_host_device_scalarIT2_EEPKiS8_PKS5_SA_S6_PS5_21rocsparse_index_base_b,comdat
	.globl	_ZN9rocsparseL19gebsrmvn_2xn_kernelILj128ELj8ELj32E21rocsparse_complex_numIfEEEvi20rocsparse_direction_NS_24const_host_device_scalarIT2_EEPKiS8_PKS5_SA_S6_PS5_21rocsparse_index_base_b ; -- Begin function _ZN9rocsparseL19gebsrmvn_2xn_kernelILj128ELj8ELj32E21rocsparse_complex_numIfEEEvi20rocsparse_direction_NS_24const_host_device_scalarIT2_EEPKiS8_PKS5_SA_S6_PS5_21rocsparse_index_base_b
	.p2align	8
	.type	_ZN9rocsparseL19gebsrmvn_2xn_kernelILj128ELj8ELj32E21rocsparse_complex_numIfEEEvi20rocsparse_direction_NS_24const_host_device_scalarIT2_EEPKiS8_PKS5_SA_S6_PS5_21rocsparse_index_base_b,@function
_ZN9rocsparseL19gebsrmvn_2xn_kernelILj128ELj8ELj32E21rocsparse_complex_numIfEEEvi20rocsparse_direction_NS_24const_host_device_scalarIT2_EEPKiS8_PKS5_SA_S6_PS5_21rocsparse_index_base_b: ; @_ZN9rocsparseL19gebsrmvn_2xn_kernelILj128ELj8ELj32E21rocsparse_complex_numIfEEEvi20rocsparse_direction_NS_24const_host_device_scalarIT2_EEPKiS8_PKS5_SA_S6_PS5_21rocsparse_index_base_b
; %bb.0:
	s_load_dwordx2 s[0:1], s[4:5], 0x8
	s_load_dwordx2 s[8:9], s[4:5], 0x30
	;; [unrolled: 1-line block ×3, first 2 shown]
	s_add_u32 s7, s4, 8
	s_addc_u32 s10, s5, 0
	s_add_u32 s11, s4, 48
	s_addc_u32 s12, s5, 0
	s_waitcnt lgkmcnt(0)
	s_bitcmp1_b32 s3, 0
	s_cselect_b32 s1, s10, s1
	s_cselect_b32 s0, s7, s0
	v_mov_b32_e32 v1, s0
	v_mov_b32_e32 v2, s1
	flat_load_dwordx2 v[1:2], v[1:2]
	s_cselect_b32 s0, s12, s9
	s_cselect_b32 s1, s11, s8
	v_mov_b32_e32 v3, s1
	v_mov_b32_e32 v4, s0
	flat_load_dwordx2 v[3:4], v[3:4]
	s_waitcnt vmcnt(0) lgkmcnt(0)
	v_cmp_eq_f32_e32 vcc, 0, v1
	v_cmp_eq_f32_e64 s[0:1], 0, v2
	s_and_b64 s[10:11], vcc, s[0:1]
	s_mov_b64 s[0:1], -1
	s_and_saveexec_b64 s[8:9], s[10:11]
; %bb.1:
	v_cmp_neq_f32_e32 vcc, 1.0, v3
	v_cmp_neq_f32_e64 s[0:1], 0, v4
	s_or_b64 s[0:1], vcc, s[0:1]
	s_orn2_b64 s[0:1], s[0:1], exec
; %bb.2:
	s_or_b64 exec, exec, s[8:9]
	s_and_saveexec_b64 s[8:9], s[0:1]
	s_cbranch_execz .LBB185_21
; %bb.3:
	s_load_dwordx2 s[0:1], s[4:5], 0x0
	v_lshrrev_b32_e32 v5, 5, v0
	v_lshl_or_b32 v5, s6, 2, v5
	s_waitcnt lgkmcnt(0)
	v_cmp_gt_i32_e32 vcc, s0, v5
	s_and_b64 exec, exec, vcc
	s_cbranch_execz .LBB185_21
; %bb.4:
	s_load_dwordx8 s[8:15], s[4:5], 0x10
	v_ashrrev_i32_e32 v6, 31, v5
	v_lshlrev_b64 v[6:7], 2, v[5:6]
	v_and_b32_e32 v0, 31, v0
	s_cmp_lg_u32 s1, 0
	s_waitcnt lgkmcnt(0)
	v_mov_b32_e32 v8, s9
	v_add_co_u32_e32 v6, vcc, s8, v6
	v_addc_co_u32_e32 v7, vcc, v8, v7, vcc
	global_load_dwordx2 v[6:7], v[6:7], off
	s_waitcnt vmcnt(0)
	v_subrev_u32_e32 v6, s2, v6
	v_subrev_u32_e32 v13, s2, v7
	v_add_u32_e32 v6, v6, v0
	v_cmp_lt_i32_e64 s[0:1], v6, v13
	s_cbranch_scc0 .LBB185_10
; %bb.5:
	v_mov_b32_e32 v12, 0
	v_mov_b32_e32 v15, 0
	;; [unrolled: 1-line block ×4, first 2 shown]
	s_and_saveexec_b64 s[6:7], s[0:1]
	s_cbranch_execz .LBB185_9
; %bb.6:
	v_mov_b32_e32 v8, 0
	v_lshlrev_b32_e32 v7, 4, v6
	s_mov_b64 s[8:9], 0
	v_mov_b32_e32 v16, s11
	v_mov_b32_e32 v17, s13
	;; [unrolled: 1-line block ×8, first 2 shown]
.LBB185_7:                              ; =>This Inner Loop Header: Depth=1
	v_lshlrev_b64 v[19:20], 3, v[7:8]
	v_ashrrev_i32_e32 v10, 31, v9
	v_lshlrev_b64 v[21:22], 2, v[9:10]
	v_add_co_u32_e32 v51, vcc, s12, v19
	v_addc_co_u32_e32 v52, vcc, v17, v20, vcc
	v_add_co_u32_e32 v41, vcc, s10, v21
	v_addc_co_u32_e32 v42, vcc, v16, v22, vcc
	global_load_dwordx4 v[19:22], v[51:52], off
	global_load_dwordx4 v[23:26], v[51:52], off offset:16
	global_load_dwordx4 v[27:30], v[51:52], off offset:32
	;; [unrolled: 1-line block ×4, first 2 shown]
	global_load_dword v10, v[41:42], off
	v_mov_b32_e32 v40, v8
	v_add_u32_e32 v9, 32, v9
	v_add_u32_e32 v7, 0x200, v7
	s_waitcnt vmcnt(0)
	v_subrev_u32_e32 v10, s2, v10
	v_lshlrev_b32_e32 v39, 3, v10
	v_lshlrev_b64 v[39:40], 3, v[39:40]
	v_add_co_u32_e32 v53, vcc, s14, v39
	v_addc_co_u32_e32 v54, vcc, v18, v40, vcc
	global_load_dwordx4 v[39:42], v[53:54], off
	global_load_dwordx4 v[43:46], v[53:54], off offset:16
	v_cmp_ge_i32_e32 vcc, v9, v13
	s_or_b64 s[8:9], vcc, s[8:9]
	s_waitcnt vmcnt(1)
	v_fmac_f32_e32 v15, v19, v39
	v_fmac_f32_e32 v12, v20, v39
	;; [unrolled: 1-line block ×4, first 2 shown]
	v_fma_f32 v10, -v20, v40, v15
	v_fmac_f32_e32 v12, v19, v40
	v_fma_f32 v14, -v22, v40, v14
	v_fmac_f32_e32 v11, v21, v40
	v_fmac_f32_e32 v10, v23, v41
	;; [unrolled: 1-line block ×5, first 2 shown]
	global_load_dwordx4 v[19:22], v[51:52], off offset:80
	v_fma_f32 v10, -v24, v42, v10
	v_fmac_f32_e32 v12, v23, v42
	v_fma_f32 v14, -v26, v42, v14
	v_fmac_f32_e32 v11, v25, v42
	global_load_dwordx4 v[23:26], v[51:52], off offset:96
	global_load_dwordx4 v[39:42], v[53:54], off offset:32
	s_waitcnt vmcnt(3)
	v_fmac_f32_e32 v10, v27, v43
	v_fmac_f32_e32 v12, v28, v43
	;; [unrolled: 1-line block ×4, first 2 shown]
	v_fma_f32 v10, -v28, v44, v10
	v_fmac_f32_e32 v12, v27, v44
	v_fma_f32 v14, -v30, v44, v14
	v_fmac_f32_e32 v11, v29, v44
	global_load_dwordx4 v[27:30], v[53:54], off offset:48
	global_load_dwordx4 v[47:50], v[51:52], off offset:112
	v_fmac_f32_e32 v10, v31, v45
	v_fmac_f32_e32 v12, v32, v45
	;; [unrolled: 1-line block ×4, first 2 shown]
	v_fma_f32 v10, -v32, v46, v10
	v_fmac_f32_e32 v12, v31, v46
	v_fma_f32 v14, -v34, v46, v14
	v_fmac_f32_e32 v11, v33, v46
	s_waitcnt vmcnt(2)
	v_fmac_f32_e32 v10, v35, v39
	v_fmac_f32_e32 v12, v36, v39
	;; [unrolled: 1-line block ×4, first 2 shown]
	v_fma_f32 v10, -v36, v40, v10
	v_fmac_f32_e32 v12, v35, v40
	v_fma_f32 v14, -v38, v40, v14
	v_fmac_f32_e32 v11, v37, v40
	v_fmac_f32_e32 v10, v19, v41
	;; [unrolled: 1-line block ×5, first 2 shown]
	v_fma_f32 v10, -v20, v42, v10
	v_fmac_f32_e32 v12, v19, v42
	v_fma_f32 v14, -v22, v42, v14
	v_fmac_f32_e32 v11, v21, v42
	s_waitcnt vmcnt(1)
	v_fmac_f32_e32 v10, v23, v27
	v_fmac_f32_e32 v12, v24, v27
	;; [unrolled: 1-line block ×4, first 2 shown]
	v_fma_f32 v10, -v24, v28, v10
	v_fmac_f32_e32 v12, v23, v28
	v_fma_f32 v14, -v26, v28, v14
	v_fmac_f32_e32 v11, v25, v28
	s_waitcnt vmcnt(0)
	v_fmac_f32_e32 v10, v47, v29
	v_fmac_f32_e32 v12, v48, v29
	;; [unrolled: 1-line block ×4, first 2 shown]
	v_fma_f32 v15, -v48, v30, v10
	v_fmac_f32_e32 v12, v47, v30
	v_fma_f32 v14, -v50, v30, v14
	v_fmac_f32_e32 v11, v49, v30
	s_andn2_b64 exec, exec, s[8:9]
	s_cbranch_execnz .LBB185_7
; %bb.8:
	s_or_b64 exec, exec, s[8:9]
.LBB185_9:
	s_or_b64 exec, exec, s[6:7]
	s_cbranch_execz .LBB185_11
	s_branch .LBB185_16
.LBB185_10:
                                        ; implicit-def: $vgpr12
                                        ; implicit-def: $vgpr15
                                        ; implicit-def: $vgpr14
                                        ; implicit-def: $vgpr11
.LBB185_11:
	v_mov_b32_e32 v12, 0
	v_mov_b32_e32 v15, 0
	;; [unrolled: 1-line block ×4, first 2 shown]
	s_and_saveexec_b64 s[6:7], s[0:1]
	s_cbranch_execz .LBB185_15
; %bb.12:
	v_mov_b32_e32 v9, 0
	v_lshlrev_b32_e32 v8, 4, v6
	s_mov_b64 s[0:1], 0
	v_mov_b32_e32 v10, s11
	v_mov_b32_e32 v16, s13
	;; [unrolled: 1-line block ×7, first 2 shown]
.LBB185_13:                             ; =>This Inner Loop Header: Depth=1
	v_lshlrev_b64 v[18:19], 3, v[8:9]
	v_ashrrev_i32_e32 v7, 31, v6
	v_lshlrev_b64 v[20:21], 2, v[6:7]
	v_add_co_u32_e32 v38, vcc, s12, v18
	v_addc_co_u32_e32 v39, vcc, v16, v19, vcc
	v_add_co_u32_e32 v28, vcc, s10, v20
	v_addc_co_u32_e32 v29, vcc, v10, v21, vcc
	global_load_dwordx4 v[18:21], v[38:39], off
	global_load_dwordx4 v[22:25], v[38:39], off offset:16
	global_load_dword v7, v[28:29], off
	v_mov_b32_e32 v27, v9
	v_add_u32_e32 v6, 32, v6
	v_add_u32_e32 v8, 0x200, v8
	s_waitcnt vmcnt(0)
	v_subrev_u32_e32 v7, s2, v7
	v_lshlrev_b32_e32 v26, 3, v7
	v_lshlrev_b64 v[26:27], 3, v[26:27]
	v_add_co_u32_e32 v40, vcc, s14, v26
	v_addc_co_u32_e32 v41, vcc, v17, v27, vcc
	global_load_dwordx4 v[26:29], v[40:41], off
	global_load_dwordx4 v[30:33], v[40:41], off offset:16
	v_cmp_ge_i32_e32 vcc, v6, v13
	s_or_b64 s[0:1], vcc, s[0:1]
	s_waitcnt vmcnt(1)
	v_fmac_f32_e32 v15, v18, v26
	v_fmac_f32_e32 v12, v19, v26
	v_fma_f32 v7, -v19, v27, v15
	v_fmac_f32_e32 v12, v18, v27
	v_fmac_f32_e32 v7, v20, v28
	;; [unrolled: 1-line block ×3, first 2 shown]
	v_fma_f32 v7, -v21, v29, v7
	v_fmac_f32_e32 v12, v20, v29
	global_load_dwordx4 v[18:21], v[38:39], off offset:64
	global_load_dwordx4 v[34:37], v[38:39], off offset:80
	s_waitcnt vmcnt(2)
	v_fmac_f32_e32 v7, v22, v30
	v_fmac_f32_e32 v12, v23, v30
	v_fma_f32 v7, -v23, v31, v7
	v_fmac_f32_e32 v12, v22, v31
	v_fmac_f32_e32 v7, v24, v32
	;; [unrolled: 1-line block ×3, first 2 shown]
	v_fma_f32 v7, -v25, v33, v7
	v_fmac_f32_e32 v12, v24, v33
	s_waitcnt vmcnt(1)
	v_fmac_f32_e32 v14, v18, v26
	v_fmac_f32_e32 v11, v19, v26
	v_fma_f32 v14, -v19, v27, v14
	v_fmac_f32_e32 v11, v18, v27
	v_fmac_f32_e32 v14, v20, v28
	;; [unrolled: 1-line block ×3, first 2 shown]
	v_fma_f32 v14, -v21, v29, v14
	v_fmac_f32_e32 v11, v20, v29
	s_waitcnt vmcnt(0)
	v_fmac_f32_e32 v14, v34, v30
	v_fmac_f32_e32 v11, v35, v30
	v_fma_f32 v14, -v35, v31, v14
	v_fmac_f32_e32 v11, v34, v31
	global_load_dwordx4 v[18:21], v[38:39], off offset:32
	v_fmac_f32_e32 v14, v36, v32
	v_fmac_f32_e32 v11, v37, v32
	v_fma_f32 v14, -v37, v33, v14
	v_fmac_f32_e32 v11, v36, v33
	global_load_dwordx4 v[22:25], v[38:39], off offset:48
	global_load_dwordx4 v[26:29], v[40:41], off offset:32
	;; [unrolled: 1-line block ×3, first 2 shown]
	s_waitcnt vmcnt(1)
	v_fmac_f32_e32 v7, v18, v26
	v_fmac_f32_e32 v12, v19, v26
	v_fma_f32 v7, -v19, v27, v7
	v_fmac_f32_e32 v12, v18, v27
	v_fmac_f32_e32 v7, v20, v28
	;; [unrolled: 1-line block ×3, first 2 shown]
	v_fma_f32 v7, -v21, v29, v7
	v_fmac_f32_e32 v12, v20, v29
	global_load_dwordx4 v[18:21], v[38:39], off offset:96
	global_load_dwordx4 v[34:37], v[38:39], off offset:112
	s_waitcnt vmcnt(2)
	v_fmac_f32_e32 v7, v22, v30
	v_fmac_f32_e32 v12, v23, v30
	v_fma_f32 v7, -v23, v31, v7
	v_fmac_f32_e32 v12, v22, v31
	v_fmac_f32_e32 v7, v24, v32
	v_fmac_f32_e32 v12, v25, v32
	v_fma_f32 v15, -v25, v33, v7
	v_fmac_f32_e32 v12, v24, v33
	s_waitcnt vmcnt(1)
	v_fmac_f32_e32 v14, v18, v26
	v_fmac_f32_e32 v11, v19, v26
	v_fma_f32 v14, -v19, v27, v14
	v_fmac_f32_e32 v11, v18, v27
	v_fmac_f32_e32 v14, v20, v28
	v_fmac_f32_e32 v11, v21, v28
	v_fma_f32 v14, -v21, v29, v14
	v_fmac_f32_e32 v11, v20, v29
	;; [unrolled: 9-line block ×3, first 2 shown]
	s_andn2_b64 exec, exec, s[0:1]
	s_cbranch_execnz .LBB185_13
; %bb.14:
	s_or_b64 exec, exec, s[0:1]
.LBB185_15:
	s_or_b64 exec, exec, s[6:7]
.LBB185_16:
	v_mov_b32_dpp v6, v15 row_shr:1 row_mask:0xf bank_mask:0xf
	v_mov_b32_dpp v8, v12 row_shr:1 row_mask:0xf bank_mask:0xf
	v_mov_b32_dpp v10, v14 row_shr:1 row_mask:0xf bank_mask:0xf
	v_mov_b32_dpp v13, v11 row_shr:1 row_mask:0xf bank_mask:0xf
	v_add_f32_e32 v6, v15, v6
	v_add_f32_e32 v8, v12, v8
	v_add_f32_e32 v10, v14, v10
	v_add_f32_e32 v11, v11, v13
	v_mov_b32_dpp v7, v6 row_shr:2 row_mask:0xf bank_mask:0xf
	v_mov_b32_dpp v9, v8 row_shr:2 row_mask:0xf bank_mask:0xf
	v_mov_b32_dpp v12, v10 row_shr:2 row_mask:0xf bank_mask:0xf
	v_mov_b32_dpp v13, v11 row_shr:2 row_mask:0xf bank_mask:0xf
	v_add_f32_e32 v6, v6, v7
	v_add_f32_e32 v8, v8, v9
	v_add_f32_e32 v10, v10, v12
	v_add_f32_e32 v11, v11, v13
	;; [unrolled: 8-line block ×4, first 2 shown]
	v_mov_b32_dpp v7, v6 row_bcast:15 row_mask:0xa bank_mask:0xf
	v_mov_b32_dpp v9, v8 row_bcast:15 row_mask:0xa bank_mask:0xf
	;; [unrolled: 1-line block ×4, first 2 shown]
	v_cmp_eq_u32_e32 vcc, 31, v0
	s_and_b64 exec, exec, vcc
	s_cbranch_execz .LBB185_21
; %bb.17:
	s_load_dwordx2 s[2:3], s[4:5], 0x38
	v_cmp_eq_f32_e32 vcc, 0, v3
	v_cmp_eq_f32_e64 s[0:1], 0, v4
	v_add_f32_e32 v7, v6, v7
	v_add_f32_e32 v8, v8, v9
	;; [unrolled: 1-line block ×4, first 2 shown]
	s_and_b64 s[0:1], vcc, s[0:1]
	s_and_saveexec_b64 s[4:5], s[0:1]
	s_xor_b64 s[0:1], exec, s[4:5]
	s_cbranch_execz .LBB185_19
; %bb.18:
	v_mul_f32_e64 v3, v8, -v2
	v_mul_f32_e32 v4, v1, v8
	v_fmac_f32_e32 v3, v1, v7
	v_fmac_f32_e32 v4, v2, v7
	v_lshlrev_b32_e32 v7, 1, v5
	v_ashrrev_i32_e32 v8, 31, v7
	v_lshlrev_b64 v[7:8], 3, v[7:8]
	s_waitcnt lgkmcnt(0)
	v_mov_b32_e32 v5, s3
	v_add_co_u32_e32 v7, vcc, s2, v7
	v_addc_co_u32_e32 v8, vcc, v5, v8, vcc
	v_mul_f32_e64 v5, v6, -v2
	v_mul_f32_e32 v6, v1, v6
	v_fmac_f32_e32 v5, v1, v0
	v_fmac_f32_e32 v6, v2, v0
	global_store_dwordx4 v[7:8], v[3:6], off
                                        ; implicit-def: $vgpr5
                                        ; implicit-def: $vgpr1_vgpr2
                                        ; implicit-def: $vgpr8
                                        ; implicit-def: $vgpr7
                                        ; implicit-def: $vgpr3_vgpr4
                                        ; implicit-def: $vgpr6
                                        ; implicit-def: $vgpr0
.LBB185_19:
	s_andn2_saveexec_b64 s[0:1], s[0:1]
	s_cbranch_execz .LBB185_21
; %bb.20:
	v_lshlrev_b32_e32 v9, 1, v5
	v_ashrrev_i32_e32 v10, 31, v9
	v_lshlrev_b64 v[9:10], 3, v[9:10]
	s_waitcnt lgkmcnt(0)
	v_mov_b32_e32 v5, s3
	v_add_co_u32_e32 v17, vcc, s2, v9
	v_addc_co_u32_e32 v18, vcc, v5, v10, vcc
	global_load_dwordx4 v[9:12], v[17:18], off
	v_mul_f32_e64 v5, v8, -v2
	v_mul_f32_e32 v14, v1, v8
	v_mul_f32_e64 v8, v6, -v2
	v_mul_f32_e32 v16, v1, v6
	v_fmac_f32_e32 v5, v1, v7
	v_fmac_f32_e32 v14, v2, v7
	;; [unrolled: 1-line block ×4, first 2 shown]
	s_waitcnt vmcnt(0)
	v_fmac_f32_e32 v5, v3, v9
	v_fmac_f32_e32 v14, v4, v9
	;; [unrolled: 1-line block ×4, first 2 shown]
	v_fma_f32 v13, -v4, v10, v5
	v_fmac_f32_e32 v14, v3, v10
	v_fma_f32 v15, -v4, v12, v8
	v_fmac_f32_e32 v16, v3, v12
	global_store_dwordx4 v[17:18], v[13:16], off
.LBB185_21:
	s_endpgm
	.section	.rodata,"a",@progbits
	.p2align	6, 0x0
	.amdhsa_kernel _ZN9rocsparseL19gebsrmvn_2xn_kernelILj128ELj8ELj32E21rocsparse_complex_numIfEEEvi20rocsparse_direction_NS_24const_host_device_scalarIT2_EEPKiS8_PKS5_SA_S6_PS5_21rocsparse_index_base_b
		.amdhsa_group_segment_fixed_size 0
		.amdhsa_private_segment_fixed_size 0
		.amdhsa_kernarg_size 72
		.amdhsa_user_sgpr_count 6
		.amdhsa_user_sgpr_private_segment_buffer 1
		.amdhsa_user_sgpr_dispatch_ptr 0
		.amdhsa_user_sgpr_queue_ptr 0
		.amdhsa_user_sgpr_kernarg_segment_ptr 1
		.amdhsa_user_sgpr_dispatch_id 0
		.amdhsa_user_sgpr_flat_scratch_init 0
		.amdhsa_user_sgpr_private_segment_size 0
		.amdhsa_uses_dynamic_stack 0
		.amdhsa_system_sgpr_private_segment_wavefront_offset 0
		.amdhsa_system_sgpr_workgroup_id_x 1
		.amdhsa_system_sgpr_workgroup_id_y 0
		.amdhsa_system_sgpr_workgroup_id_z 0
		.amdhsa_system_sgpr_workgroup_info 0
		.amdhsa_system_vgpr_workitem_id 0
		.amdhsa_next_free_vgpr 55
		.amdhsa_next_free_sgpr 16
		.amdhsa_reserve_vcc 1
		.amdhsa_reserve_flat_scratch 0
		.amdhsa_float_round_mode_32 0
		.amdhsa_float_round_mode_16_64 0
		.amdhsa_float_denorm_mode_32 3
		.amdhsa_float_denorm_mode_16_64 3
		.amdhsa_dx10_clamp 1
		.amdhsa_ieee_mode 1
		.amdhsa_fp16_overflow 0
		.amdhsa_exception_fp_ieee_invalid_op 0
		.amdhsa_exception_fp_denorm_src 0
		.amdhsa_exception_fp_ieee_div_zero 0
		.amdhsa_exception_fp_ieee_overflow 0
		.amdhsa_exception_fp_ieee_underflow 0
		.amdhsa_exception_fp_ieee_inexact 0
		.amdhsa_exception_int_div_zero 0
	.end_amdhsa_kernel
	.section	.text._ZN9rocsparseL19gebsrmvn_2xn_kernelILj128ELj8ELj32E21rocsparse_complex_numIfEEEvi20rocsparse_direction_NS_24const_host_device_scalarIT2_EEPKiS8_PKS5_SA_S6_PS5_21rocsparse_index_base_b,"axG",@progbits,_ZN9rocsparseL19gebsrmvn_2xn_kernelILj128ELj8ELj32E21rocsparse_complex_numIfEEEvi20rocsparse_direction_NS_24const_host_device_scalarIT2_EEPKiS8_PKS5_SA_S6_PS5_21rocsparse_index_base_b,comdat
.Lfunc_end185:
	.size	_ZN9rocsparseL19gebsrmvn_2xn_kernelILj128ELj8ELj32E21rocsparse_complex_numIfEEEvi20rocsparse_direction_NS_24const_host_device_scalarIT2_EEPKiS8_PKS5_SA_S6_PS5_21rocsparse_index_base_b, .Lfunc_end185-_ZN9rocsparseL19gebsrmvn_2xn_kernelILj128ELj8ELj32E21rocsparse_complex_numIfEEEvi20rocsparse_direction_NS_24const_host_device_scalarIT2_EEPKiS8_PKS5_SA_S6_PS5_21rocsparse_index_base_b
                                        ; -- End function
	.set _ZN9rocsparseL19gebsrmvn_2xn_kernelILj128ELj8ELj32E21rocsparse_complex_numIfEEEvi20rocsparse_direction_NS_24const_host_device_scalarIT2_EEPKiS8_PKS5_SA_S6_PS5_21rocsparse_index_base_b.num_vgpr, 55
	.set _ZN9rocsparseL19gebsrmvn_2xn_kernelILj128ELj8ELj32E21rocsparse_complex_numIfEEEvi20rocsparse_direction_NS_24const_host_device_scalarIT2_EEPKiS8_PKS5_SA_S6_PS5_21rocsparse_index_base_b.num_agpr, 0
	.set _ZN9rocsparseL19gebsrmvn_2xn_kernelILj128ELj8ELj32E21rocsparse_complex_numIfEEEvi20rocsparse_direction_NS_24const_host_device_scalarIT2_EEPKiS8_PKS5_SA_S6_PS5_21rocsparse_index_base_b.numbered_sgpr, 16
	.set _ZN9rocsparseL19gebsrmvn_2xn_kernelILj128ELj8ELj32E21rocsparse_complex_numIfEEEvi20rocsparse_direction_NS_24const_host_device_scalarIT2_EEPKiS8_PKS5_SA_S6_PS5_21rocsparse_index_base_b.num_named_barrier, 0
	.set _ZN9rocsparseL19gebsrmvn_2xn_kernelILj128ELj8ELj32E21rocsparse_complex_numIfEEEvi20rocsparse_direction_NS_24const_host_device_scalarIT2_EEPKiS8_PKS5_SA_S6_PS5_21rocsparse_index_base_b.private_seg_size, 0
	.set _ZN9rocsparseL19gebsrmvn_2xn_kernelILj128ELj8ELj32E21rocsparse_complex_numIfEEEvi20rocsparse_direction_NS_24const_host_device_scalarIT2_EEPKiS8_PKS5_SA_S6_PS5_21rocsparse_index_base_b.uses_vcc, 1
	.set _ZN9rocsparseL19gebsrmvn_2xn_kernelILj128ELj8ELj32E21rocsparse_complex_numIfEEEvi20rocsparse_direction_NS_24const_host_device_scalarIT2_EEPKiS8_PKS5_SA_S6_PS5_21rocsparse_index_base_b.uses_flat_scratch, 0
	.set _ZN9rocsparseL19gebsrmvn_2xn_kernelILj128ELj8ELj32E21rocsparse_complex_numIfEEEvi20rocsparse_direction_NS_24const_host_device_scalarIT2_EEPKiS8_PKS5_SA_S6_PS5_21rocsparse_index_base_b.has_dyn_sized_stack, 0
	.set _ZN9rocsparseL19gebsrmvn_2xn_kernelILj128ELj8ELj32E21rocsparse_complex_numIfEEEvi20rocsparse_direction_NS_24const_host_device_scalarIT2_EEPKiS8_PKS5_SA_S6_PS5_21rocsparse_index_base_b.has_recursion, 0
	.set _ZN9rocsparseL19gebsrmvn_2xn_kernelILj128ELj8ELj32E21rocsparse_complex_numIfEEEvi20rocsparse_direction_NS_24const_host_device_scalarIT2_EEPKiS8_PKS5_SA_S6_PS5_21rocsparse_index_base_b.has_indirect_call, 0
	.section	.AMDGPU.csdata,"",@progbits
; Kernel info:
; codeLenInByte = 2032
; TotalNumSgprs: 20
; NumVgprs: 55
; ScratchSize: 0
; MemoryBound: 0
; FloatMode: 240
; IeeeMode: 1
; LDSByteSize: 0 bytes/workgroup (compile time only)
; SGPRBlocks: 2
; VGPRBlocks: 13
; NumSGPRsForWavesPerEU: 20
; NumVGPRsForWavesPerEU: 55
; Occupancy: 4
; WaveLimiterHint : 1
; COMPUTE_PGM_RSRC2:SCRATCH_EN: 0
; COMPUTE_PGM_RSRC2:USER_SGPR: 6
; COMPUTE_PGM_RSRC2:TRAP_HANDLER: 0
; COMPUTE_PGM_RSRC2:TGID_X_EN: 1
; COMPUTE_PGM_RSRC2:TGID_Y_EN: 0
; COMPUTE_PGM_RSRC2:TGID_Z_EN: 0
; COMPUTE_PGM_RSRC2:TIDIG_COMP_CNT: 0
	.section	.text._ZN9rocsparseL19gebsrmvn_2xn_kernelILj128ELj8ELj64E21rocsparse_complex_numIfEEEvi20rocsparse_direction_NS_24const_host_device_scalarIT2_EEPKiS8_PKS5_SA_S6_PS5_21rocsparse_index_base_b,"axG",@progbits,_ZN9rocsparseL19gebsrmvn_2xn_kernelILj128ELj8ELj64E21rocsparse_complex_numIfEEEvi20rocsparse_direction_NS_24const_host_device_scalarIT2_EEPKiS8_PKS5_SA_S6_PS5_21rocsparse_index_base_b,comdat
	.globl	_ZN9rocsparseL19gebsrmvn_2xn_kernelILj128ELj8ELj64E21rocsparse_complex_numIfEEEvi20rocsparse_direction_NS_24const_host_device_scalarIT2_EEPKiS8_PKS5_SA_S6_PS5_21rocsparse_index_base_b ; -- Begin function _ZN9rocsparseL19gebsrmvn_2xn_kernelILj128ELj8ELj64E21rocsparse_complex_numIfEEEvi20rocsparse_direction_NS_24const_host_device_scalarIT2_EEPKiS8_PKS5_SA_S6_PS5_21rocsparse_index_base_b
	.p2align	8
	.type	_ZN9rocsparseL19gebsrmvn_2xn_kernelILj128ELj8ELj64E21rocsparse_complex_numIfEEEvi20rocsparse_direction_NS_24const_host_device_scalarIT2_EEPKiS8_PKS5_SA_S6_PS5_21rocsparse_index_base_b,@function
_ZN9rocsparseL19gebsrmvn_2xn_kernelILj128ELj8ELj64E21rocsparse_complex_numIfEEEvi20rocsparse_direction_NS_24const_host_device_scalarIT2_EEPKiS8_PKS5_SA_S6_PS5_21rocsparse_index_base_b: ; @_ZN9rocsparseL19gebsrmvn_2xn_kernelILj128ELj8ELj64E21rocsparse_complex_numIfEEEvi20rocsparse_direction_NS_24const_host_device_scalarIT2_EEPKiS8_PKS5_SA_S6_PS5_21rocsparse_index_base_b
; %bb.0:
	s_load_dwordx2 s[0:1], s[4:5], 0x8
	s_load_dwordx2 s[8:9], s[4:5], 0x30
	;; [unrolled: 1-line block ×3, first 2 shown]
	s_add_u32 s7, s4, 8
	s_addc_u32 s10, s5, 0
	s_add_u32 s11, s4, 48
	s_addc_u32 s12, s5, 0
	s_waitcnt lgkmcnt(0)
	s_bitcmp1_b32 s3, 0
	s_cselect_b32 s1, s10, s1
	s_cselect_b32 s0, s7, s0
	v_mov_b32_e32 v1, s0
	v_mov_b32_e32 v2, s1
	flat_load_dwordx2 v[1:2], v[1:2]
	s_cselect_b32 s0, s12, s9
	s_cselect_b32 s1, s11, s8
	v_mov_b32_e32 v3, s1
	v_mov_b32_e32 v4, s0
	flat_load_dwordx2 v[3:4], v[3:4]
	s_waitcnt vmcnt(0) lgkmcnt(0)
	v_cmp_eq_f32_e32 vcc, 0, v1
	v_cmp_eq_f32_e64 s[0:1], 0, v2
	s_and_b64 s[10:11], vcc, s[0:1]
	s_mov_b64 s[0:1], -1
	s_and_saveexec_b64 s[8:9], s[10:11]
; %bb.1:
	v_cmp_neq_f32_e32 vcc, 1.0, v3
	v_cmp_neq_f32_e64 s[0:1], 0, v4
	s_or_b64 s[0:1], vcc, s[0:1]
	s_orn2_b64 s[0:1], s[0:1], exec
; %bb.2:
	s_or_b64 exec, exec, s[8:9]
	s_and_saveexec_b64 s[8:9], s[0:1]
	s_cbranch_execz .LBB186_21
; %bb.3:
	s_load_dwordx2 s[0:1], s[4:5], 0x0
	v_lshrrev_b32_e32 v5, 6, v0
	v_lshl_or_b32 v5, s6, 1, v5
	s_waitcnt lgkmcnt(0)
	v_cmp_gt_i32_e32 vcc, s0, v5
	s_and_b64 exec, exec, vcc
	s_cbranch_execz .LBB186_21
; %bb.4:
	s_load_dwordx8 s[8:15], s[4:5], 0x10
	v_ashrrev_i32_e32 v6, 31, v5
	v_lshlrev_b64 v[6:7], 2, v[5:6]
	v_and_b32_e32 v0, 63, v0
	s_cmp_lg_u32 s1, 0
	s_waitcnt lgkmcnt(0)
	v_mov_b32_e32 v8, s9
	v_add_co_u32_e32 v6, vcc, s8, v6
	v_addc_co_u32_e32 v7, vcc, v8, v7, vcc
	global_load_dwordx2 v[6:7], v[6:7], off
	s_waitcnt vmcnt(0)
	v_subrev_u32_e32 v6, s2, v6
	v_subrev_u32_e32 v13, s2, v7
	v_add_u32_e32 v6, v6, v0
	v_cmp_lt_i32_e64 s[0:1], v6, v13
	s_cbranch_scc0 .LBB186_10
; %bb.5:
	v_mov_b32_e32 v12, 0
	v_mov_b32_e32 v15, 0
	;; [unrolled: 1-line block ×4, first 2 shown]
	s_and_saveexec_b64 s[6:7], s[0:1]
	s_cbranch_execz .LBB186_9
; %bb.6:
	v_mov_b32_e32 v8, 0
	v_lshlrev_b32_e32 v7, 4, v6
	s_mov_b64 s[8:9], 0
	v_mov_b32_e32 v16, s11
	v_mov_b32_e32 v17, s13
	;; [unrolled: 1-line block ×8, first 2 shown]
.LBB186_7:                              ; =>This Inner Loop Header: Depth=1
	v_lshlrev_b64 v[19:20], 3, v[7:8]
	v_ashrrev_i32_e32 v10, 31, v9
	v_lshlrev_b64 v[21:22], 2, v[9:10]
	v_add_co_u32_e32 v51, vcc, s12, v19
	v_addc_co_u32_e32 v52, vcc, v17, v20, vcc
	v_add_co_u32_e32 v41, vcc, s10, v21
	v_addc_co_u32_e32 v42, vcc, v16, v22, vcc
	global_load_dwordx4 v[19:22], v[51:52], off
	global_load_dwordx4 v[23:26], v[51:52], off offset:16
	global_load_dwordx4 v[27:30], v[51:52], off offset:32
	;; [unrolled: 1-line block ×4, first 2 shown]
	global_load_dword v10, v[41:42], off
	v_mov_b32_e32 v40, v8
	v_add_u32_e32 v9, 64, v9
	v_add_u32_e32 v7, 0x400, v7
	s_waitcnt vmcnt(0)
	v_subrev_u32_e32 v10, s2, v10
	v_lshlrev_b32_e32 v39, 3, v10
	v_lshlrev_b64 v[39:40], 3, v[39:40]
	v_add_co_u32_e32 v53, vcc, s14, v39
	v_addc_co_u32_e32 v54, vcc, v18, v40, vcc
	global_load_dwordx4 v[39:42], v[53:54], off
	global_load_dwordx4 v[43:46], v[53:54], off offset:16
	v_cmp_ge_i32_e32 vcc, v9, v13
	s_or_b64 s[8:9], vcc, s[8:9]
	s_waitcnt vmcnt(1)
	v_fmac_f32_e32 v15, v19, v39
	v_fmac_f32_e32 v12, v20, v39
	;; [unrolled: 1-line block ×4, first 2 shown]
	v_fma_f32 v10, -v20, v40, v15
	v_fmac_f32_e32 v12, v19, v40
	v_fma_f32 v14, -v22, v40, v14
	v_fmac_f32_e32 v11, v21, v40
	v_fmac_f32_e32 v10, v23, v41
	;; [unrolled: 1-line block ×5, first 2 shown]
	global_load_dwordx4 v[19:22], v[51:52], off offset:80
	v_fma_f32 v10, -v24, v42, v10
	v_fmac_f32_e32 v12, v23, v42
	v_fma_f32 v14, -v26, v42, v14
	v_fmac_f32_e32 v11, v25, v42
	global_load_dwordx4 v[23:26], v[51:52], off offset:96
	global_load_dwordx4 v[39:42], v[53:54], off offset:32
	s_waitcnt vmcnt(3)
	v_fmac_f32_e32 v10, v27, v43
	v_fmac_f32_e32 v12, v28, v43
	;; [unrolled: 1-line block ×4, first 2 shown]
	v_fma_f32 v10, -v28, v44, v10
	v_fmac_f32_e32 v12, v27, v44
	v_fma_f32 v14, -v30, v44, v14
	v_fmac_f32_e32 v11, v29, v44
	global_load_dwordx4 v[27:30], v[53:54], off offset:48
	global_load_dwordx4 v[47:50], v[51:52], off offset:112
	v_fmac_f32_e32 v10, v31, v45
	v_fmac_f32_e32 v12, v32, v45
	;; [unrolled: 1-line block ×4, first 2 shown]
	v_fma_f32 v10, -v32, v46, v10
	v_fmac_f32_e32 v12, v31, v46
	v_fma_f32 v14, -v34, v46, v14
	v_fmac_f32_e32 v11, v33, v46
	s_waitcnt vmcnt(2)
	v_fmac_f32_e32 v10, v35, v39
	v_fmac_f32_e32 v12, v36, v39
	;; [unrolled: 1-line block ×4, first 2 shown]
	v_fma_f32 v10, -v36, v40, v10
	v_fmac_f32_e32 v12, v35, v40
	v_fma_f32 v14, -v38, v40, v14
	v_fmac_f32_e32 v11, v37, v40
	v_fmac_f32_e32 v10, v19, v41
	;; [unrolled: 1-line block ×5, first 2 shown]
	v_fma_f32 v10, -v20, v42, v10
	v_fmac_f32_e32 v12, v19, v42
	v_fma_f32 v14, -v22, v42, v14
	v_fmac_f32_e32 v11, v21, v42
	s_waitcnt vmcnt(1)
	v_fmac_f32_e32 v10, v23, v27
	v_fmac_f32_e32 v12, v24, v27
	;; [unrolled: 1-line block ×4, first 2 shown]
	v_fma_f32 v10, -v24, v28, v10
	v_fmac_f32_e32 v12, v23, v28
	v_fma_f32 v14, -v26, v28, v14
	v_fmac_f32_e32 v11, v25, v28
	s_waitcnt vmcnt(0)
	v_fmac_f32_e32 v10, v47, v29
	v_fmac_f32_e32 v12, v48, v29
	;; [unrolled: 1-line block ×4, first 2 shown]
	v_fma_f32 v15, -v48, v30, v10
	v_fmac_f32_e32 v12, v47, v30
	v_fma_f32 v14, -v50, v30, v14
	v_fmac_f32_e32 v11, v49, v30
	s_andn2_b64 exec, exec, s[8:9]
	s_cbranch_execnz .LBB186_7
; %bb.8:
	s_or_b64 exec, exec, s[8:9]
.LBB186_9:
	s_or_b64 exec, exec, s[6:7]
	s_cbranch_execz .LBB186_11
	s_branch .LBB186_16
.LBB186_10:
                                        ; implicit-def: $vgpr12
                                        ; implicit-def: $vgpr15
                                        ; implicit-def: $vgpr14
                                        ; implicit-def: $vgpr11
.LBB186_11:
	v_mov_b32_e32 v12, 0
	v_mov_b32_e32 v15, 0
	;; [unrolled: 1-line block ×4, first 2 shown]
	s_and_saveexec_b64 s[6:7], s[0:1]
	s_cbranch_execz .LBB186_15
; %bb.12:
	v_mov_b32_e32 v9, 0
	v_lshlrev_b32_e32 v8, 4, v6
	s_mov_b64 s[0:1], 0
	v_mov_b32_e32 v10, s11
	v_mov_b32_e32 v16, s13
	;; [unrolled: 1-line block ×7, first 2 shown]
.LBB186_13:                             ; =>This Inner Loop Header: Depth=1
	v_lshlrev_b64 v[18:19], 3, v[8:9]
	v_ashrrev_i32_e32 v7, 31, v6
	v_lshlrev_b64 v[20:21], 2, v[6:7]
	v_add_co_u32_e32 v38, vcc, s12, v18
	v_addc_co_u32_e32 v39, vcc, v16, v19, vcc
	v_add_co_u32_e32 v28, vcc, s10, v20
	v_addc_co_u32_e32 v29, vcc, v10, v21, vcc
	global_load_dwordx4 v[18:21], v[38:39], off
	global_load_dwordx4 v[22:25], v[38:39], off offset:16
	global_load_dword v7, v[28:29], off
	v_mov_b32_e32 v27, v9
	v_add_u32_e32 v6, 64, v6
	v_add_u32_e32 v8, 0x400, v8
	s_waitcnt vmcnt(0)
	v_subrev_u32_e32 v7, s2, v7
	v_lshlrev_b32_e32 v26, 3, v7
	v_lshlrev_b64 v[26:27], 3, v[26:27]
	v_add_co_u32_e32 v40, vcc, s14, v26
	v_addc_co_u32_e32 v41, vcc, v17, v27, vcc
	global_load_dwordx4 v[26:29], v[40:41], off
	global_load_dwordx4 v[30:33], v[40:41], off offset:16
	v_cmp_ge_i32_e32 vcc, v6, v13
	s_or_b64 s[0:1], vcc, s[0:1]
	s_waitcnt vmcnt(1)
	v_fmac_f32_e32 v15, v18, v26
	v_fmac_f32_e32 v12, v19, v26
	v_fma_f32 v7, -v19, v27, v15
	v_fmac_f32_e32 v12, v18, v27
	v_fmac_f32_e32 v7, v20, v28
	;; [unrolled: 1-line block ×3, first 2 shown]
	v_fma_f32 v7, -v21, v29, v7
	v_fmac_f32_e32 v12, v20, v29
	global_load_dwordx4 v[18:21], v[38:39], off offset:64
	global_load_dwordx4 v[34:37], v[38:39], off offset:80
	s_waitcnt vmcnt(2)
	v_fmac_f32_e32 v7, v22, v30
	v_fmac_f32_e32 v12, v23, v30
	v_fma_f32 v7, -v23, v31, v7
	v_fmac_f32_e32 v12, v22, v31
	v_fmac_f32_e32 v7, v24, v32
	;; [unrolled: 1-line block ×3, first 2 shown]
	v_fma_f32 v7, -v25, v33, v7
	v_fmac_f32_e32 v12, v24, v33
	s_waitcnt vmcnt(1)
	v_fmac_f32_e32 v14, v18, v26
	v_fmac_f32_e32 v11, v19, v26
	v_fma_f32 v14, -v19, v27, v14
	v_fmac_f32_e32 v11, v18, v27
	v_fmac_f32_e32 v14, v20, v28
	;; [unrolled: 1-line block ×3, first 2 shown]
	v_fma_f32 v14, -v21, v29, v14
	v_fmac_f32_e32 v11, v20, v29
	s_waitcnt vmcnt(0)
	v_fmac_f32_e32 v14, v34, v30
	v_fmac_f32_e32 v11, v35, v30
	v_fma_f32 v14, -v35, v31, v14
	v_fmac_f32_e32 v11, v34, v31
	global_load_dwordx4 v[18:21], v[38:39], off offset:32
	v_fmac_f32_e32 v14, v36, v32
	v_fmac_f32_e32 v11, v37, v32
	v_fma_f32 v14, -v37, v33, v14
	v_fmac_f32_e32 v11, v36, v33
	global_load_dwordx4 v[22:25], v[38:39], off offset:48
	global_load_dwordx4 v[26:29], v[40:41], off offset:32
	;; [unrolled: 1-line block ×3, first 2 shown]
	s_waitcnt vmcnt(1)
	v_fmac_f32_e32 v7, v18, v26
	v_fmac_f32_e32 v12, v19, v26
	v_fma_f32 v7, -v19, v27, v7
	v_fmac_f32_e32 v12, v18, v27
	v_fmac_f32_e32 v7, v20, v28
	;; [unrolled: 1-line block ×3, first 2 shown]
	v_fma_f32 v7, -v21, v29, v7
	v_fmac_f32_e32 v12, v20, v29
	global_load_dwordx4 v[18:21], v[38:39], off offset:96
	global_load_dwordx4 v[34:37], v[38:39], off offset:112
	s_waitcnt vmcnt(2)
	v_fmac_f32_e32 v7, v22, v30
	v_fmac_f32_e32 v12, v23, v30
	v_fma_f32 v7, -v23, v31, v7
	v_fmac_f32_e32 v12, v22, v31
	v_fmac_f32_e32 v7, v24, v32
	v_fmac_f32_e32 v12, v25, v32
	v_fma_f32 v15, -v25, v33, v7
	v_fmac_f32_e32 v12, v24, v33
	s_waitcnt vmcnt(1)
	v_fmac_f32_e32 v14, v18, v26
	v_fmac_f32_e32 v11, v19, v26
	v_fma_f32 v14, -v19, v27, v14
	v_fmac_f32_e32 v11, v18, v27
	v_fmac_f32_e32 v14, v20, v28
	v_fmac_f32_e32 v11, v21, v28
	v_fma_f32 v14, -v21, v29, v14
	v_fmac_f32_e32 v11, v20, v29
	;; [unrolled: 9-line block ×3, first 2 shown]
	s_andn2_b64 exec, exec, s[0:1]
	s_cbranch_execnz .LBB186_13
; %bb.14:
	s_or_b64 exec, exec, s[0:1]
.LBB186_15:
	s_or_b64 exec, exec, s[6:7]
.LBB186_16:
	v_mov_b32_dpp v6, v15 row_shr:1 row_mask:0xf bank_mask:0xf
	v_mov_b32_dpp v8, v12 row_shr:1 row_mask:0xf bank_mask:0xf
	v_mov_b32_dpp v10, v14 row_shr:1 row_mask:0xf bank_mask:0xf
	v_mov_b32_dpp v13, v11 row_shr:1 row_mask:0xf bank_mask:0xf
	v_add_f32_e32 v6, v15, v6
	v_add_f32_e32 v8, v12, v8
	v_add_f32_e32 v10, v14, v10
	v_add_f32_e32 v11, v11, v13
	v_mov_b32_dpp v7, v6 row_shr:2 row_mask:0xf bank_mask:0xf
	v_mov_b32_dpp v9, v8 row_shr:2 row_mask:0xf bank_mask:0xf
	v_mov_b32_dpp v12, v10 row_shr:2 row_mask:0xf bank_mask:0xf
	v_mov_b32_dpp v13, v11 row_shr:2 row_mask:0xf bank_mask:0xf
	v_add_f32_e32 v6, v6, v7
	v_add_f32_e32 v8, v8, v9
	v_add_f32_e32 v10, v10, v12
	v_add_f32_e32 v11, v11, v13
	;; [unrolled: 8-line block ×4, first 2 shown]
	v_mov_b32_dpp v7, v6 row_bcast:15 row_mask:0xa bank_mask:0xf
	v_mov_b32_dpp v9, v8 row_bcast:15 row_mask:0xa bank_mask:0xf
	;; [unrolled: 1-line block ×4, first 2 shown]
	v_add_f32_e32 v6, v6, v7
	v_add_f32_e32 v8, v8, v9
	;; [unrolled: 1-line block ×4, first 2 shown]
	v_mov_b32_dpp v7, v6 row_bcast:31 row_mask:0xc bank_mask:0xf
	v_mov_b32_dpp v9, v8 row_bcast:31 row_mask:0xc bank_mask:0xf
	;; [unrolled: 1-line block ×4, first 2 shown]
	v_cmp_eq_u32_e32 vcc, 63, v0
	s_and_b64 exec, exec, vcc
	s_cbranch_execz .LBB186_21
; %bb.17:
	s_load_dwordx2 s[2:3], s[4:5], 0x38
	v_cmp_eq_f32_e32 vcc, 0, v3
	v_cmp_eq_f32_e64 s[0:1], 0, v4
	v_add_f32_e32 v7, v6, v7
	v_add_f32_e32 v8, v8, v9
	;; [unrolled: 1-line block ×4, first 2 shown]
	s_and_b64 s[0:1], vcc, s[0:1]
	s_and_saveexec_b64 s[4:5], s[0:1]
	s_xor_b64 s[0:1], exec, s[4:5]
	s_cbranch_execz .LBB186_19
; %bb.18:
	v_mul_f32_e64 v3, v8, -v2
	v_mul_f32_e32 v4, v1, v8
	v_fmac_f32_e32 v3, v1, v7
	v_fmac_f32_e32 v4, v2, v7
	v_lshlrev_b32_e32 v7, 1, v5
	v_ashrrev_i32_e32 v8, 31, v7
	v_lshlrev_b64 v[7:8], 3, v[7:8]
	s_waitcnt lgkmcnt(0)
	v_mov_b32_e32 v5, s3
	v_add_co_u32_e32 v7, vcc, s2, v7
	v_addc_co_u32_e32 v8, vcc, v5, v8, vcc
	v_mul_f32_e64 v5, v6, -v2
	v_mul_f32_e32 v6, v1, v6
	v_fmac_f32_e32 v5, v1, v0
	v_fmac_f32_e32 v6, v2, v0
	global_store_dwordx4 v[7:8], v[3:6], off
                                        ; implicit-def: $vgpr5
                                        ; implicit-def: $vgpr1_vgpr2
                                        ; implicit-def: $vgpr8
                                        ; implicit-def: $vgpr7
                                        ; implicit-def: $vgpr3_vgpr4
                                        ; implicit-def: $vgpr6
                                        ; implicit-def: $vgpr0
.LBB186_19:
	s_andn2_saveexec_b64 s[0:1], s[0:1]
	s_cbranch_execz .LBB186_21
; %bb.20:
	v_lshlrev_b32_e32 v9, 1, v5
	v_ashrrev_i32_e32 v10, 31, v9
	v_lshlrev_b64 v[9:10], 3, v[9:10]
	s_waitcnt lgkmcnt(0)
	v_mov_b32_e32 v5, s3
	v_add_co_u32_e32 v17, vcc, s2, v9
	v_addc_co_u32_e32 v18, vcc, v5, v10, vcc
	global_load_dwordx4 v[9:12], v[17:18], off
	v_mul_f32_e64 v5, v8, -v2
	v_mul_f32_e32 v14, v1, v8
	v_mul_f32_e64 v8, v6, -v2
	v_mul_f32_e32 v16, v1, v6
	v_fmac_f32_e32 v5, v1, v7
	v_fmac_f32_e32 v14, v2, v7
	v_fmac_f32_e32 v8, v1, v0
	v_fmac_f32_e32 v16, v2, v0
	s_waitcnt vmcnt(0)
	v_fmac_f32_e32 v5, v3, v9
	v_fmac_f32_e32 v14, v4, v9
	;; [unrolled: 1-line block ×4, first 2 shown]
	v_fma_f32 v13, -v4, v10, v5
	v_fmac_f32_e32 v14, v3, v10
	v_fma_f32 v15, -v4, v12, v8
	v_fmac_f32_e32 v16, v3, v12
	global_store_dwordx4 v[17:18], v[13:16], off
.LBB186_21:
	s_endpgm
	.section	.rodata,"a",@progbits
	.p2align	6, 0x0
	.amdhsa_kernel _ZN9rocsparseL19gebsrmvn_2xn_kernelILj128ELj8ELj64E21rocsparse_complex_numIfEEEvi20rocsparse_direction_NS_24const_host_device_scalarIT2_EEPKiS8_PKS5_SA_S6_PS5_21rocsparse_index_base_b
		.amdhsa_group_segment_fixed_size 0
		.amdhsa_private_segment_fixed_size 0
		.amdhsa_kernarg_size 72
		.amdhsa_user_sgpr_count 6
		.amdhsa_user_sgpr_private_segment_buffer 1
		.amdhsa_user_sgpr_dispatch_ptr 0
		.amdhsa_user_sgpr_queue_ptr 0
		.amdhsa_user_sgpr_kernarg_segment_ptr 1
		.amdhsa_user_sgpr_dispatch_id 0
		.amdhsa_user_sgpr_flat_scratch_init 0
		.amdhsa_user_sgpr_private_segment_size 0
		.amdhsa_uses_dynamic_stack 0
		.amdhsa_system_sgpr_private_segment_wavefront_offset 0
		.amdhsa_system_sgpr_workgroup_id_x 1
		.amdhsa_system_sgpr_workgroup_id_y 0
		.amdhsa_system_sgpr_workgroup_id_z 0
		.amdhsa_system_sgpr_workgroup_info 0
		.amdhsa_system_vgpr_workitem_id 0
		.amdhsa_next_free_vgpr 55
		.amdhsa_next_free_sgpr 16
		.amdhsa_reserve_vcc 1
		.amdhsa_reserve_flat_scratch 0
		.amdhsa_float_round_mode_32 0
		.amdhsa_float_round_mode_16_64 0
		.amdhsa_float_denorm_mode_32 3
		.amdhsa_float_denorm_mode_16_64 3
		.amdhsa_dx10_clamp 1
		.amdhsa_ieee_mode 1
		.amdhsa_fp16_overflow 0
		.amdhsa_exception_fp_ieee_invalid_op 0
		.amdhsa_exception_fp_denorm_src 0
		.amdhsa_exception_fp_ieee_div_zero 0
		.amdhsa_exception_fp_ieee_overflow 0
		.amdhsa_exception_fp_ieee_underflow 0
		.amdhsa_exception_fp_ieee_inexact 0
		.amdhsa_exception_int_div_zero 0
	.end_amdhsa_kernel
	.section	.text._ZN9rocsparseL19gebsrmvn_2xn_kernelILj128ELj8ELj64E21rocsparse_complex_numIfEEEvi20rocsparse_direction_NS_24const_host_device_scalarIT2_EEPKiS8_PKS5_SA_S6_PS5_21rocsparse_index_base_b,"axG",@progbits,_ZN9rocsparseL19gebsrmvn_2xn_kernelILj128ELj8ELj64E21rocsparse_complex_numIfEEEvi20rocsparse_direction_NS_24const_host_device_scalarIT2_EEPKiS8_PKS5_SA_S6_PS5_21rocsparse_index_base_b,comdat
.Lfunc_end186:
	.size	_ZN9rocsparseL19gebsrmvn_2xn_kernelILj128ELj8ELj64E21rocsparse_complex_numIfEEEvi20rocsparse_direction_NS_24const_host_device_scalarIT2_EEPKiS8_PKS5_SA_S6_PS5_21rocsparse_index_base_b, .Lfunc_end186-_ZN9rocsparseL19gebsrmvn_2xn_kernelILj128ELj8ELj64E21rocsparse_complex_numIfEEEvi20rocsparse_direction_NS_24const_host_device_scalarIT2_EEPKiS8_PKS5_SA_S6_PS5_21rocsparse_index_base_b
                                        ; -- End function
	.set _ZN9rocsparseL19gebsrmvn_2xn_kernelILj128ELj8ELj64E21rocsparse_complex_numIfEEEvi20rocsparse_direction_NS_24const_host_device_scalarIT2_EEPKiS8_PKS5_SA_S6_PS5_21rocsparse_index_base_b.num_vgpr, 55
	.set _ZN9rocsparseL19gebsrmvn_2xn_kernelILj128ELj8ELj64E21rocsparse_complex_numIfEEEvi20rocsparse_direction_NS_24const_host_device_scalarIT2_EEPKiS8_PKS5_SA_S6_PS5_21rocsparse_index_base_b.num_agpr, 0
	.set _ZN9rocsparseL19gebsrmvn_2xn_kernelILj128ELj8ELj64E21rocsparse_complex_numIfEEEvi20rocsparse_direction_NS_24const_host_device_scalarIT2_EEPKiS8_PKS5_SA_S6_PS5_21rocsparse_index_base_b.numbered_sgpr, 16
	.set _ZN9rocsparseL19gebsrmvn_2xn_kernelILj128ELj8ELj64E21rocsparse_complex_numIfEEEvi20rocsparse_direction_NS_24const_host_device_scalarIT2_EEPKiS8_PKS5_SA_S6_PS5_21rocsparse_index_base_b.num_named_barrier, 0
	.set _ZN9rocsparseL19gebsrmvn_2xn_kernelILj128ELj8ELj64E21rocsparse_complex_numIfEEEvi20rocsparse_direction_NS_24const_host_device_scalarIT2_EEPKiS8_PKS5_SA_S6_PS5_21rocsparse_index_base_b.private_seg_size, 0
	.set _ZN9rocsparseL19gebsrmvn_2xn_kernelILj128ELj8ELj64E21rocsparse_complex_numIfEEEvi20rocsparse_direction_NS_24const_host_device_scalarIT2_EEPKiS8_PKS5_SA_S6_PS5_21rocsparse_index_base_b.uses_vcc, 1
	.set _ZN9rocsparseL19gebsrmvn_2xn_kernelILj128ELj8ELj64E21rocsparse_complex_numIfEEEvi20rocsparse_direction_NS_24const_host_device_scalarIT2_EEPKiS8_PKS5_SA_S6_PS5_21rocsparse_index_base_b.uses_flat_scratch, 0
	.set _ZN9rocsparseL19gebsrmvn_2xn_kernelILj128ELj8ELj64E21rocsparse_complex_numIfEEEvi20rocsparse_direction_NS_24const_host_device_scalarIT2_EEPKiS8_PKS5_SA_S6_PS5_21rocsparse_index_base_b.has_dyn_sized_stack, 0
	.set _ZN9rocsparseL19gebsrmvn_2xn_kernelILj128ELj8ELj64E21rocsparse_complex_numIfEEEvi20rocsparse_direction_NS_24const_host_device_scalarIT2_EEPKiS8_PKS5_SA_S6_PS5_21rocsparse_index_base_b.has_recursion, 0
	.set _ZN9rocsparseL19gebsrmvn_2xn_kernelILj128ELj8ELj64E21rocsparse_complex_numIfEEEvi20rocsparse_direction_NS_24const_host_device_scalarIT2_EEPKiS8_PKS5_SA_S6_PS5_21rocsparse_index_base_b.has_indirect_call, 0
	.section	.AMDGPU.csdata,"",@progbits
; Kernel info:
; codeLenInByte = 2080
; TotalNumSgprs: 20
; NumVgprs: 55
; ScratchSize: 0
; MemoryBound: 0
; FloatMode: 240
; IeeeMode: 1
; LDSByteSize: 0 bytes/workgroup (compile time only)
; SGPRBlocks: 2
; VGPRBlocks: 13
; NumSGPRsForWavesPerEU: 20
; NumVGPRsForWavesPerEU: 55
; Occupancy: 4
; WaveLimiterHint : 1
; COMPUTE_PGM_RSRC2:SCRATCH_EN: 0
; COMPUTE_PGM_RSRC2:USER_SGPR: 6
; COMPUTE_PGM_RSRC2:TRAP_HANDLER: 0
; COMPUTE_PGM_RSRC2:TGID_X_EN: 1
; COMPUTE_PGM_RSRC2:TGID_Y_EN: 0
; COMPUTE_PGM_RSRC2:TGID_Z_EN: 0
; COMPUTE_PGM_RSRC2:TIDIG_COMP_CNT: 0
	.section	.text._ZN9rocsparseL19gebsrmvn_2xn_kernelILj128ELj9ELj4E21rocsparse_complex_numIfEEEvi20rocsparse_direction_NS_24const_host_device_scalarIT2_EEPKiS8_PKS5_SA_S6_PS5_21rocsparse_index_base_b,"axG",@progbits,_ZN9rocsparseL19gebsrmvn_2xn_kernelILj128ELj9ELj4E21rocsparse_complex_numIfEEEvi20rocsparse_direction_NS_24const_host_device_scalarIT2_EEPKiS8_PKS5_SA_S6_PS5_21rocsparse_index_base_b,comdat
	.globl	_ZN9rocsparseL19gebsrmvn_2xn_kernelILj128ELj9ELj4E21rocsparse_complex_numIfEEEvi20rocsparse_direction_NS_24const_host_device_scalarIT2_EEPKiS8_PKS5_SA_S6_PS5_21rocsparse_index_base_b ; -- Begin function _ZN9rocsparseL19gebsrmvn_2xn_kernelILj128ELj9ELj4E21rocsparse_complex_numIfEEEvi20rocsparse_direction_NS_24const_host_device_scalarIT2_EEPKiS8_PKS5_SA_S6_PS5_21rocsparse_index_base_b
	.p2align	8
	.type	_ZN9rocsparseL19gebsrmvn_2xn_kernelILj128ELj9ELj4E21rocsparse_complex_numIfEEEvi20rocsparse_direction_NS_24const_host_device_scalarIT2_EEPKiS8_PKS5_SA_S6_PS5_21rocsparse_index_base_b,@function
_ZN9rocsparseL19gebsrmvn_2xn_kernelILj128ELj9ELj4E21rocsparse_complex_numIfEEEvi20rocsparse_direction_NS_24const_host_device_scalarIT2_EEPKiS8_PKS5_SA_S6_PS5_21rocsparse_index_base_b: ; @_ZN9rocsparseL19gebsrmvn_2xn_kernelILj128ELj9ELj4E21rocsparse_complex_numIfEEEvi20rocsparse_direction_NS_24const_host_device_scalarIT2_EEPKiS8_PKS5_SA_S6_PS5_21rocsparse_index_base_b
; %bb.0:
	s_load_dwordx2 s[0:1], s[4:5], 0x8
	s_load_dwordx2 s[8:9], s[4:5], 0x30
	;; [unrolled: 1-line block ×3, first 2 shown]
	s_add_u32 s7, s4, 8
	s_addc_u32 s10, s5, 0
	s_add_u32 s11, s4, 48
	s_addc_u32 s12, s5, 0
	s_waitcnt lgkmcnt(0)
	s_bitcmp1_b32 s3, 0
	s_cselect_b32 s1, s10, s1
	s_cselect_b32 s0, s7, s0
	v_mov_b32_e32 v1, s0
	v_mov_b32_e32 v2, s1
	flat_load_dwordx2 v[1:2], v[1:2]
	s_cselect_b32 s0, s12, s9
	s_cselect_b32 s1, s11, s8
	v_mov_b32_e32 v3, s1
	v_mov_b32_e32 v4, s0
	flat_load_dwordx2 v[3:4], v[3:4]
	s_waitcnt vmcnt(0) lgkmcnt(0)
	v_cmp_eq_f32_e32 vcc, 0, v1
	v_cmp_eq_f32_e64 s[0:1], 0, v2
	s_and_b64 s[10:11], vcc, s[0:1]
	s_mov_b64 s[0:1], -1
	s_and_saveexec_b64 s[8:9], s[10:11]
; %bb.1:
	v_cmp_neq_f32_e32 vcc, 1.0, v3
	v_cmp_neq_f32_e64 s[0:1], 0, v4
	s_or_b64 s[0:1], vcc, s[0:1]
	s_orn2_b64 s[0:1], s[0:1], exec
; %bb.2:
	s_or_b64 exec, exec, s[8:9]
	s_and_saveexec_b64 s[8:9], s[0:1]
	s_cbranch_execz .LBB187_21
; %bb.3:
	s_load_dwordx2 s[0:1], s[4:5], 0x0
	v_lshrrev_b32_e32 v5, 2, v0
	v_lshl_or_b32 v5, s6, 5, v5
	s_waitcnt lgkmcnt(0)
	v_cmp_gt_i32_e32 vcc, s0, v5
	s_and_b64 exec, exec, vcc
	s_cbranch_execz .LBB187_21
; %bb.4:
	s_load_dwordx8 s[8:15], s[4:5], 0x10
	v_ashrrev_i32_e32 v6, 31, v5
	v_lshlrev_b64 v[6:7], 2, v[5:6]
	v_and_b32_e32 v0, 3, v0
	s_cmp_lg_u32 s1, 0
	s_waitcnt lgkmcnt(0)
	v_mov_b32_e32 v8, s9
	v_add_co_u32_e32 v6, vcc, s8, v6
	v_addc_co_u32_e32 v7, vcc, v8, v7, vcc
	global_load_dwordx2 v[6:7], v[6:7], off
	s_waitcnt vmcnt(0)
	v_subrev_u32_e32 v6, s2, v6
	v_subrev_u32_e32 v13, s2, v7
	v_add_u32_e32 v6, v6, v0
	v_cmp_lt_i32_e64 s[0:1], v6, v13
	s_cbranch_scc0 .LBB187_10
; %bb.5:
	v_mov_b32_e32 v14, 0
	v_mov_b32_e32 v16, 0
	;; [unrolled: 1-line block ×4, first 2 shown]
	s_and_saveexec_b64 s[6:7], s[0:1]
	s_cbranch_execz .LBB187_9
; %bb.6:
	v_mad_u64_u32 v[7:8], s[8:9], v6, 18, 16
	v_mov_b32_e32 v10, 0
	s_mov_b64 s[8:9], 0
	v_mov_b32_e32 v18, s11
	v_mov_b32_e32 v19, s13
	;; [unrolled: 1-line block ×8, first 2 shown]
.LBB187_7:                              ; =>This Inner Loop Header: Depth=1
	v_ashrrev_i32_e32 v12, 31, v11
	v_lshlrev_b64 v[21:22], 2, v[11:12]
	v_add_u32_e32 v9, -16, v7
	v_lshlrev_b64 v[23:24], 3, v[9:10]
	v_add_co_u32_e32 v27, vcc, s10, v21
	v_addc_co_u32_e32 v28, vcc, v18, v22, vcc
	v_add_co_u32_e32 v31, vcc, s12, v23
	v_addc_co_u32_e32 v32, vcc, v19, v24, vcc
	global_load_dword v12, v[27:28], off
	global_load_dwordx4 v[21:24], v[31:32], off
	v_mov_b32_e32 v8, v10
	v_lshlrev_b64 v[25:26], 3, v[7:8]
	v_add_u32_e32 v9, -14, v7
	v_lshlrev_b64 v[8:9], 3, v[9:10]
	v_add_co_u32_e32 v33, vcc, s12, v25
	v_mov_b32_e32 v30, v10
	v_addc_co_u32_e32 v34, vcc, v19, v26, vcc
	v_add_co_u32_e32 v8, vcc, s12, v8
	v_addc_co_u32_e32 v9, vcc, v19, v9, vcc
	v_add_u32_e32 v11, 4, v11
	s_waitcnt vmcnt(1)
	v_subrev_u32_e32 v12, s2, v12
	v_lshl_add_u32 v29, v12, 3, v12
	v_lshlrev_b64 v[25:26], 3, v[29:30]
	v_add_co_u32_e32 v30, vcc, s14, v25
	v_addc_co_u32_e32 v31, vcc, v20, v26, vcc
	global_load_dwordx4 v[25:28], v[33:34], off
	global_load_dwordx2 v[35:36], v[30:31], off
	s_waitcnt vmcnt(0)
	v_fmac_f32_e32 v16, v21, v35
	v_fmac_f32_e32 v14, v22, v35
	;; [unrolled: 1-line block ×4, first 2 shown]
	v_fma_f32 v12, -v22, v36, v16
	v_fmac_f32_e32 v14, v21, v36
	v_fma_f32 v32, -v24, v36, v17
	v_fmac_f32_e32 v15, v23, v36
	global_load_dwordx4 v[21:24], v[8:9], off
	v_add_u32_e32 v9, 1, v29
	v_lshlrev_b64 v[16:17], 3, v[9:10]
	v_add_u32_e32 v9, -12, v7
	v_add_co_u32_e32 v16, vcc, s14, v16
	v_addc_co_u32_e32 v17, vcc, v20, v17, vcc
	global_load_dwordx2 v[16:17], v[16:17], off
	v_lshlrev_b64 v[30:31], 3, v[9:10]
	v_add_u32_e32 v9, 2, v29
	v_add_co_u32_e32 v30, vcc, s12, v30
	v_addc_co_u32_e32 v31, vcc, v19, v31, vcc
	s_waitcnt vmcnt(0)
	v_fmac_f32_e32 v12, v21, v16
	v_fmac_f32_e32 v14, v22, v16
	;; [unrolled: 1-line block ×4, first 2 shown]
	v_fma_f32 v8, -v22, v17, v12
	v_fmac_f32_e32 v14, v21, v17
	v_fma_f32 v12, -v24, v17, v32
	v_fmac_f32_e32 v15, v23, v17
	v_lshlrev_b64 v[16:17], 3, v[9:10]
	v_add_u32_e32 v9, -10, v7
	v_add_co_u32_e32 v16, vcc, s14, v16
	v_addc_co_u32_e32 v17, vcc, v20, v17, vcc
	global_load_dwordx4 v[21:24], v[30:31], off
	global_load_dwordx2 v[34:35], v[16:17], off
	v_lshlrev_b64 v[32:33], 3, v[9:10]
	v_add_u32_e32 v9, 3, v29
	v_lshlrev_b64 v[16:17], 3, v[9:10]
	v_add_co_u32_e32 v30, vcc, s12, v32
	v_addc_co_u32_e32 v31, vcc, v19, v33, vcc
	v_add_co_u32_e32 v16, vcc, s14, v16
	v_addc_co_u32_e32 v17, vcc, v20, v17, vcc
	v_add_u32_e32 v9, -8, v7
	v_lshlrev_b64 v[32:33], 3, v[9:10]
	v_add_u32_e32 v9, 4, v29
	s_waitcnt vmcnt(0)
	v_fmac_f32_e32 v8, v21, v34
	v_fmac_f32_e32 v14, v22, v34
	v_fmac_f32_e32 v12, v23, v34
	v_fmac_f32_e32 v15, v24, v34
	v_fma_f32 v8, -v22, v35, v8
	v_fmac_f32_e32 v14, v21, v35
	v_fma_f32 v12, -v24, v35, v12
	v_fmac_f32_e32 v15, v23, v35
	global_load_dwordx4 v[21:24], v[30:31], off
	global_load_dwordx2 v[34:35], v[16:17], off
	v_lshlrev_b64 v[16:17], 3, v[9:10]
	v_add_co_u32_e32 v30, vcc, s12, v32
	v_addc_co_u32_e32 v31, vcc, v19, v33, vcc
	v_add_co_u32_e32 v16, vcc, s14, v16
	v_addc_co_u32_e32 v17, vcc, v20, v17, vcc
	v_add_u32_e32 v9, -6, v7
	v_lshlrev_b64 v[32:33], 3, v[9:10]
	v_add_u32_e32 v9, 5, v29
	s_waitcnt vmcnt(0)
	v_fmac_f32_e32 v8, v21, v34
	v_fmac_f32_e32 v14, v22, v34
	v_fmac_f32_e32 v12, v23, v34
	v_fmac_f32_e32 v15, v24, v34
	v_fma_f32 v8, -v22, v35, v8
	v_fmac_f32_e32 v14, v21, v35
	v_fma_f32 v12, -v24, v35, v12
	v_fmac_f32_e32 v15, v23, v35
	global_load_dwordx4 v[21:24], v[30:31], off
	global_load_dwordx2 v[34:35], v[16:17], off
	;; [unrolled: 19-line block ×3, first 2 shown]
	v_lshlrev_b64 v[16:17], 3, v[9:10]
	v_add_co_u32_e32 v30, vcc, s12, v32
	v_add_u32_e32 v9, -2, v7
	v_addc_co_u32_e32 v31, vcc, v19, v33, vcc
	v_add_co_u32_e32 v16, vcc, s14, v16
	v_addc_co_u32_e32 v17, vcc, v20, v17, vcc
	v_add_u32_e32 v7, 0x48, v7
	s_waitcnt vmcnt(0)
	v_fmac_f32_e32 v8, v21, v34
	v_fmac_f32_e32 v14, v22, v34
	v_fma_f32 v8, -v22, v35, v8
	v_fmac_f32_e32 v14, v21, v35
	v_lshlrev_b64 v[21:22], 3, v[9:10]
	v_fmac_f32_e32 v12, v23, v34
	v_fmac_f32_e32 v15, v24, v34
	v_add_co_u32_e32 v34, vcc, s12, v21
	v_fma_f32 v12, -v24, v35, v12
	v_fmac_f32_e32 v15, v23, v35
	v_addc_co_u32_e32 v35, vcc, v19, v22, vcc
	global_load_dwordx4 v[21:24], v[30:31], off
	global_load_dwordx2 v[36:37], v[16:17], off
	v_add_u32_e32 v9, 7, v29
	v_lshlrev_b64 v[32:33], 3, v[9:10]
	v_add_u32_e32 v9, 8, v29
	v_add_co_u32_e32 v16, vcc, s14, v32
	v_addc_co_u32_e32 v17, vcc, v20, v33, vcc
	s_waitcnt vmcnt(0)
	v_fmac_f32_e32 v8, v21, v36
	v_fma_f32 v31, -v22, v37, v8
	v_lshlrev_b64 v[8:9], 3, v[9:10]
	v_fmac_f32_e32 v14, v22, v36
	v_fmac_f32_e32 v12, v23, v36
	v_fmac_f32_e32 v15, v24, v36
	v_fmac_f32_e32 v14, v21, v37
	v_fma_f32 v12, -v24, v37, v12
	v_fmac_f32_e32 v15, v23, v37
	global_load_dwordx4 v[21:24], v[34:35], off
	global_load_dwordx2 v[29:30], v[16:17], off
	v_add_co_u32_e32 v8, vcc, s14, v8
	v_addc_co_u32_e32 v9, vcc, v20, v9, vcc
	global_load_dwordx2 v[8:9], v[8:9], off
	v_cmp_ge_i32_e32 vcc, v11, v13
	s_or_b64 s[8:9], vcc, s[8:9]
	s_waitcnt vmcnt(1)
	v_fmac_f32_e32 v31, v21, v29
	v_fmac_f32_e32 v14, v22, v29
	;; [unrolled: 1-line block ×4, first 2 shown]
	v_fma_f32 v16, -v22, v30, v31
	v_fmac_f32_e32 v14, v21, v30
	v_fma_f32 v12, -v24, v30, v12
	v_fmac_f32_e32 v15, v23, v30
	s_waitcnt vmcnt(0)
	v_fmac_f32_e32 v16, v25, v8
	v_fmac_f32_e32 v14, v26, v8
	;; [unrolled: 1-line block ×4, first 2 shown]
	v_fma_f32 v16, -v26, v9, v16
	v_fmac_f32_e32 v14, v25, v9
	v_fma_f32 v17, -v28, v9, v12
	v_fmac_f32_e32 v15, v27, v9
	s_andn2_b64 exec, exec, s[8:9]
	s_cbranch_execnz .LBB187_7
; %bb.8:
	s_or_b64 exec, exec, s[8:9]
.LBB187_9:
	s_or_b64 exec, exec, s[6:7]
	s_cbranch_execz .LBB187_11
	s_branch .LBB187_16
.LBB187_10:
                                        ; implicit-def: $vgpr14
                                        ; implicit-def: $vgpr16
                                        ; implicit-def: $vgpr17
                                        ; implicit-def: $vgpr15
.LBB187_11:
	v_mov_b32_e32 v14, 0
	v_mov_b32_e32 v16, 0
	;; [unrolled: 1-line block ×4, first 2 shown]
	s_and_saveexec_b64 s[6:7], s[0:1]
	s_cbranch_execz .LBB187_15
; %bb.12:
	v_mad_u64_u32 v[8:9], s[0:1], v6, 18, 17
	v_mov_b32_e32 v11, 0
	s_mov_b64 s[0:1], 0
	v_mov_b32_e32 v12, s11
	v_mov_b32_e32 v18, s13
	;; [unrolled: 1-line block ×7, first 2 shown]
.LBB187_13:                             ; =>This Inner Loop Header: Depth=1
	v_ashrrev_i32_e32 v7, 31, v6
	v_lshlrev_b64 v[22:23], 2, v[6:7]
	v_subrev_u32_e32 v10, 17, v8
	v_add_co_u32_e32 v22, vcc, s10, v22
	v_addc_co_u32_e32 v23, vcc, v12, v23, vcc
	global_load_dword v7, v[22:23], off
	v_lshlrev_b64 v[24:25], 3, v[10:11]
	v_add_u32_e32 v20, -8, v8
	v_mov_b32_e32 v21, v11
	v_lshlrev_b64 v[20:21], 3, v[20:21]
	v_add_co_u32_e32 v24, vcc, s12, v24
	v_mov_b32_e32 v9, v11
	v_addc_co_u32_e32 v25, vcc, v18, v25, vcc
	v_lshlrev_b64 v[9:10], 3, v[8:9]
	v_add_co_u32_e32 v20, vcc, s12, v20
	v_addc_co_u32_e32 v21, vcc, v18, v21, vcc
	v_add_co_u32_e32 v26, vcc, s12, v9
	v_addc_co_u32_e32 v27, vcc, v18, v10, vcc
	v_mov_b32_e32 v10, v11
	v_add_u32_e32 v6, 4, v6
	s_waitcnt vmcnt(0)
	v_subrev_u32_e32 v7, s2, v7
	v_lshl_add_u32 v9, v7, 3, v7
	v_lshlrev_b64 v[22:23], 3, v[9:10]
	v_add_u32_e32 v10, 1, v9
	v_add_co_u32_e32 v22, vcc, s14, v22
	v_addc_co_u32_e32 v23, vcc, v19, v23, vcc
	global_load_dwordx2 v[30:31], v[20:21], off
	global_load_dwordx2 v[32:33], v[22:23], off
	v_lshlrev_b64 v[28:29], 3, v[10:11]
	global_load_dwordx4 v[20:23], v[24:25], off
	v_add_co_u32_e32 v28, vcc, s14, v28
	v_addc_co_u32_e32 v29, vcc, v19, v29, vcc
	v_add_u32_e32 v10, -7, v8
	s_waitcnt vmcnt(1)
	v_fmac_f32_e32 v17, v30, v32
	v_fma_f32 v7, -v31, v33, v17
	s_waitcnt vmcnt(0)
	v_fmac_f32_e32 v16, v20, v32
	v_fmac_f32_e32 v14, v21, v32
	v_fma_f32 v21, -v21, v33, v16
	global_load_dwordx2 v[16:17], v[28:29], off
	v_fmac_f32_e32 v15, v31, v32
	v_fmac_f32_e32 v15, v30, v33
	v_fmac_f32_e32 v14, v20, v33
	s_waitcnt vmcnt(0)
	v_fmac_f32_e32 v21, v22, v16
	v_fma_f32 v30, -v23, v17, v21
	v_lshlrev_b64 v[20:21], 3, v[10:11]
	v_fmac_f32_e32 v14, v23, v16
	v_add_u32_e32 v10, -15, v8
	v_fmac_f32_e32 v14, v22, v17
	v_add_co_u32_e32 v20, vcc, s12, v20
	v_lshlrev_b64 v[22:23], 3, v[10:11]
	v_addc_co_u32_e32 v21, vcc, v18, v21, vcc
	v_add_co_u32_e32 v22, vcc, s12, v22
	v_addc_co_u32_e32 v23, vcc, v18, v23, vcc
	global_load_dwordx2 v[24:25], v[20:21], off
	global_load_dwordx2 v[28:29], v[22:23], off
	v_add_u32_e32 v10, 2, v9
	s_waitcnt vmcnt(1)
	v_fmac_f32_e32 v7, v24, v16
	v_fmac_f32_e32 v15, v25, v16
	v_fma_f32 v7, -v25, v17, v7
	v_fmac_f32_e32 v15, v24, v17
	v_lshlrev_b64 v[16:17], 3, v[10:11]
	v_add_u32_e32 v10, -6, v8
	v_add_co_u32_e32 v16, vcc, s14, v16
	v_addc_co_u32_e32 v17, vcc, v19, v17, vcc
	global_load_dwordx2 v[16:17], v[16:17], off
	v_lshlrev_b64 v[20:21], 3, v[10:11]
	v_add_u32_e32 v10, -14, v8
	v_add_co_u32_e32 v20, vcc, s12, v20
	v_lshlrev_b64 v[22:23], 3, v[10:11]
	v_addc_co_u32_e32 v21, vcc, v18, v21, vcc
	v_add_co_u32_e32 v22, vcc, s12, v22
	v_addc_co_u32_e32 v23, vcc, v18, v23, vcc
	v_add_u32_e32 v10, 3, v9
	s_waitcnt vmcnt(0)
	v_fmac_f32_e32 v30, v28, v16
	v_fmac_f32_e32 v14, v29, v16
	v_fma_f32 v30, -v29, v17, v30
	v_fmac_f32_e32 v14, v28, v17
	global_load_dwordx2 v[24:25], v[20:21], off
	global_load_dwordx2 v[28:29], v[22:23], off
	s_waitcnt vmcnt(1)
	v_fmac_f32_e32 v7, v24, v16
	v_fmac_f32_e32 v15, v25, v16
	v_fma_f32 v7, -v25, v17, v7
	v_fmac_f32_e32 v15, v24, v17
	v_lshlrev_b64 v[16:17], 3, v[10:11]
	v_add_u32_e32 v10, -5, v8
	v_add_co_u32_e32 v16, vcc, s14, v16
	v_addc_co_u32_e32 v17, vcc, v19, v17, vcc
	global_load_dwordx2 v[16:17], v[16:17], off
	v_lshlrev_b64 v[20:21], 3, v[10:11]
	v_add_u32_e32 v10, -13, v8
	v_add_co_u32_e32 v20, vcc, s12, v20
	v_lshlrev_b64 v[22:23], 3, v[10:11]
	v_addc_co_u32_e32 v21, vcc, v18, v21, vcc
	v_add_co_u32_e32 v22, vcc, s12, v22
	v_addc_co_u32_e32 v23, vcc, v18, v23, vcc
	v_add_u32_e32 v10, 4, v9
	s_waitcnt vmcnt(0)
	v_fmac_f32_e32 v30, v28, v16
	v_fmac_f32_e32 v14, v29, v16
	v_fma_f32 v30, -v29, v17, v30
	v_fmac_f32_e32 v14, v28, v17
	global_load_dwordx2 v[24:25], v[20:21], off
	global_load_dwordx2 v[28:29], v[22:23], off
	;; [unrolled: 25-line block ×5, first 2 shown]
	s_waitcnt vmcnt(1)
	v_fmac_f32_e32 v7, v24, v16
	v_fmac_f32_e32 v15, v25, v16
	v_fma_f32 v7, -v25, v17, v7
	v_fmac_f32_e32 v15, v24, v17
	v_lshlrev_b64 v[16:17], 3, v[10:11]
	v_add_u32_e32 v10, -1, v8
	v_add_co_u32_e32 v16, vcc, s14, v16
	v_addc_co_u32_e32 v17, vcc, v19, v17, vcc
	global_load_dwordx2 v[16:17], v[16:17], off
	v_lshlrev_b64 v[20:21], 3, v[10:11]
	v_add_u32_e32 v10, -9, v8
	v_lshlrev_b64 v[22:23], 3, v[10:11]
	v_add_co_u32_e32 v20, vcc, s12, v20
	v_add_u32_e32 v10, 8, v9
	v_addc_co_u32_e32 v21, vcc, v18, v21, vcc
	v_add_co_u32_e32 v22, vcc, s12, v22
	v_lshlrev_b64 v[9:10], 3, v[10:11]
	v_addc_co_u32_e32 v23, vcc, v18, v23, vcc
	v_add_co_u32_e32 v9, vcc, s14, v9
	v_addc_co_u32_e32 v10, vcc, v19, v10, vcc
	v_cmp_ge_i32_e32 vcc, v6, v13
	s_or_b64 s[0:1], vcc, s[0:1]
	v_add_u32_e32 v8, 0x48, v8
	s_waitcnt vmcnt(0)
	v_fmac_f32_e32 v30, v28, v16
	v_fmac_f32_e32 v14, v29, v16
	v_fma_f32 v34, -v29, v17, v30
	v_fmac_f32_e32 v14, v28, v17
	global_load_dwordx2 v[24:25], v[26:27], off
	global_load_dwordx2 v[28:29], v[20:21], off
	;; [unrolled: 1-line block ×4, first 2 shown]
	s_waitcnt vmcnt(2)
	v_fmac_f32_e32 v7, v28, v16
	v_fmac_f32_e32 v15, v29, v16
	v_fma_f32 v7, -v29, v17, v7
	v_fmac_f32_e32 v15, v28, v17
	s_waitcnt vmcnt(0)
	v_fmac_f32_e32 v34, v30, v32
	v_fmac_f32_e32 v14, v31, v32
	v_fmac_f32_e32 v7, v24, v32
	v_fmac_f32_e32 v15, v25, v32
	v_fma_f32 v16, -v31, v33, v34
	v_fmac_f32_e32 v14, v30, v33
	v_fma_f32 v17, -v25, v33, v7
	v_fmac_f32_e32 v15, v24, v33
	s_andn2_b64 exec, exec, s[0:1]
	s_cbranch_execnz .LBB187_13
; %bb.14:
	s_or_b64 exec, exec, s[0:1]
.LBB187_15:
	s_or_b64 exec, exec, s[6:7]
.LBB187_16:
	v_mov_b32_dpp v6, v16 row_shr:1 row_mask:0xf bank_mask:0xf
	v_mov_b32_dpp v8, v14 row_shr:1 row_mask:0xf bank_mask:0xf
	;; [unrolled: 1-line block ×4, first 2 shown]
	v_add_f32_e32 v6, v16, v6
	v_add_f32_e32 v8, v14, v8
	;; [unrolled: 1-line block ×4, first 2 shown]
	v_mov_b32_dpp v7, v6 row_shr:2 row_mask:0xf bank_mask:0xf
	v_mov_b32_dpp v9, v8 row_shr:2 row_mask:0xf bank_mask:0xf
	;; [unrolled: 1-line block ×4, first 2 shown]
	v_cmp_eq_u32_e32 vcc, 3, v0
	s_and_b64 exec, exec, vcc
	s_cbranch_execz .LBB187_21
; %bb.17:
	s_load_dwordx2 s[2:3], s[4:5], 0x38
	v_cmp_eq_f32_e32 vcc, 0, v3
	v_cmp_eq_f32_e64 s[0:1], 0, v4
	v_add_f32_e32 v7, v6, v7
	v_add_f32_e32 v8, v8, v9
	;; [unrolled: 1-line block ×4, first 2 shown]
	s_and_b64 s[0:1], vcc, s[0:1]
	s_and_saveexec_b64 s[4:5], s[0:1]
	s_xor_b64 s[0:1], exec, s[4:5]
	s_cbranch_execz .LBB187_19
; %bb.18:
	v_mul_f32_e64 v3, v8, -v2
	v_mul_f32_e32 v4, v1, v8
	v_fmac_f32_e32 v3, v1, v7
	v_fmac_f32_e32 v4, v2, v7
	v_lshlrev_b32_e32 v7, 1, v5
	v_ashrrev_i32_e32 v8, 31, v7
	v_lshlrev_b64 v[7:8], 3, v[7:8]
	s_waitcnt lgkmcnt(0)
	v_mov_b32_e32 v5, s3
	v_add_co_u32_e32 v7, vcc, s2, v7
	v_addc_co_u32_e32 v8, vcc, v5, v8, vcc
	v_mul_f32_e64 v5, v6, -v2
	v_mul_f32_e32 v6, v1, v6
	v_fmac_f32_e32 v5, v1, v0
	v_fmac_f32_e32 v6, v2, v0
	global_store_dwordx4 v[7:8], v[3:6], off
                                        ; implicit-def: $vgpr5
                                        ; implicit-def: $vgpr1_vgpr2
                                        ; implicit-def: $vgpr8
                                        ; implicit-def: $vgpr7
                                        ; implicit-def: $vgpr3_vgpr4
                                        ; implicit-def: $vgpr6
                                        ; implicit-def: $vgpr0
.LBB187_19:
	s_andn2_saveexec_b64 s[0:1], s[0:1]
	s_cbranch_execz .LBB187_21
; %bb.20:
	v_lshlrev_b32_e32 v9, 1, v5
	v_ashrrev_i32_e32 v10, 31, v9
	v_lshlrev_b64 v[9:10], 3, v[9:10]
	s_waitcnt lgkmcnt(0)
	v_mov_b32_e32 v5, s3
	v_add_co_u32_e32 v17, vcc, s2, v9
	v_addc_co_u32_e32 v18, vcc, v5, v10, vcc
	global_load_dwordx4 v[9:12], v[17:18], off
	v_mul_f32_e64 v5, v8, -v2
	v_mul_f32_e32 v14, v1, v8
	v_mul_f32_e64 v8, v6, -v2
	v_mul_f32_e32 v16, v1, v6
	v_fmac_f32_e32 v5, v1, v7
	v_fmac_f32_e32 v14, v2, v7
	;; [unrolled: 1-line block ×4, first 2 shown]
	s_waitcnt vmcnt(0)
	v_fmac_f32_e32 v5, v3, v9
	v_fmac_f32_e32 v14, v4, v9
	;; [unrolled: 1-line block ×4, first 2 shown]
	v_fma_f32 v13, -v4, v10, v5
	v_fmac_f32_e32 v14, v3, v10
	v_fma_f32 v15, -v4, v12, v8
	v_fmac_f32_e32 v16, v3, v12
	global_store_dwordx4 v[17:18], v[13:16], off
.LBB187_21:
	s_endpgm
	.section	.rodata,"a",@progbits
	.p2align	6, 0x0
	.amdhsa_kernel _ZN9rocsparseL19gebsrmvn_2xn_kernelILj128ELj9ELj4E21rocsparse_complex_numIfEEEvi20rocsparse_direction_NS_24const_host_device_scalarIT2_EEPKiS8_PKS5_SA_S6_PS5_21rocsparse_index_base_b
		.amdhsa_group_segment_fixed_size 0
		.amdhsa_private_segment_fixed_size 0
		.amdhsa_kernarg_size 72
		.amdhsa_user_sgpr_count 6
		.amdhsa_user_sgpr_private_segment_buffer 1
		.amdhsa_user_sgpr_dispatch_ptr 0
		.amdhsa_user_sgpr_queue_ptr 0
		.amdhsa_user_sgpr_kernarg_segment_ptr 1
		.amdhsa_user_sgpr_dispatch_id 0
		.amdhsa_user_sgpr_flat_scratch_init 0
		.amdhsa_user_sgpr_private_segment_size 0
		.amdhsa_uses_dynamic_stack 0
		.amdhsa_system_sgpr_private_segment_wavefront_offset 0
		.amdhsa_system_sgpr_workgroup_id_x 1
		.amdhsa_system_sgpr_workgroup_id_y 0
		.amdhsa_system_sgpr_workgroup_id_z 0
		.amdhsa_system_sgpr_workgroup_info 0
		.amdhsa_system_vgpr_workitem_id 0
		.amdhsa_next_free_vgpr 38
		.amdhsa_next_free_sgpr 16
		.amdhsa_reserve_vcc 1
		.amdhsa_reserve_flat_scratch 0
		.amdhsa_float_round_mode_32 0
		.amdhsa_float_round_mode_16_64 0
		.amdhsa_float_denorm_mode_32 3
		.amdhsa_float_denorm_mode_16_64 3
		.amdhsa_dx10_clamp 1
		.amdhsa_ieee_mode 1
		.amdhsa_fp16_overflow 0
		.amdhsa_exception_fp_ieee_invalid_op 0
		.amdhsa_exception_fp_denorm_src 0
		.amdhsa_exception_fp_ieee_div_zero 0
		.amdhsa_exception_fp_ieee_overflow 0
		.amdhsa_exception_fp_ieee_underflow 0
		.amdhsa_exception_fp_ieee_inexact 0
		.amdhsa_exception_int_div_zero 0
	.end_amdhsa_kernel
	.section	.text._ZN9rocsparseL19gebsrmvn_2xn_kernelILj128ELj9ELj4E21rocsparse_complex_numIfEEEvi20rocsparse_direction_NS_24const_host_device_scalarIT2_EEPKiS8_PKS5_SA_S6_PS5_21rocsparse_index_base_b,"axG",@progbits,_ZN9rocsparseL19gebsrmvn_2xn_kernelILj128ELj9ELj4E21rocsparse_complex_numIfEEEvi20rocsparse_direction_NS_24const_host_device_scalarIT2_EEPKiS8_PKS5_SA_S6_PS5_21rocsparse_index_base_b,comdat
.Lfunc_end187:
	.size	_ZN9rocsparseL19gebsrmvn_2xn_kernelILj128ELj9ELj4E21rocsparse_complex_numIfEEEvi20rocsparse_direction_NS_24const_host_device_scalarIT2_EEPKiS8_PKS5_SA_S6_PS5_21rocsparse_index_base_b, .Lfunc_end187-_ZN9rocsparseL19gebsrmvn_2xn_kernelILj128ELj9ELj4E21rocsparse_complex_numIfEEEvi20rocsparse_direction_NS_24const_host_device_scalarIT2_EEPKiS8_PKS5_SA_S6_PS5_21rocsparse_index_base_b
                                        ; -- End function
	.set _ZN9rocsparseL19gebsrmvn_2xn_kernelILj128ELj9ELj4E21rocsparse_complex_numIfEEEvi20rocsparse_direction_NS_24const_host_device_scalarIT2_EEPKiS8_PKS5_SA_S6_PS5_21rocsparse_index_base_b.num_vgpr, 38
	.set _ZN9rocsparseL19gebsrmvn_2xn_kernelILj128ELj9ELj4E21rocsparse_complex_numIfEEEvi20rocsparse_direction_NS_24const_host_device_scalarIT2_EEPKiS8_PKS5_SA_S6_PS5_21rocsparse_index_base_b.num_agpr, 0
	.set _ZN9rocsparseL19gebsrmvn_2xn_kernelILj128ELj9ELj4E21rocsparse_complex_numIfEEEvi20rocsparse_direction_NS_24const_host_device_scalarIT2_EEPKiS8_PKS5_SA_S6_PS5_21rocsparse_index_base_b.numbered_sgpr, 16
	.set _ZN9rocsparseL19gebsrmvn_2xn_kernelILj128ELj9ELj4E21rocsparse_complex_numIfEEEvi20rocsparse_direction_NS_24const_host_device_scalarIT2_EEPKiS8_PKS5_SA_S6_PS5_21rocsparse_index_base_b.num_named_barrier, 0
	.set _ZN9rocsparseL19gebsrmvn_2xn_kernelILj128ELj9ELj4E21rocsparse_complex_numIfEEEvi20rocsparse_direction_NS_24const_host_device_scalarIT2_EEPKiS8_PKS5_SA_S6_PS5_21rocsparse_index_base_b.private_seg_size, 0
	.set _ZN9rocsparseL19gebsrmvn_2xn_kernelILj128ELj9ELj4E21rocsparse_complex_numIfEEEvi20rocsparse_direction_NS_24const_host_device_scalarIT2_EEPKiS8_PKS5_SA_S6_PS5_21rocsparse_index_base_b.uses_vcc, 1
	.set _ZN9rocsparseL19gebsrmvn_2xn_kernelILj128ELj9ELj4E21rocsparse_complex_numIfEEEvi20rocsparse_direction_NS_24const_host_device_scalarIT2_EEPKiS8_PKS5_SA_S6_PS5_21rocsparse_index_base_b.uses_flat_scratch, 0
	.set _ZN9rocsparseL19gebsrmvn_2xn_kernelILj128ELj9ELj4E21rocsparse_complex_numIfEEEvi20rocsparse_direction_NS_24const_host_device_scalarIT2_EEPKiS8_PKS5_SA_S6_PS5_21rocsparse_index_base_b.has_dyn_sized_stack, 0
	.set _ZN9rocsparseL19gebsrmvn_2xn_kernelILj128ELj9ELj4E21rocsparse_complex_numIfEEEvi20rocsparse_direction_NS_24const_host_device_scalarIT2_EEPKiS8_PKS5_SA_S6_PS5_21rocsparse_index_base_b.has_recursion, 0
	.set _ZN9rocsparseL19gebsrmvn_2xn_kernelILj128ELj9ELj4E21rocsparse_complex_numIfEEEvi20rocsparse_direction_NS_24const_host_device_scalarIT2_EEPKiS8_PKS5_SA_S6_PS5_21rocsparse_index_base_b.has_indirect_call, 0
	.section	.AMDGPU.csdata,"",@progbits
; Kernel info:
; codeLenInByte = 3008
; TotalNumSgprs: 20
; NumVgprs: 38
; ScratchSize: 0
; MemoryBound: 0
; FloatMode: 240
; IeeeMode: 1
; LDSByteSize: 0 bytes/workgroup (compile time only)
; SGPRBlocks: 2
; VGPRBlocks: 9
; NumSGPRsForWavesPerEU: 20
; NumVGPRsForWavesPerEU: 38
; Occupancy: 6
; WaveLimiterHint : 1
; COMPUTE_PGM_RSRC2:SCRATCH_EN: 0
; COMPUTE_PGM_RSRC2:USER_SGPR: 6
; COMPUTE_PGM_RSRC2:TRAP_HANDLER: 0
; COMPUTE_PGM_RSRC2:TGID_X_EN: 1
; COMPUTE_PGM_RSRC2:TGID_Y_EN: 0
; COMPUTE_PGM_RSRC2:TGID_Z_EN: 0
; COMPUTE_PGM_RSRC2:TIDIG_COMP_CNT: 0
	.section	.text._ZN9rocsparseL19gebsrmvn_2xn_kernelILj128ELj9ELj8E21rocsparse_complex_numIfEEEvi20rocsparse_direction_NS_24const_host_device_scalarIT2_EEPKiS8_PKS5_SA_S6_PS5_21rocsparse_index_base_b,"axG",@progbits,_ZN9rocsparseL19gebsrmvn_2xn_kernelILj128ELj9ELj8E21rocsparse_complex_numIfEEEvi20rocsparse_direction_NS_24const_host_device_scalarIT2_EEPKiS8_PKS5_SA_S6_PS5_21rocsparse_index_base_b,comdat
	.globl	_ZN9rocsparseL19gebsrmvn_2xn_kernelILj128ELj9ELj8E21rocsparse_complex_numIfEEEvi20rocsparse_direction_NS_24const_host_device_scalarIT2_EEPKiS8_PKS5_SA_S6_PS5_21rocsparse_index_base_b ; -- Begin function _ZN9rocsparseL19gebsrmvn_2xn_kernelILj128ELj9ELj8E21rocsparse_complex_numIfEEEvi20rocsparse_direction_NS_24const_host_device_scalarIT2_EEPKiS8_PKS5_SA_S6_PS5_21rocsparse_index_base_b
	.p2align	8
	.type	_ZN9rocsparseL19gebsrmvn_2xn_kernelILj128ELj9ELj8E21rocsparse_complex_numIfEEEvi20rocsparse_direction_NS_24const_host_device_scalarIT2_EEPKiS8_PKS5_SA_S6_PS5_21rocsparse_index_base_b,@function
_ZN9rocsparseL19gebsrmvn_2xn_kernelILj128ELj9ELj8E21rocsparse_complex_numIfEEEvi20rocsparse_direction_NS_24const_host_device_scalarIT2_EEPKiS8_PKS5_SA_S6_PS5_21rocsparse_index_base_b: ; @_ZN9rocsparseL19gebsrmvn_2xn_kernelILj128ELj9ELj8E21rocsparse_complex_numIfEEEvi20rocsparse_direction_NS_24const_host_device_scalarIT2_EEPKiS8_PKS5_SA_S6_PS5_21rocsparse_index_base_b
; %bb.0:
	s_load_dwordx2 s[0:1], s[4:5], 0x8
	s_load_dwordx2 s[8:9], s[4:5], 0x30
	;; [unrolled: 1-line block ×3, first 2 shown]
	s_add_u32 s7, s4, 8
	s_addc_u32 s10, s5, 0
	s_add_u32 s11, s4, 48
	s_addc_u32 s12, s5, 0
	s_waitcnt lgkmcnt(0)
	s_bitcmp1_b32 s3, 0
	s_cselect_b32 s1, s10, s1
	s_cselect_b32 s0, s7, s0
	v_mov_b32_e32 v1, s0
	v_mov_b32_e32 v2, s1
	flat_load_dwordx2 v[1:2], v[1:2]
	s_cselect_b32 s0, s12, s9
	s_cselect_b32 s1, s11, s8
	v_mov_b32_e32 v3, s1
	v_mov_b32_e32 v4, s0
	flat_load_dwordx2 v[3:4], v[3:4]
	s_waitcnt vmcnt(0) lgkmcnt(0)
	v_cmp_eq_f32_e32 vcc, 0, v1
	v_cmp_eq_f32_e64 s[0:1], 0, v2
	s_and_b64 s[10:11], vcc, s[0:1]
	s_mov_b64 s[0:1], -1
	s_and_saveexec_b64 s[8:9], s[10:11]
; %bb.1:
	v_cmp_neq_f32_e32 vcc, 1.0, v3
	v_cmp_neq_f32_e64 s[0:1], 0, v4
	s_or_b64 s[0:1], vcc, s[0:1]
	s_orn2_b64 s[0:1], s[0:1], exec
; %bb.2:
	s_or_b64 exec, exec, s[8:9]
	s_and_saveexec_b64 s[8:9], s[0:1]
	s_cbranch_execz .LBB188_21
; %bb.3:
	s_load_dwordx2 s[0:1], s[4:5], 0x0
	v_lshrrev_b32_e32 v5, 3, v0
	v_lshl_or_b32 v5, s6, 4, v5
	s_waitcnt lgkmcnt(0)
	v_cmp_gt_i32_e32 vcc, s0, v5
	s_and_b64 exec, exec, vcc
	s_cbranch_execz .LBB188_21
; %bb.4:
	s_load_dwordx8 s[8:15], s[4:5], 0x10
	v_ashrrev_i32_e32 v6, 31, v5
	v_lshlrev_b64 v[6:7], 2, v[5:6]
	v_and_b32_e32 v0, 7, v0
	s_cmp_lg_u32 s1, 0
	s_waitcnt lgkmcnt(0)
	v_mov_b32_e32 v8, s9
	v_add_co_u32_e32 v6, vcc, s8, v6
	v_addc_co_u32_e32 v7, vcc, v8, v7, vcc
	global_load_dwordx2 v[6:7], v[6:7], off
	s_waitcnt vmcnt(0)
	v_subrev_u32_e32 v6, s2, v6
	v_subrev_u32_e32 v13, s2, v7
	v_add_u32_e32 v6, v6, v0
	v_cmp_lt_i32_e64 s[0:1], v6, v13
	s_cbranch_scc0 .LBB188_10
; %bb.5:
	v_mov_b32_e32 v14, 0
	v_mov_b32_e32 v16, 0
	v_mov_b32_e32 v17, 0
	v_mov_b32_e32 v15, 0
	s_and_saveexec_b64 s[6:7], s[0:1]
	s_cbranch_execz .LBB188_9
; %bb.6:
	v_mad_u64_u32 v[7:8], s[8:9], v6, 18, 16
	v_mov_b32_e32 v10, 0
	s_mov_b64 s[8:9], 0
	v_mov_b32_e32 v18, s11
	v_mov_b32_e32 v19, s13
	;; [unrolled: 1-line block ×8, first 2 shown]
.LBB188_7:                              ; =>This Inner Loop Header: Depth=1
	v_ashrrev_i32_e32 v12, 31, v11
	v_lshlrev_b64 v[21:22], 2, v[11:12]
	v_add_u32_e32 v9, -16, v7
	v_lshlrev_b64 v[23:24], 3, v[9:10]
	v_add_co_u32_e32 v27, vcc, s10, v21
	v_addc_co_u32_e32 v28, vcc, v18, v22, vcc
	v_add_co_u32_e32 v31, vcc, s12, v23
	v_addc_co_u32_e32 v32, vcc, v19, v24, vcc
	global_load_dword v12, v[27:28], off
	global_load_dwordx4 v[21:24], v[31:32], off
	v_mov_b32_e32 v8, v10
	v_lshlrev_b64 v[25:26], 3, v[7:8]
	v_add_u32_e32 v9, -14, v7
	v_lshlrev_b64 v[8:9], 3, v[9:10]
	v_add_co_u32_e32 v33, vcc, s12, v25
	v_mov_b32_e32 v30, v10
	v_addc_co_u32_e32 v34, vcc, v19, v26, vcc
	v_add_co_u32_e32 v8, vcc, s12, v8
	v_addc_co_u32_e32 v9, vcc, v19, v9, vcc
	v_add_u32_e32 v11, 8, v11
	s_waitcnt vmcnt(1)
	v_subrev_u32_e32 v12, s2, v12
	v_lshl_add_u32 v29, v12, 3, v12
	v_lshlrev_b64 v[25:26], 3, v[29:30]
	v_add_co_u32_e32 v30, vcc, s14, v25
	v_addc_co_u32_e32 v31, vcc, v20, v26, vcc
	global_load_dwordx4 v[25:28], v[33:34], off
	global_load_dwordx2 v[35:36], v[30:31], off
	s_waitcnt vmcnt(0)
	v_fmac_f32_e32 v16, v21, v35
	v_fmac_f32_e32 v14, v22, v35
	v_fmac_f32_e32 v17, v23, v35
	v_fmac_f32_e32 v15, v24, v35
	v_fma_f32 v12, -v22, v36, v16
	v_fmac_f32_e32 v14, v21, v36
	v_fma_f32 v32, -v24, v36, v17
	v_fmac_f32_e32 v15, v23, v36
	global_load_dwordx4 v[21:24], v[8:9], off
	v_add_u32_e32 v9, 1, v29
	v_lshlrev_b64 v[16:17], 3, v[9:10]
	v_add_u32_e32 v9, -12, v7
	v_add_co_u32_e32 v16, vcc, s14, v16
	v_addc_co_u32_e32 v17, vcc, v20, v17, vcc
	global_load_dwordx2 v[16:17], v[16:17], off
	v_lshlrev_b64 v[30:31], 3, v[9:10]
	v_add_u32_e32 v9, 2, v29
	v_add_co_u32_e32 v30, vcc, s12, v30
	v_addc_co_u32_e32 v31, vcc, v19, v31, vcc
	s_waitcnt vmcnt(0)
	v_fmac_f32_e32 v12, v21, v16
	v_fmac_f32_e32 v14, v22, v16
	v_fmac_f32_e32 v32, v23, v16
	v_fmac_f32_e32 v15, v24, v16
	v_fma_f32 v8, -v22, v17, v12
	v_fmac_f32_e32 v14, v21, v17
	v_fma_f32 v12, -v24, v17, v32
	v_fmac_f32_e32 v15, v23, v17
	v_lshlrev_b64 v[16:17], 3, v[9:10]
	v_add_u32_e32 v9, -10, v7
	v_add_co_u32_e32 v16, vcc, s14, v16
	v_addc_co_u32_e32 v17, vcc, v20, v17, vcc
	global_load_dwordx4 v[21:24], v[30:31], off
	global_load_dwordx2 v[34:35], v[16:17], off
	v_lshlrev_b64 v[32:33], 3, v[9:10]
	v_add_u32_e32 v9, 3, v29
	v_lshlrev_b64 v[16:17], 3, v[9:10]
	v_add_co_u32_e32 v30, vcc, s12, v32
	v_addc_co_u32_e32 v31, vcc, v19, v33, vcc
	v_add_co_u32_e32 v16, vcc, s14, v16
	v_addc_co_u32_e32 v17, vcc, v20, v17, vcc
	v_add_u32_e32 v9, -8, v7
	v_lshlrev_b64 v[32:33], 3, v[9:10]
	v_add_u32_e32 v9, 4, v29
	s_waitcnt vmcnt(0)
	v_fmac_f32_e32 v8, v21, v34
	v_fmac_f32_e32 v14, v22, v34
	v_fmac_f32_e32 v12, v23, v34
	v_fmac_f32_e32 v15, v24, v34
	v_fma_f32 v8, -v22, v35, v8
	v_fmac_f32_e32 v14, v21, v35
	v_fma_f32 v12, -v24, v35, v12
	v_fmac_f32_e32 v15, v23, v35
	global_load_dwordx4 v[21:24], v[30:31], off
	global_load_dwordx2 v[34:35], v[16:17], off
	v_lshlrev_b64 v[16:17], 3, v[9:10]
	v_add_co_u32_e32 v30, vcc, s12, v32
	v_addc_co_u32_e32 v31, vcc, v19, v33, vcc
	v_add_co_u32_e32 v16, vcc, s14, v16
	v_addc_co_u32_e32 v17, vcc, v20, v17, vcc
	v_add_u32_e32 v9, -6, v7
	v_lshlrev_b64 v[32:33], 3, v[9:10]
	v_add_u32_e32 v9, 5, v29
	s_waitcnt vmcnt(0)
	v_fmac_f32_e32 v8, v21, v34
	v_fmac_f32_e32 v14, v22, v34
	v_fmac_f32_e32 v12, v23, v34
	v_fmac_f32_e32 v15, v24, v34
	v_fma_f32 v8, -v22, v35, v8
	v_fmac_f32_e32 v14, v21, v35
	v_fma_f32 v12, -v24, v35, v12
	v_fmac_f32_e32 v15, v23, v35
	global_load_dwordx4 v[21:24], v[30:31], off
	global_load_dwordx2 v[34:35], v[16:17], off
	;; [unrolled: 19-line block ×3, first 2 shown]
	v_lshlrev_b64 v[16:17], 3, v[9:10]
	v_add_co_u32_e32 v30, vcc, s12, v32
	v_add_u32_e32 v9, -2, v7
	v_addc_co_u32_e32 v31, vcc, v19, v33, vcc
	v_add_co_u32_e32 v16, vcc, s14, v16
	v_addc_co_u32_e32 v17, vcc, v20, v17, vcc
	v_add_u32_e32 v7, 0x90, v7
	s_waitcnt vmcnt(0)
	v_fmac_f32_e32 v8, v21, v34
	v_fmac_f32_e32 v14, v22, v34
	v_fma_f32 v8, -v22, v35, v8
	v_fmac_f32_e32 v14, v21, v35
	v_lshlrev_b64 v[21:22], 3, v[9:10]
	v_fmac_f32_e32 v12, v23, v34
	v_fmac_f32_e32 v15, v24, v34
	v_add_co_u32_e32 v34, vcc, s12, v21
	v_fma_f32 v12, -v24, v35, v12
	v_fmac_f32_e32 v15, v23, v35
	v_addc_co_u32_e32 v35, vcc, v19, v22, vcc
	global_load_dwordx4 v[21:24], v[30:31], off
	global_load_dwordx2 v[36:37], v[16:17], off
	v_add_u32_e32 v9, 7, v29
	v_lshlrev_b64 v[32:33], 3, v[9:10]
	v_add_u32_e32 v9, 8, v29
	v_add_co_u32_e32 v16, vcc, s14, v32
	v_addc_co_u32_e32 v17, vcc, v20, v33, vcc
	s_waitcnt vmcnt(0)
	v_fmac_f32_e32 v8, v21, v36
	v_fma_f32 v31, -v22, v37, v8
	v_lshlrev_b64 v[8:9], 3, v[9:10]
	v_fmac_f32_e32 v14, v22, v36
	v_fmac_f32_e32 v12, v23, v36
	;; [unrolled: 1-line block ×4, first 2 shown]
	v_fma_f32 v12, -v24, v37, v12
	v_fmac_f32_e32 v15, v23, v37
	global_load_dwordx4 v[21:24], v[34:35], off
	global_load_dwordx2 v[29:30], v[16:17], off
	v_add_co_u32_e32 v8, vcc, s14, v8
	v_addc_co_u32_e32 v9, vcc, v20, v9, vcc
	global_load_dwordx2 v[8:9], v[8:9], off
	v_cmp_ge_i32_e32 vcc, v11, v13
	s_or_b64 s[8:9], vcc, s[8:9]
	s_waitcnt vmcnt(1)
	v_fmac_f32_e32 v31, v21, v29
	v_fmac_f32_e32 v14, v22, v29
	;; [unrolled: 1-line block ×4, first 2 shown]
	v_fma_f32 v16, -v22, v30, v31
	v_fmac_f32_e32 v14, v21, v30
	v_fma_f32 v12, -v24, v30, v12
	v_fmac_f32_e32 v15, v23, v30
	s_waitcnt vmcnt(0)
	v_fmac_f32_e32 v16, v25, v8
	v_fmac_f32_e32 v14, v26, v8
	;; [unrolled: 1-line block ×4, first 2 shown]
	v_fma_f32 v16, -v26, v9, v16
	v_fmac_f32_e32 v14, v25, v9
	v_fma_f32 v17, -v28, v9, v12
	v_fmac_f32_e32 v15, v27, v9
	s_andn2_b64 exec, exec, s[8:9]
	s_cbranch_execnz .LBB188_7
; %bb.8:
	s_or_b64 exec, exec, s[8:9]
.LBB188_9:
	s_or_b64 exec, exec, s[6:7]
	s_cbranch_execz .LBB188_11
	s_branch .LBB188_16
.LBB188_10:
                                        ; implicit-def: $vgpr14
                                        ; implicit-def: $vgpr16
                                        ; implicit-def: $vgpr17
                                        ; implicit-def: $vgpr15
.LBB188_11:
	v_mov_b32_e32 v14, 0
	v_mov_b32_e32 v16, 0
	;; [unrolled: 1-line block ×4, first 2 shown]
	s_and_saveexec_b64 s[6:7], s[0:1]
	s_cbranch_execz .LBB188_15
; %bb.12:
	v_mad_u64_u32 v[8:9], s[0:1], v6, 18, 17
	v_mov_b32_e32 v11, 0
	s_mov_b64 s[0:1], 0
	v_mov_b32_e32 v12, s11
	v_mov_b32_e32 v18, s13
	v_mov_b32_e32 v19, s15
	v_mov_b32_e32 v14, 0
	v_mov_b32_e32 v16, 0
	v_mov_b32_e32 v17, 0
	v_mov_b32_e32 v15, 0
.LBB188_13:                             ; =>This Inner Loop Header: Depth=1
	v_ashrrev_i32_e32 v7, 31, v6
	v_lshlrev_b64 v[22:23], 2, v[6:7]
	v_subrev_u32_e32 v10, 17, v8
	v_add_co_u32_e32 v22, vcc, s10, v22
	v_addc_co_u32_e32 v23, vcc, v12, v23, vcc
	global_load_dword v7, v[22:23], off
	v_lshlrev_b64 v[24:25], 3, v[10:11]
	v_add_u32_e32 v20, -8, v8
	v_mov_b32_e32 v21, v11
	v_lshlrev_b64 v[20:21], 3, v[20:21]
	v_add_co_u32_e32 v24, vcc, s12, v24
	v_mov_b32_e32 v9, v11
	v_addc_co_u32_e32 v25, vcc, v18, v25, vcc
	v_lshlrev_b64 v[9:10], 3, v[8:9]
	v_add_co_u32_e32 v20, vcc, s12, v20
	v_addc_co_u32_e32 v21, vcc, v18, v21, vcc
	v_add_co_u32_e32 v26, vcc, s12, v9
	v_addc_co_u32_e32 v27, vcc, v18, v10, vcc
	v_mov_b32_e32 v10, v11
	v_add_u32_e32 v6, 8, v6
	s_waitcnt vmcnt(0)
	v_subrev_u32_e32 v7, s2, v7
	v_lshl_add_u32 v9, v7, 3, v7
	v_lshlrev_b64 v[22:23], 3, v[9:10]
	v_add_u32_e32 v10, 1, v9
	v_add_co_u32_e32 v22, vcc, s14, v22
	v_addc_co_u32_e32 v23, vcc, v19, v23, vcc
	global_load_dwordx2 v[30:31], v[20:21], off
	global_load_dwordx2 v[32:33], v[22:23], off
	v_lshlrev_b64 v[28:29], 3, v[10:11]
	global_load_dwordx4 v[20:23], v[24:25], off
	v_add_co_u32_e32 v28, vcc, s14, v28
	v_addc_co_u32_e32 v29, vcc, v19, v29, vcc
	v_add_u32_e32 v10, -7, v8
	s_waitcnt vmcnt(1)
	v_fmac_f32_e32 v17, v30, v32
	v_fma_f32 v7, -v31, v33, v17
	s_waitcnt vmcnt(0)
	v_fmac_f32_e32 v16, v20, v32
	v_fmac_f32_e32 v14, v21, v32
	v_fma_f32 v21, -v21, v33, v16
	global_load_dwordx2 v[16:17], v[28:29], off
	v_fmac_f32_e32 v15, v31, v32
	v_fmac_f32_e32 v15, v30, v33
	;; [unrolled: 1-line block ×3, first 2 shown]
	s_waitcnt vmcnt(0)
	v_fmac_f32_e32 v21, v22, v16
	v_fma_f32 v30, -v23, v17, v21
	v_lshlrev_b64 v[20:21], 3, v[10:11]
	v_fmac_f32_e32 v14, v23, v16
	v_add_u32_e32 v10, -15, v8
	v_fmac_f32_e32 v14, v22, v17
	v_add_co_u32_e32 v20, vcc, s12, v20
	v_lshlrev_b64 v[22:23], 3, v[10:11]
	v_addc_co_u32_e32 v21, vcc, v18, v21, vcc
	v_add_co_u32_e32 v22, vcc, s12, v22
	v_addc_co_u32_e32 v23, vcc, v18, v23, vcc
	global_load_dwordx2 v[24:25], v[20:21], off
	global_load_dwordx2 v[28:29], v[22:23], off
	v_add_u32_e32 v10, 2, v9
	s_waitcnt vmcnt(1)
	v_fmac_f32_e32 v7, v24, v16
	v_fmac_f32_e32 v15, v25, v16
	v_fma_f32 v7, -v25, v17, v7
	v_fmac_f32_e32 v15, v24, v17
	v_lshlrev_b64 v[16:17], 3, v[10:11]
	v_add_u32_e32 v10, -6, v8
	v_add_co_u32_e32 v16, vcc, s14, v16
	v_addc_co_u32_e32 v17, vcc, v19, v17, vcc
	global_load_dwordx2 v[16:17], v[16:17], off
	v_lshlrev_b64 v[20:21], 3, v[10:11]
	v_add_u32_e32 v10, -14, v8
	v_add_co_u32_e32 v20, vcc, s12, v20
	v_lshlrev_b64 v[22:23], 3, v[10:11]
	v_addc_co_u32_e32 v21, vcc, v18, v21, vcc
	v_add_co_u32_e32 v22, vcc, s12, v22
	v_addc_co_u32_e32 v23, vcc, v18, v23, vcc
	v_add_u32_e32 v10, 3, v9
	s_waitcnt vmcnt(0)
	v_fmac_f32_e32 v30, v28, v16
	v_fmac_f32_e32 v14, v29, v16
	v_fma_f32 v30, -v29, v17, v30
	v_fmac_f32_e32 v14, v28, v17
	global_load_dwordx2 v[24:25], v[20:21], off
	global_load_dwordx2 v[28:29], v[22:23], off
	s_waitcnt vmcnt(1)
	v_fmac_f32_e32 v7, v24, v16
	v_fmac_f32_e32 v15, v25, v16
	v_fma_f32 v7, -v25, v17, v7
	v_fmac_f32_e32 v15, v24, v17
	v_lshlrev_b64 v[16:17], 3, v[10:11]
	v_add_u32_e32 v10, -5, v8
	v_add_co_u32_e32 v16, vcc, s14, v16
	v_addc_co_u32_e32 v17, vcc, v19, v17, vcc
	global_load_dwordx2 v[16:17], v[16:17], off
	v_lshlrev_b64 v[20:21], 3, v[10:11]
	v_add_u32_e32 v10, -13, v8
	v_add_co_u32_e32 v20, vcc, s12, v20
	v_lshlrev_b64 v[22:23], 3, v[10:11]
	v_addc_co_u32_e32 v21, vcc, v18, v21, vcc
	v_add_co_u32_e32 v22, vcc, s12, v22
	v_addc_co_u32_e32 v23, vcc, v18, v23, vcc
	v_add_u32_e32 v10, 4, v9
	s_waitcnt vmcnt(0)
	v_fmac_f32_e32 v30, v28, v16
	v_fmac_f32_e32 v14, v29, v16
	v_fma_f32 v30, -v29, v17, v30
	v_fmac_f32_e32 v14, v28, v17
	global_load_dwordx2 v[24:25], v[20:21], off
	global_load_dwordx2 v[28:29], v[22:23], off
	s_waitcnt vmcnt(1)
	v_fmac_f32_e32 v7, v24, v16
	v_fmac_f32_e32 v15, v25, v16
	v_fma_f32 v7, -v25, v17, v7
	v_fmac_f32_e32 v15, v24, v17
	v_lshlrev_b64 v[16:17], 3, v[10:11]
	v_add_u32_e32 v10, -4, v8
	v_add_co_u32_e32 v16, vcc, s14, v16
	v_addc_co_u32_e32 v17, vcc, v19, v17, vcc
	global_load_dwordx2 v[16:17], v[16:17], off
	v_lshlrev_b64 v[20:21], 3, v[10:11]
	v_add_u32_e32 v10, -12, v8
	v_add_co_u32_e32 v20, vcc, s12, v20
	v_lshlrev_b64 v[22:23], 3, v[10:11]
	v_addc_co_u32_e32 v21, vcc, v18, v21, vcc
	v_add_co_u32_e32 v22, vcc, s12, v22
	v_addc_co_u32_e32 v23, vcc, v18, v23, vcc
	v_add_u32_e32 v10, 5, v9
	s_waitcnt vmcnt(0)
	v_fmac_f32_e32 v30, v28, v16
	v_fmac_f32_e32 v14, v29, v16
	v_fma_f32 v30, -v29, v17, v30
	v_fmac_f32_e32 v14, v28, v17
	global_load_dwordx2 v[24:25], v[20:21], off
	global_load_dwordx2 v[28:29], v[22:23], off
	s_waitcnt vmcnt(1)
	v_fmac_f32_e32 v7, v24, v16
	v_fmac_f32_e32 v15, v25, v16
	v_fma_f32 v7, -v25, v17, v7
	v_fmac_f32_e32 v15, v24, v17
	v_lshlrev_b64 v[16:17], 3, v[10:11]
	v_add_u32_e32 v10, -3, v8
	v_add_co_u32_e32 v16, vcc, s14, v16
	v_addc_co_u32_e32 v17, vcc, v19, v17, vcc
	global_load_dwordx2 v[16:17], v[16:17], off
	v_lshlrev_b64 v[20:21], 3, v[10:11]
	v_add_u32_e32 v10, -11, v8
	v_add_co_u32_e32 v20, vcc, s12, v20
	v_lshlrev_b64 v[22:23], 3, v[10:11]
	v_addc_co_u32_e32 v21, vcc, v18, v21, vcc
	v_add_co_u32_e32 v22, vcc, s12, v22
	v_addc_co_u32_e32 v23, vcc, v18, v23, vcc
	v_add_u32_e32 v10, 6, v9
	s_waitcnt vmcnt(0)
	v_fmac_f32_e32 v30, v28, v16
	v_fmac_f32_e32 v14, v29, v16
	v_fma_f32 v30, -v29, v17, v30
	v_fmac_f32_e32 v14, v28, v17
	global_load_dwordx2 v[24:25], v[20:21], off
	global_load_dwordx2 v[28:29], v[22:23], off
	s_waitcnt vmcnt(1)
	v_fmac_f32_e32 v7, v24, v16
	v_fmac_f32_e32 v15, v25, v16
	v_fma_f32 v7, -v25, v17, v7
	v_fmac_f32_e32 v15, v24, v17
	v_lshlrev_b64 v[16:17], 3, v[10:11]
	v_add_u32_e32 v10, -2, v8
	v_add_co_u32_e32 v16, vcc, s14, v16
	v_addc_co_u32_e32 v17, vcc, v19, v17, vcc
	global_load_dwordx2 v[16:17], v[16:17], off
	v_lshlrev_b64 v[20:21], 3, v[10:11]
	v_add_u32_e32 v10, -10, v8
	v_add_co_u32_e32 v20, vcc, s12, v20
	v_lshlrev_b64 v[22:23], 3, v[10:11]
	v_addc_co_u32_e32 v21, vcc, v18, v21, vcc
	v_add_co_u32_e32 v22, vcc, s12, v22
	v_addc_co_u32_e32 v23, vcc, v18, v23, vcc
	v_add_u32_e32 v10, 7, v9
	s_waitcnt vmcnt(0)
	v_fmac_f32_e32 v30, v28, v16
	v_fmac_f32_e32 v14, v29, v16
	v_fma_f32 v30, -v29, v17, v30
	v_fmac_f32_e32 v14, v28, v17
	global_load_dwordx2 v[24:25], v[20:21], off
	global_load_dwordx2 v[28:29], v[22:23], off
	s_waitcnt vmcnt(1)
	v_fmac_f32_e32 v7, v24, v16
	v_fmac_f32_e32 v15, v25, v16
	v_fma_f32 v7, -v25, v17, v7
	v_fmac_f32_e32 v15, v24, v17
	v_lshlrev_b64 v[16:17], 3, v[10:11]
	v_add_u32_e32 v10, -1, v8
	v_add_co_u32_e32 v16, vcc, s14, v16
	v_addc_co_u32_e32 v17, vcc, v19, v17, vcc
	global_load_dwordx2 v[16:17], v[16:17], off
	v_lshlrev_b64 v[20:21], 3, v[10:11]
	v_add_u32_e32 v10, -9, v8
	v_lshlrev_b64 v[22:23], 3, v[10:11]
	v_add_co_u32_e32 v20, vcc, s12, v20
	v_add_u32_e32 v10, 8, v9
	v_addc_co_u32_e32 v21, vcc, v18, v21, vcc
	v_add_co_u32_e32 v22, vcc, s12, v22
	v_lshlrev_b64 v[9:10], 3, v[10:11]
	v_addc_co_u32_e32 v23, vcc, v18, v23, vcc
	v_add_co_u32_e32 v9, vcc, s14, v9
	v_addc_co_u32_e32 v10, vcc, v19, v10, vcc
	v_cmp_ge_i32_e32 vcc, v6, v13
	s_or_b64 s[0:1], vcc, s[0:1]
	v_add_u32_e32 v8, 0x90, v8
	s_waitcnt vmcnt(0)
	v_fmac_f32_e32 v30, v28, v16
	v_fmac_f32_e32 v14, v29, v16
	v_fma_f32 v34, -v29, v17, v30
	v_fmac_f32_e32 v14, v28, v17
	global_load_dwordx2 v[24:25], v[26:27], off
	global_load_dwordx2 v[28:29], v[20:21], off
	;; [unrolled: 1-line block ×4, first 2 shown]
	s_waitcnt vmcnt(2)
	v_fmac_f32_e32 v7, v28, v16
	v_fmac_f32_e32 v15, v29, v16
	v_fma_f32 v7, -v29, v17, v7
	v_fmac_f32_e32 v15, v28, v17
	s_waitcnt vmcnt(0)
	v_fmac_f32_e32 v34, v30, v32
	v_fmac_f32_e32 v14, v31, v32
	;; [unrolled: 1-line block ×4, first 2 shown]
	v_fma_f32 v16, -v31, v33, v34
	v_fmac_f32_e32 v14, v30, v33
	v_fma_f32 v17, -v25, v33, v7
	v_fmac_f32_e32 v15, v24, v33
	s_andn2_b64 exec, exec, s[0:1]
	s_cbranch_execnz .LBB188_13
; %bb.14:
	s_or_b64 exec, exec, s[0:1]
.LBB188_15:
	s_or_b64 exec, exec, s[6:7]
.LBB188_16:
	v_mov_b32_dpp v6, v16 row_shr:1 row_mask:0xf bank_mask:0xf
	v_mov_b32_dpp v8, v14 row_shr:1 row_mask:0xf bank_mask:0xf
	;; [unrolled: 1-line block ×4, first 2 shown]
	v_add_f32_e32 v6, v16, v6
	v_add_f32_e32 v8, v14, v8
	;; [unrolled: 1-line block ×4, first 2 shown]
	v_mov_b32_dpp v7, v6 row_shr:2 row_mask:0xf bank_mask:0xf
	v_mov_b32_dpp v9, v8 row_shr:2 row_mask:0xf bank_mask:0xf
	v_mov_b32_dpp v11, v10 row_shr:2 row_mask:0xf bank_mask:0xf
	v_mov_b32_dpp v13, v12 row_shr:2 row_mask:0xf bank_mask:0xf
	v_add_f32_e32 v6, v6, v7
	v_add_f32_e32 v8, v8, v9
	;; [unrolled: 1-line block ×4, first 2 shown]
	v_mov_b32_dpp v7, v6 row_shr:4 row_mask:0xf bank_mask:0xe
	v_mov_b32_dpp v9, v8 row_shr:4 row_mask:0xf bank_mask:0xe
	;; [unrolled: 1-line block ×4, first 2 shown]
	v_cmp_eq_u32_e32 vcc, 7, v0
	s_and_b64 exec, exec, vcc
	s_cbranch_execz .LBB188_21
; %bb.17:
	s_load_dwordx2 s[2:3], s[4:5], 0x38
	v_cmp_eq_f32_e32 vcc, 0, v3
	v_cmp_eq_f32_e64 s[0:1], 0, v4
	v_add_f32_e32 v7, v6, v7
	v_add_f32_e32 v8, v8, v9
	;; [unrolled: 1-line block ×4, first 2 shown]
	s_and_b64 s[0:1], vcc, s[0:1]
	s_and_saveexec_b64 s[4:5], s[0:1]
	s_xor_b64 s[0:1], exec, s[4:5]
	s_cbranch_execz .LBB188_19
; %bb.18:
	v_mul_f32_e64 v3, v8, -v2
	v_mul_f32_e32 v4, v1, v8
	v_fmac_f32_e32 v3, v1, v7
	v_fmac_f32_e32 v4, v2, v7
	v_lshlrev_b32_e32 v7, 1, v5
	v_ashrrev_i32_e32 v8, 31, v7
	v_lshlrev_b64 v[7:8], 3, v[7:8]
	s_waitcnt lgkmcnt(0)
	v_mov_b32_e32 v5, s3
	v_add_co_u32_e32 v7, vcc, s2, v7
	v_addc_co_u32_e32 v8, vcc, v5, v8, vcc
	v_mul_f32_e64 v5, v6, -v2
	v_mul_f32_e32 v6, v1, v6
	v_fmac_f32_e32 v5, v1, v0
	v_fmac_f32_e32 v6, v2, v0
	global_store_dwordx4 v[7:8], v[3:6], off
                                        ; implicit-def: $vgpr5
                                        ; implicit-def: $vgpr1_vgpr2
                                        ; implicit-def: $vgpr8
                                        ; implicit-def: $vgpr7
                                        ; implicit-def: $vgpr3_vgpr4
                                        ; implicit-def: $vgpr6
                                        ; implicit-def: $vgpr0
.LBB188_19:
	s_andn2_saveexec_b64 s[0:1], s[0:1]
	s_cbranch_execz .LBB188_21
; %bb.20:
	v_lshlrev_b32_e32 v9, 1, v5
	v_ashrrev_i32_e32 v10, 31, v9
	v_lshlrev_b64 v[9:10], 3, v[9:10]
	s_waitcnt lgkmcnt(0)
	v_mov_b32_e32 v5, s3
	v_add_co_u32_e32 v17, vcc, s2, v9
	v_addc_co_u32_e32 v18, vcc, v5, v10, vcc
	global_load_dwordx4 v[9:12], v[17:18], off
	v_mul_f32_e64 v5, v8, -v2
	v_mul_f32_e32 v14, v1, v8
	v_mul_f32_e64 v8, v6, -v2
	v_mul_f32_e32 v16, v1, v6
	v_fmac_f32_e32 v5, v1, v7
	v_fmac_f32_e32 v14, v2, v7
	;; [unrolled: 1-line block ×4, first 2 shown]
	s_waitcnt vmcnt(0)
	v_fmac_f32_e32 v5, v3, v9
	v_fmac_f32_e32 v14, v4, v9
	;; [unrolled: 1-line block ×4, first 2 shown]
	v_fma_f32 v13, -v4, v10, v5
	v_fmac_f32_e32 v14, v3, v10
	v_fma_f32 v15, -v4, v12, v8
	v_fmac_f32_e32 v16, v3, v12
	global_store_dwordx4 v[17:18], v[13:16], off
.LBB188_21:
	s_endpgm
	.section	.rodata,"a",@progbits
	.p2align	6, 0x0
	.amdhsa_kernel _ZN9rocsparseL19gebsrmvn_2xn_kernelILj128ELj9ELj8E21rocsparse_complex_numIfEEEvi20rocsparse_direction_NS_24const_host_device_scalarIT2_EEPKiS8_PKS5_SA_S6_PS5_21rocsparse_index_base_b
		.amdhsa_group_segment_fixed_size 0
		.amdhsa_private_segment_fixed_size 0
		.amdhsa_kernarg_size 72
		.amdhsa_user_sgpr_count 6
		.amdhsa_user_sgpr_private_segment_buffer 1
		.amdhsa_user_sgpr_dispatch_ptr 0
		.amdhsa_user_sgpr_queue_ptr 0
		.amdhsa_user_sgpr_kernarg_segment_ptr 1
		.amdhsa_user_sgpr_dispatch_id 0
		.amdhsa_user_sgpr_flat_scratch_init 0
		.amdhsa_user_sgpr_private_segment_size 0
		.amdhsa_uses_dynamic_stack 0
		.amdhsa_system_sgpr_private_segment_wavefront_offset 0
		.amdhsa_system_sgpr_workgroup_id_x 1
		.amdhsa_system_sgpr_workgroup_id_y 0
		.amdhsa_system_sgpr_workgroup_id_z 0
		.amdhsa_system_sgpr_workgroup_info 0
		.amdhsa_system_vgpr_workitem_id 0
		.amdhsa_next_free_vgpr 38
		.amdhsa_next_free_sgpr 16
		.amdhsa_reserve_vcc 1
		.amdhsa_reserve_flat_scratch 0
		.amdhsa_float_round_mode_32 0
		.amdhsa_float_round_mode_16_64 0
		.amdhsa_float_denorm_mode_32 3
		.amdhsa_float_denorm_mode_16_64 3
		.amdhsa_dx10_clamp 1
		.amdhsa_ieee_mode 1
		.amdhsa_fp16_overflow 0
		.amdhsa_exception_fp_ieee_invalid_op 0
		.amdhsa_exception_fp_denorm_src 0
		.amdhsa_exception_fp_ieee_div_zero 0
		.amdhsa_exception_fp_ieee_overflow 0
		.amdhsa_exception_fp_ieee_underflow 0
		.amdhsa_exception_fp_ieee_inexact 0
		.amdhsa_exception_int_div_zero 0
	.end_amdhsa_kernel
	.section	.text._ZN9rocsparseL19gebsrmvn_2xn_kernelILj128ELj9ELj8E21rocsparse_complex_numIfEEEvi20rocsparse_direction_NS_24const_host_device_scalarIT2_EEPKiS8_PKS5_SA_S6_PS5_21rocsparse_index_base_b,"axG",@progbits,_ZN9rocsparseL19gebsrmvn_2xn_kernelILj128ELj9ELj8E21rocsparse_complex_numIfEEEvi20rocsparse_direction_NS_24const_host_device_scalarIT2_EEPKiS8_PKS5_SA_S6_PS5_21rocsparse_index_base_b,comdat
.Lfunc_end188:
	.size	_ZN9rocsparseL19gebsrmvn_2xn_kernelILj128ELj9ELj8E21rocsparse_complex_numIfEEEvi20rocsparse_direction_NS_24const_host_device_scalarIT2_EEPKiS8_PKS5_SA_S6_PS5_21rocsparse_index_base_b, .Lfunc_end188-_ZN9rocsparseL19gebsrmvn_2xn_kernelILj128ELj9ELj8E21rocsparse_complex_numIfEEEvi20rocsparse_direction_NS_24const_host_device_scalarIT2_EEPKiS8_PKS5_SA_S6_PS5_21rocsparse_index_base_b
                                        ; -- End function
	.set _ZN9rocsparseL19gebsrmvn_2xn_kernelILj128ELj9ELj8E21rocsparse_complex_numIfEEEvi20rocsparse_direction_NS_24const_host_device_scalarIT2_EEPKiS8_PKS5_SA_S6_PS5_21rocsparse_index_base_b.num_vgpr, 38
	.set _ZN9rocsparseL19gebsrmvn_2xn_kernelILj128ELj9ELj8E21rocsparse_complex_numIfEEEvi20rocsparse_direction_NS_24const_host_device_scalarIT2_EEPKiS8_PKS5_SA_S6_PS5_21rocsparse_index_base_b.num_agpr, 0
	.set _ZN9rocsparseL19gebsrmvn_2xn_kernelILj128ELj9ELj8E21rocsparse_complex_numIfEEEvi20rocsparse_direction_NS_24const_host_device_scalarIT2_EEPKiS8_PKS5_SA_S6_PS5_21rocsparse_index_base_b.numbered_sgpr, 16
	.set _ZN9rocsparseL19gebsrmvn_2xn_kernelILj128ELj9ELj8E21rocsparse_complex_numIfEEEvi20rocsparse_direction_NS_24const_host_device_scalarIT2_EEPKiS8_PKS5_SA_S6_PS5_21rocsparse_index_base_b.num_named_barrier, 0
	.set _ZN9rocsparseL19gebsrmvn_2xn_kernelILj128ELj9ELj8E21rocsparse_complex_numIfEEEvi20rocsparse_direction_NS_24const_host_device_scalarIT2_EEPKiS8_PKS5_SA_S6_PS5_21rocsparse_index_base_b.private_seg_size, 0
	.set _ZN9rocsparseL19gebsrmvn_2xn_kernelILj128ELj9ELj8E21rocsparse_complex_numIfEEEvi20rocsparse_direction_NS_24const_host_device_scalarIT2_EEPKiS8_PKS5_SA_S6_PS5_21rocsparse_index_base_b.uses_vcc, 1
	.set _ZN9rocsparseL19gebsrmvn_2xn_kernelILj128ELj9ELj8E21rocsparse_complex_numIfEEEvi20rocsparse_direction_NS_24const_host_device_scalarIT2_EEPKiS8_PKS5_SA_S6_PS5_21rocsparse_index_base_b.uses_flat_scratch, 0
	.set _ZN9rocsparseL19gebsrmvn_2xn_kernelILj128ELj9ELj8E21rocsparse_complex_numIfEEEvi20rocsparse_direction_NS_24const_host_device_scalarIT2_EEPKiS8_PKS5_SA_S6_PS5_21rocsparse_index_base_b.has_dyn_sized_stack, 0
	.set _ZN9rocsparseL19gebsrmvn_2xn_kernelILj128ELj9ELj8E21rocsparse_complex_numIfEEEvi20rocsparse_direction_NS_24const_host_device_scalarIT2_EEPKiS8_PKS5_SA_S6_PS5_21rocsparse_index_base_b.has_recursion, 0
	.set _ZN9rocsparseL19gebsrmvn_2xn_kernelILj128ELj9ELj8E21rocsparse_complex_numIfEEEvi20rocsparse_direction_NS_24const_host_device_scalarIT2_EEPKiS8_PKS5_SA_S6_PS5_21rocsparse_index_base_b.has_indirect_call, 0
	.section	.AMDGPU.csdata,"",@progbits
; Kernel info:
; codeLenInByte = 3056
; TotalNumSgprs: 20
; NumVgprs: 38
; ScratchSize: 0
; MemoryBound: 0
; FloatMode: 240
; IeeeMode: 1
; LDSByteSize: 0 bytes/workgroup (compile time only)
; SGPRBlocks: 2
; VGPRBlocks: 9
; NumSGPRsForWavesPerEU: 20
; NumVGPRsForWavesPerEU: 38
; Occupancy: 6
; WaveLimiterHint : 1
; COMPUTE_PGM_RSRC2:SCRATCH_EN: 0
; COMPUTE_PGM_RSRC2:USER_SGPR: 6
; COMPUTE_PGM_RSRC2:TRAP_HANDLER: 0
; COMPUTE_PGM_RSRC2:TGID_X_EN: 1
; COMPUTE_PGM_RSRC2:TGID_Y_EN: 0
; COMPUTE_PGM_RSRC2:TGID_Z_EN: 0
; COMPUTE_PGM_RSRC2:TIDIG_COMP_CNT: 0
	.section	.text._ZN9rocsparseL19gebsrmvn_2xn_kernelILj128ELj9ELj16E21rocsparse_complex_numIfEEEvi20rocsparse_direction_NS_24const_host_device_scalarIT2_EEPKiS8_PKS5_SA_S6_PS5_21rocsparse_index_base_b,"axG",@progbits,_ZN9rocsparseL19gebsrmvn_2xn_kernelILj128ELj9ELj16E21rocsparse_complex_numIfEEEvi20rocsparse_direction_NS_24const_host_device_scalarIT2_EEPKiS8_PKS5_SA_S6_PS5_21rocsparse_index_base_b,comdat
	.globl	_ZN9rocsparseL19gebsrmvn_2xn_kernelILj128ELj9ELj16E21rocsparse_complex_numIfEEEvi20rocsparse_direction_NS_24const_host_device_scalarIT2_EEPKiS8_PKS5_SA_S6_PS5_21rocsparse_index_base_b ; -- Begin function _ZN9rocsparseL19gebsrmvn_2xn_kernelILj128ELj9ELj16E21rocsparse_complex_numIfEEEvi20rocsparse_direction_NS_24const_host_device_scalarIT2_EEPKiS8_PKS5_SA_S6_PS5_21rocsparse_index_base_b
	.p2align	8
	.type	_ZN9rocsparseL19gebsrmvn_2xn_kernelILj128ELj9ELj16E21rocsparse_complex_numIfEEEvi20rocsparse_direction_NS_24const_host_device_scalarIT2_EEPKiS8_PKS5_SA_S6_PS5_21rocsparse_index_base_b,@function
_ZN9rocsparseL19gebsrmvn_2xn_kernelILj128ELj9ELj16E21rocsparse_complex_numIfEEEvi20rocsparse_direction_NS_24const_host_device_scalarIT2_EEPKiS8_PKS5_SA_S6_PS5_21rocsparse_index_base_b: ; @_ZN9rocsparseL19gebsrmvn_2xn_kernelILj128ELj9ELj16E21rocsparse_complex_numIfEEEvi20rocsparse_direction_NS_24const_host_device_scalarIT2_EEPKiS8_PKS5_SA_S6_PS5_21rocsparse_index_base_b
; %bb.0:
	s_load_dwordx2 s[0:1], s[4:5], 0x8
	s_load_dwordx2 s[8:9], s[4:5], 0x30
	;; [unrolled: 1-line block ×3, first 2 shown]
	s_add_u32 s7, s4, 8
	s_addc_u32 s10, s5, 0
	s_add_u32 s11, s4, 48
	s_addc_u32 s12, s5, 0
	s_waitcnt lgkmcnt(0)
	s_bitcmp1_b32 s3, 0
	s_cselect_b32 s1, s10, s1
	s_cselect_b32 s0, s7, s0
	v_mov_b32_e32 v1, s0
	v_mov_b32_e32 v2, s1
	flat_load_dwordx2 v[1:2], v[1:2]
	s_cselect_b32 s0, s12, s9
	s_cselect_b32 s1, s11, s8
	v_mov_b32_e32 v3, s1
	v_mov_b32_e32 v4, s0
	flat_load_dwordx2 v[3:4], v[3:4]
	s_waitcnt vmcnt(0) lgkmcnt(0)
	v_cmp_eq_f32_e32 vcc, 0, v1
	v_cmp_eq_f32_e64 s[0:1], 0, v2
	s_and_b64 s[10:11], vcc, s[0:1]
	s_mov_b64 s[0:1], -1
	s_and_saveexec_b64 s[8:9], s[10:11]
; %bb.1:
	v_cmp_neq_f32_e32 vcc, 1.0, v3
	v_cmp_neq_f32_e64 s[0:1], 0, v4
	s_or_b64 s[0:1], vcc, s[0:1]
	s_orn2_b64 s[0:1], s[0:1], exec
; %bb.2:
	s_or_b64 exec, exec, s[8:9]
	s_and_saveexec_b64 s[8:9], s[0:1]
	s_cbranch_execz .LBB189_21
; %bb.3:
	s_load_dwordx2 s[0:1], s[4:5], 0x0
	v_lshrrev_b32_e32 v5, 4, v0
	v_lshl_or_b32 v5, s6, 3, v5
	s_waitcnt lgkmcnt(0)
	v_cmp_gt_i32_e32 vcc, s0, v5
	s_and_b64 exec, exec, vcc
	s_cbranch_execz .LBB189_21
; %bb.4:
	s_load_dwordx8 s[8:15], s[4:5], 0x10
	v_ashrrev_i32_e32 v6, 31, v5
	v_lshlrev_b64 v[6:7], 2, v[5:6]
	v_and_b32_e32 v0, 15, v0
	s_cmp_lg_u32 s1, 0
	s_waitcnt lgkmcnt(0)
	v_mov_b32_e32 v8, s9
	v_add_co_u32_e32 v6, vcc, s8, v6
	v_addc_co_u32_e32 v7, vcc, v8, v7, vcc
	global_load_dwordx2 v[6:7], v[6:7], off
	s_waitcnt vmcnt(0)
	v_subrev_u32_e32 v6, s2, v6
	v_subrev_u32_e32 v13, s2, v7
	v_add_u32_e32 v6, v6, v0
	v_cmp_lt_i32_e64 s[0:1], v6, v13
	s_cbranch_scc0 .LBB189_10
; %bb.5:
	v_mov_b32_e32 v14, 0
	v_mov_b32_e32 v17, 0
	;; [unrolled: 1-line block ×4, first 2 shown]
	s_and_saveexec_b64 s[6:7], s[0:1]
	s_cbranch_execz .LBB189_9
; %bb.6:
	v_mad_u64_u32 v[7:8], s[8:9], v6, 18, 16
	v_mov_b32_e32 v10, 0
	s_mov_b64 s[8:9], 0
	v_mov_b32_e32 v18, s11
	v_mov_b32_e32 v19, s13
	;; [unrolled: 1-line block ×8, first 2 shown]
.LBB189_7:                              ; =>This Inner Loop Header: Depth=1
	v_ashrrev_i32_e32 v12, 31, v11
	v_lshlrev_b64 v[21:22], 2, v[11:12]
	v_add_u32_e32 v9, -16, v7
	v_lshlrev_b64 v[23:24], 3, v[9:10]
	v_add_co_u32_e32 v27, vcc, s10, v21
	v_addc_co_u32_e32 v28, vcc, v18, v22, vcc
	v_add_co_u32_e32 v31, vcc, s12, v23
	v_addc_co_u32_e32 v32, vcc, v19, v24, vcc
	global_load_dword v12, v[27:28], off
	global_load_dwordx4 v[21:24], v[31:32], off
	v_mov_b32_e32 v8, v10
	v_lshlrev_b64 v[25:26], 3, v[7:8]
	v_add_u32_e32 v9, -14, v7
	v_lshlrev_b64 v[8:9], 3, v[9:10]
	v_add_co_u32_e32 v33, vcc, s12, v25
	v_mov_b32_e32 v30, v10
	v_addc_co_u32_e32 v34, vcc, v19, v26, vcc
	v_add_co_u32_e32 v8, vcc, s12, v8
	v_addc_co_u32_e32 v9, vcc, v19, v9, vcc
	v_add_u32_e32 v11, 16, v11
	s_waitcnt vmcnt(1)
	v_subrev_u32_e32 v12, s2, v12
	v_lshl_add_u32 v29, v12, 3, v12
	v_lshlrev_b64 v[25:26], 3, v[29:30]
	v_add_co_u32_e32 v30, vcc, s14, v25
	v_addc_co_u32_e32 v31, vcc, v20, v26, vcc
	global_load_dwordx4 v[25:28], v[33:34], off
	global_load_dwordx2 v[35:36], v[30:31], off
	s_waitcnt vmcnt(0)
	v_fmac_f32_e32 v17, v21, v35
	v_fmac_f32_e32 v14, v22, v35
	;; [unrolled: 1-line block ×4, first 2 shown]
	v_fma_f32 v12, -v22, v36, v17
	v_fmac_f32_e32 v14, v21, v36
	v_fma_f32 v32, -v24, v36, v16
	v_fmac_f32_e32 v15, v23, v36
	global_load_dwordx4 v[21:24], v[8:9], off
	v_add_u32_e32 v9, 1, v29
	v_lshlrev_b64 v[16:17], 3, v[9:10]
	v_add_u32_e32 v9, -12, v7
	v_add_co_u32_e32 v16, vcc, s14, v16
	v_addc_co_u32_e32 v17, vcc, v20, v17, vcc
	global_load_dwordx2 v[16:17], v[16:17], off
	v_lshlrev_b64 v[30:31], 3, v[9:10]
	v_add_u32_e32 v9, 2, v29
	v_add_co_u32_e32 v30, vcc, s12, v30
	v_addc_co_u32_e32 v31, vcc, v19, v31, vcc
	s_waitcnt vmcnt(0)
	v_fmac_f32_e32 v12, v21, v16
	v_fmac_f32_e32 v14, v22, v16
	;; [unrolled: 1-line block ×4, first 2 shown]
	v_fma_f32 v8, -v22, v17, v12
	v_fmac_f32_e32 v14, v21, v17
	v_fma_f32 v12, -v24, v17, v32
	v_fmac_f32_e32 v15, v23, v17
	v_lshlrev_b64 v[16:17], 3, v[9:10]
	v_add_u32_e32 v9, -10, v7
	v_add_co_u32_e32 v16, vcc, s14, v16
	v_addc_co_u32_e32 v17, vcc, v20, v17, vcc
	global_load_dwordx4 v[21:24], v[30:31], off
	global_load_dwordx2 v[34:35], v[16:17], off
	v_lshlrev_b64 v[32:33], 3, v[9:10]
	v_add_u32_e32 v9, 3, v29
	v_lshlrev_b64 v[16:17], 3, v[9:10]
	v_add_co_u32_e32 v30, vcc, s12, v32
	v_addc_co_u32_e32 v31, vcc, v19, v33, vcc
	v_add_co_u32_e32 v16, vcc, s14, v16
	v_addc_co_u32_e32 v17, vcc, v20, v17, vcc
	v_add_u32_e32 v9, -8, v7
	v_lshlrev_b64 v[32:33], 3, v[9:10]
	v_add_u32_e32 v9, 4, v29
	s_waitcnt vmcnt(0)
	v_fmac_f32_e32 v8, v21, v34
	v_fmac_f32_e32 v14, v22, v34
	v_fmac_f32_e32 v12, v23, v34
	v_fmac_f32_e32 v15, v24, v34
	v_fma_f32 v8, -v22, v35, v8
	v_fmac_f32_e32 v14, v21, v35
	v_fma_f32 v12, -v24, v35, v12
	v_fmac_f32_e32 v15, v23, v35
	global_load_dwordx4 v[21:24], v[30:31], off
	global_load_dwordx2 v[34:35], v[16:17], off
	v_lshlrev_b64 v[16:17], 3, v[9:10]
	v_add_co_u32_e32 v30, vcc, s12, v32
	v_addc_co_u32_e32 v31, vcc, v19, v33, vcc
	v_add_co_u32_e32 v16, vcc, s14, v16
	v_addc_co_u32_e32 v17, vcc, v20, v17, vcc
	v_add_u32_e32 v9, -6, v7
	v_lshlrev_b64 v[32:33], 3, v[9:10]
	v_add_u32_e32 v9, 5, v29
	s_waitcnt vmcnt(0)
	v_fmac_f32_e32 v8, v21, v34
	v_fmac_f32_e32 v14, v22, v34
	v_fmac_f32_e32 v12, v23, v34
	v_fmac_f32_e32 v15, v24, v34
	v_fma_f32 v8, -v22, v35, v8
	v_fmac_f32_e32 v14, v21, v35
	v_fma_f32 v12, -v24, v35, v12
	v_fmac_f32_e32 v15, v23, v35
	global_load_dwordx4 v[21:24], v[30:31], off
	global_load_dwordx2 v[34:35], v[16:17], off
	;; [unrolled: 19-line block ×3, first 2 shown]
	v_lshlrev_b64 v[16:17], 3, v[9:10]
	v_add_co_u32_e32 v30, vcc, s12, v32
	v_add_u32_e32 v9, -2, v7
	v_addc_co_u32_e32 v31, vcc, v19, v33, vcc
	v_add_co_u32_e32 v16, vcc, s14, v16
	v_addc_co_u32_e32 v17, vcc, v20, v17, vcc
	v_add_u32_e32 v7, 0x120, v7
	s_waitcnt vmcnt(0)
	v_fmac_f32_e32 v8, v21, v34
	v_fmac_f32_e32 v14, v22, v34
	v_fma_f32 v8, -v22, v35, v8
	v_fmac_f32_e32 v14, v21, v35
	v_lshlrev_b64 v[21:22], 3, v[9:10]
	v_fmac_f32_e32 v12, v23, v34
	v_fmac_f32_e32 v15, v24, v34
	v_add_co_u32_e32 v34, vcc, s12, v21
	v_fma_f32 v12, -v24, v35, v12
	v_fmac_f32_e32 v15, v23, v35
	v_addc_co_u32_e32 v35, vcc, v19, v22, vcc
	global_load_dwordx4 v[21:24], v[30:31], off
	global_load_dwordx2 v[36:37], v[16:17], off
	v_add_u32_e32 v9, 7, v29
	v_lshlrev_b64 v[32:33], 3, v[9:10]
	v_add_u32_e32 v9, 8, v29
	v_add_co_u32_e32 v16, vcc, s14, v32
	v_addc_co_u32_e32 v17, vcc, v20, v33, vcc
	s_waitcnt vmcnt(0)
	v_fmac_f32_e32 v8, v21, v36
	v_fma_f32 v31, -v22, v37, v8
	v_lshlrev_b64 v[8:9], 3, v[9:10]
	v_fmac_f32_e32 v14, v22, v36
	v_fmac_f32_e32 v12, v23, v36
	;; [unrolled: 1-line block ×4, first 2 shown]
	v_fma_f32 v12, -v24, v37, v12
	v_fmac_f32_e32 v15, v23, v37
	global_load_dwordx4 v[21:24], v[34:35], off
	global_load_dwordx2 v[29:30], v[16:17], off
	v_add_co_u32_e32 v8, vcc, s14, v8
	v_addc_co_u32_e32 v9, vcc, v20, v9, vcc
	global_load_dwordx2 v[8:9], v[8:9], off
	v_cmp_ge_i32_e32 vcc, v11, v13
	s_or_b64 s[8:9], vcc, s[8:9]
	s_waitcnt vmcnt(1)
	v_fmac_f32_e32 v31, v21, v29
	v_fmac_f32_e32 v14, v22, v29
	v_fmac_f32_e32 v12, v23, v29
	v_fmac_f32_e32 v15, v24, v29
	v_fma_f32 v16, -v22, v30, v31
	v_fmac_f32_e32 v14, v21, v30
	v_fma_f32 v12, -v24, v30, v12
	v_fmac_f32_e32 v15, v23, v30
	s_waitcnt vmcnt(0)
	v_fmac_f32_e32 v16, v25, v8
	v_fmac_f32_e32 v14, v26, v8
	;; [unrolled: 1-line block ×4, first 2 shown]
	v_fma_f32 v17, -v26, v9, v16
	v_fmac_f32_e32 v14, v25, v9
	v_fma_f32 v16, -v28, v9, v12
	v_fmac_f32_e32 v15, v27, v9
	s_andn2_b64 exec, exec, s[8:9]
	s_cbranch_execnz .LBB189_7
; %bb.8:
	s_or_b64 exec, exec, s[8:9]
.LBB189_9:
	s_or_b64 exec, exec, s[6:7]
	s_cbranch_execz .LBB189_11
	s_branch .LBB189_16
.LBB189_10:
                                        ; implicit-def: $vgpr14
                                        ; implicit-def: $vgpr17
                                        ; implicit-def: $vgpr16
                                        ; implicit-def: $vgpr15
.LBB189_11:
	v_mov_b32_e32 v14, 0
	v_mov_b32_e32 v17, 0
	;; [unrolled: 1-line block ×4, first 2 shown]
	s_and_saveexec_b64 s[6:7], s[0:1]
	s_cbranch_execz .LBB189_15
; %bb.12:
	v_mad_u64_u32 v[8:9], s[0:1], v6, 18, 17
	v_mov_b32_e32 v11, 0
	s_mov_b64 s[0:1], 0
	v_mov_b32_e32 v12, s11
	v_mov_b32_e32 v18, s13
	;; [unrolled: 1-line block ×7, first 2 shown]
.LBB189_13:                             ; =>This Inner Loop Header: Depth=1
	v_ashrrev_i32_e32 v7, 31, v6
	v_lshlrev_b64 v[22:23], 2, v[6:7]
	v_subrev_u32_e32 v10, 17, v8
	v_add_co_u32_e32 v22, vcc, s10, v22
	v_addc_co_u32_e32 v23, vcc, v12, v23, vcc
	global_load_dword v7, v[22:23], off
	v_lshlrev_b64 v[24:25], 3, v[10:11]
	v_add_u32_e32 v20, -8, v8
	v_mov_b32_e32 v21, v11
	v_lshlrev_b64 v[20:21], 3, v[20:21]
	v_add_co_u32_e32 v24, vcc, s12, v24
	v_mov_b32_e32 v9, v11
	v_addc_co_u32_e32 v25, vcc, v18, v25, vcc
	v_lshlrev_b64 v[9:10], 3, v[8:9]
	v_add_co_u32_e32 v20, vcc, s12, v20
	v_addc_co_u32_e32 v21, vcc, v18, v21, vcc
	v_add_co_u32_e32 v26, vcc, s12, v9
	v_addc_co_u32_e32 v27, vcc, v18, v10, vcc
	v_mov_b32_e32 v10, v11
	v_add_u32_e32 v6, 16, v6
	s_waitcnt vmcnt(0)
	v_subrev_u32_e32 v7, s2, v7
	v_lshl_add_u32 v9, v7, 3, v7
	v_lshlrev_b64 v[22:23], 3, v[9:10]
	v_add_u32_e32 v10, 1, v9
	v_add_co_u32_e32 v22, vcc, s14, v22
	v_addc_co_u32_e32 v23, vcc, v19, v23, vcc
	global_load_dwordx2 v[30:31], v[20:21], off
	global_load_dwordx2 v[32:33], v[22:23], off
	v_lshlrev_b64 v[28:29], 3, v[10:11]
	global_load_dwordx4 v[20:23], v[24:25], off
	v_add_co_u32_e32 v28, vcc, s14, v28
	v_addc_co_u32_e32 v29, vcc, v19, v29, vcc
	v_add_u32_e32 v10, -7, v8
	s_waitcnt vmcnt(1)
	v_fmac_f32_e32 v16, v30, v32
	v_fma_f32 v7, -v31, v33, v16
	s_waitcnt vmcnt(0)
	v_fmac_f32_e32 v17, v20, v32
	v_fmac_f32_e32 v14, v21, v32
	v_fma_f32 v21, -v21, v33, v17
	global_load_dwordx2 v[16:17], v[28:29], off
	v_fmac_f32_e32 v15, v31, v32
	v_fmac_f32_e32 v15, v30, v33
	;; [unrolled: 1-line block ×3, first 2 shown]
	s_waitcnt vmcnt(0)
	v_fmac_f32_e32 v21, v22, v16
	v_fma_f32 v30, -v23, v17, v21
	v_lshlrev_b64 v[20:21], 3, v[10:11]
	v_fmac_f32_e32 v14, v23, v16
	v_add_u32_e32 v10, -15, v8
	v_fmac_f32_e32 v14, v22, v17
	v_add_co_u32_e32 v20, vcc, s12, v20
	v_lshlrev_b64 v[22:23], 3, v[10:11]
	v_addc_co_u32_e32 v21, vcc, v18, v21, vcc
	v_add_co_u32_e32 v22, vcc, s12, v22
	v_addc_co_u32_e32 v23, vcc, v18, v23, vcc
	global_load_dwordx2 v[24:25], v[20:21], off
	global_load_dwordx2 v[28:29], v[22:23], off
	v_add_u32_e32 v10, 2, v9
	s_waitcnt vmcnt(1)
	v_fmac_f32_e32 v7, v24, v16
	v_fmac_f32_e32 v15, v25, v16
	v_fma_f32 v7, -v25, v17, v7
	v_fmac_f32_e32 v15, v24, v17
	v_lshlrev_b64 v[16:17], 3, v[10:11]
	v_add_u32_e32 v10, -6, v8
	v_add_co_u32_e32 v16, vcc, s14, v16
	v_addc_co_u32_e32 v17, vcc, v19, v17, vcc
	global_load_dwordx2 v[16:17], v[16:17], off
	v_lshlrev_b64 v[20:21], 3, v[10:11]
	v_add_u32_e32 v10, -14, v8
	v_add_co_u32_e32 v20, vcc, s12, v20
	v_lshlrev_b64 v[22:23], 3, v[10:11]
	v_addc_co_u32_e32 v21, vcc, v18, v21, vcc
	v_add_co_u32_e32 v22, vcc, s12, v22
	v_addc_co_u32_e32 v23, vcc, v18, v23, vcc
	v_add_u32_e32 v10, 3, v9
	s_waitcnt vmcnt(0)
	v_fmac_f32_e32 v30, v28, v16
	v_fmac_f32_e32 v14, v29, v16
	v_fma_f32 v30, -v29, v17, v30
	v_fmac_f32_e32 v14, v28, v17
	global_load_dwordx2 v[24:25], v[20:21], off
	global_load_dwordx2 v[28:29], v[22:23], off
	s_waitcnt vmcnt(1)
	v_fmac_f32_e32 v7, v24, v16
	v_fmac_f32_e32 v15, v25, v16
	v_fma_f32 v7, -v25, v17, v7
	v_fmac_f32_e32 v15, v24, v17
	v_lshlrev_b64 v[16:17], 3, v[10:11]
	v_add_u32_e32 v10, -5, v8
	v_add_co_u32_e32 v16, vcc, s14, v16
	v_addc_co_u32_e32 v17, vcc, v19, v17, vcc
	global_load_dwordx2 v[16:17], v[16:17], off
	v_lshlrev_b64 v[20:21], 3, v[10:11]
	v_add_u32_e32 v10, -13, v8
	v_add_co_u32_e32 v20, vcc, s12, v20
	v_lshlrev_b64 v[22:23], 3, v[10:11]
	v_addc_co_u32_e32 v21, vcc, v18, v21, vcc
	v_add_co_u32_e32 v22, vcc, s12, v22
	v_addc_co_u32_e32 v23, vcc, v18, v23, vcc
	v_add_u32_e32 v10, 4, v9
	s_waitcnt vmcnt(0)
	v_fmac_f32_e32 v30, v28, v16
	v_fmac_f32_e32 v14, v29, v16
	v_fma_f32 v30, -v29, v17, v30
	v_fmac_f32_e32 v14, v28, v17
	global_load_dwordx2 v[24:25], v[20:21], off
	global_load_dwordx2 v[28:29], v[22:23], off
	;; [unrolled: 25-line block ×5, first 2 shown]
	s_waitcnt vmcnt(1)
	v_fmac_f32_e32 v7, v24, v16
	v_fmac_f32_e32 v15, v25, v16
	v_fma_f32 v7, -v25, v17, v7
	v_fmac_f32_e32 v15, v24, v17
	v_lshlrev_b64 v[16:17], 3, v[10:11]
	v_add_u32_e32 v10, -1, v8
	v_add_co_u32_e32 v16, vcc, s14, v16
	v_addc_co_u32_e32 v17, vcc, v19, v17, vcc
	global_load_dwordx2 v[16:17], v[16:17], off
	v_lshlrev_b64 v[20:21], 3, v[10:11]
	v_add_u32_e32 v10, -9, v8
	v_lshlrev_b64 v[22:23], 3, v[10:11]
	v_add_co_u32_e32 v20, vcc, s12, v20
	v_add_u32_e32 v10, 8, v9
	v_addc_co_u32_e32 v21, vcc, v18, v21, vcc
	v_add_co_u32_e32 v22, vcc, s12, v22
	v_lshlrev_b64 v[9:10], 3, v[10:11]
	v_addc_co_u32_e32 v23, vcc, v18, v23, vcc
	v_add_co_u32_e32 v9, vcc, s14, v9
	v_addc_co_u32_e32 v10, vcc, v19, v10, vcc
	v_cmp_ge_i32_e32 vcc, v6, v13
	s_or_b64 s[0:1], vcc, s[0:1]
	v_add_u32_e32 v8, 0x120, v8
	s_waitcnt vmcnt(0)
	v_fmac_f32_e32 v30, v28, v16
	v_fmac_f32_e32 v14, v29, v16
	v_fma_f32 v34, -v29, v17, v30
	v_fmac_f32_e32 v14, v28, v17
	global_load_dwordx2 v[24:25], v[26:27], off
	global_load_dwordx2 v[28:29], v[20:21], off
	;; [unrolled: 1-line block ×4, first 2 shown]
	s_waitcnt vmcnt(2)
	v_fmac_f32_e32 v7, v28, v16
	v_fmac_f32_e32 v15, v29, v16
	v_fma_f32 v7, -v29, v17, v7
	v_fmac_f32_e32 v15, v28, v17
	s_waitcnt vmcnt(0)
	v_fmac_f32_e32 v34, v30, v32
	v_fmac_f32_e32 v14, v31, v32
	;; [unrolled: 1-line block ×4, first 2 shown]
	v_fma_f32 v17, -v31, v33, v34
	v_fmac_f32_e32 v14, v30, v33
	v_fma_f32 v16, -v25, v33, v7
	v_fmac_f32_e32 v15, v24, v33
	s_andn2_b64 exec, exec, s[0:1]
	s_cbranch_execnz .LBB189_13
; %bb.14:
	s_or_b64 exec, exec, s[0:1]
.LBB189_15:
	s_or_b64 exec, exec, s[6:7]
.LBB189_16:
	v_mov_b32_dpp v6, v17 row_shr:1 row_mask:0xf bank_mask:0xf
	v_mov_b32_dpp v8, v14 row_shr:1 row_mask:0xf bank_mask:0xf
	v_mov_b32_dpp v10, v16 row_shr:1 row_mask:0xf bank_mask:0xf
	v_mov_b32_dpp v12, v15 row_shr:1 row_mask:0xf bank_mask:0xf
	v_add_f32_e32 v6, v17, v6
	v_add_f32_e32 v8, v14, v8
	v_add_f32_e32 v10, v16, v10
	v_add_f32_e32 v12, v15, v12
	v_mov_b32_dpp v7, v6 row_shr:2 row_mask:0xf bank_mask:0xf
	v_mov_b32_dpp v9, v8 row_shr:2 row_mask:0xf bank_mask:0xf
	v_mov_b32_dpp v11, v10 row_shr:2 row_mask:0xf bank_mask:0xf
	v_mov_b32_dpp v13, v12 row_shr:2 row_mask:0xf bank_mask:0xf
	v_add_f32_e32 v6, v6, v7
	v_add_f32_e32 v8, v8, v9
	v_add_f32_e32 v10, v10, v11
	v_add_f32_e32 v12, v12, v13
	;; [unrolled: 8-line block ×3, first 2 shown]
	v_mov_b32_dpp v7, v6 row_shr:8 row_mask:0xf bank_mask:0xc
	v_mov_b32_dpp v9, v8 row_shr:8 row_mask:0xf bank_mask:0xc
	v_mov_b32_dpp v11, v10 row_shr:8 row_mask:0xf bank_mask:0xc
	v_mov_b32_dpp v13, v12 row_shr:8 row_mask:0xf bank_mask:0xc
	v_cmp_eq_u32_e32 vcc, 15, v0
	s_and_b64 exec, exec, vcc
	s_cbranch_execz .LBB189_21
; %bb.17:
	s_load_dwordx2 s[2:3], s[4:5], 0x38
	v_cmp_eq_f32_e32 vcc, 0, v3
	v_cmp_eq_f32_e64 s[0:1], 0, v4
	v_add_f32_e32 v7, v6, v7
	v_add_f32_e32 v8, v8, v9
	;; [unrolled: 1-line block ×4, first 2 shown]
	s_and_b64 s[0:1], vcc, s[0:1]
	s_and_saveexec_b64 s[4:5], s[0:1]
	s_xor_b64 s[0:1], exec, s[4:5]
	s_cbranch_execz .LBB189_19
; %bb.18:
	v_mul_f32_e64 v3, v8, -v2
	v_mul_f32_e32 v4, v1, v8
	v_fmac_f32_e32 v3, v1, v7
	v_fmac_f32_e32 v4, v2, v7
	v_lshlrev_b32_e32 v7, 1, v5
	v_ashrrev_i32_e32 v8, 31, v7
	v_lshlrev_b64 v[7:8], 3, v[7:8]
	s_waitcnt lgkmcnt(0)
	v_mov_b32_e32 v5, s3
	v_add_co_u32_e32 v7, vcc, s2, v7
	v_addc_co_u32_e32 v8, vcc, v5, v8, vcc
	v_mul_f32_e64 v5, v6, -v2
	v_mul_f32_e32 v6, v1, v6
	v_fmac_f32_e32 v5, v1, v0
	v_fmac_f32_e32 v6, v2, v0
	global_store_dwordx4 v[7:8], v[3:6], off
                                        ; implicit-def: $vgpr5
                                        ; implicit-def: $vgpr1_vgpr2
                                        ; implicit-def: $vgpr8
                                        ; implicit-def: $vgpr7
                                        ; implicit-def: $vgpr3_vgpr4
                                        ; implicit-def: $vgpr6
                                        ; implicit-def: $vgpr0
.LBB189_19:
	s_andn2_saveexec_b64 s[0:1], s[0:1]
	s_cbranch_execz .LBB189_21
; %bb.20:
	v_lshlrev_b32_e32 v9, 1, v5
	v_ashrrev_i32_e32 v10, 31, v9
	v_lshlrev_b64 v[9:10], 3, v[9:10]
	s_waitcnt lgkmcnt(0)
	v_mov_b32_e32 v5, s3
	v_add_co_u32_e32 v17, vcc, s2, v9
	v_addc_co_u32_e32 v18, vcc, v5, v10, vcc
	global_load_dwordx4 v[9:12], v[17:18], off
	v_mul_f32_e64 v5, v8, -v2
	v_mul_f32_e32 v14, v1, v8
	v_mul_f32_e64 v8, v6, -v2
	v_mul_f32_e32 v16, v1, v6
	v_fmac_f32_e32 v5, v1, v7
	v_fmac_f32_e32 v14, v2, v7
	;; [unrolled: 1-line block ×4, first 2 shown]
	s_waitcnt vmcnt(0)
	v_fmac_f32_e32 v5, v3, v9
	v_fmac_f32_e32 v14, v4, v9
	;; [unrolled: 1-line block ×4, first 2 shown]
	v_fma_f32 v13, -v4, v10, v5
	v_fmac_f32_e32 v14, v3, v10
	v_fma_f32 v15, -v4, v12, v8
	v_fmac_f32_e32 v16, v3, v12
	global_store_dwordx4 v[17:18], v[13:16], off
.LBB189_21:
	s_endpgm
	.section	.rodata,"a",@progbits
	.p2align	6, 0x0
	.amdhsa_kernel _ZN9rocsparseL19gebsrmvn_2xn_kernelILj128ELj9ELj16E21rocsparse_complex_numIfEEEvi20rocsparse_direction_NS_24const_host_device_scalarIT2_EEPKiS8_PKS5_SA_S6_PS5_21rocsparse_index_base_b
		.amdhsa_group_segment_fixed_size 0
		.amdhsa_private_segment_fixed_size 0
		.amdhsa_kernarg_size 72
		.amdhsa_user_sgpr_count 6
		.amdhsa_user_sgpr_private_segment_buffer 1
		.amdhsa_user_sgpr_dispatch_ptr 0
		.amdhsa_user_sgpr_queue_ptr 0
		.amdhsa_user_sgpr_kernarg_segment_ptr 1
		.amdhsa_user_sgpr_dispatch_id 0
		.amdhsa_user_sgpr_flat_scratch_init 0
		.amdhsa_user_sgpr_private_segment_size 0
		.amdhsa_uses_dynamic_stack 0
		.amdhsa_system_sgpr_private_segment_wavefront_offset 0
		.amdhsa_system_sgpr_workgroup_id_x 1
		.amdhsa_system_sgpr_workgroup_id_y 0
		.amdhsa_system_sgpr_workgroup_id_z 0
		.amdhsa_system_sgpr_workgroup_info 0
		.amdhsa_system_vgpr_workitem_id 0
		.amdhsa_next_free_vgpr 38
		.amdhsa_next_free_sgpr 16
		.amdhsa_reserve_vcc 1
		.amdhsa_reserve_flat_scratch 0
		.amdhsa_float_round_mode_32 0
		.amdhsa_float_round_mode_16_64 0
		.amdhsa_float_denorm_mode_32 3
		.amdhsa_float_denorm_mode_16_64 3
		.amdhsa_dx10_clamp 1
		.amdhsa_ieee_mode 1
		.amdhsa_fp16_overflow 0
		.amdhsa_exception_fp_ieee_invalid_op 0
		.amdhsa_exception_fp_denorm_src 0
		.amdhsa_exception_fp_ieee_div_zero 0
		.amdhsa_exception_fp_ieee_overflow 0
		.amdhsa_exception_fp_ieee_underflow 0
		.amdhsa_exception_fp_ieee_inexact 0
		.amdhsa_exception_int_div_zero 0
	.end_amdhsa_kernel
	.section	.text._ZN9rocsparseL19gebsrmvn_2xn_kernelILj128ELj9ELj16E21rocsparse_complex_numIfEEEvi20rocsparse_direction_NS_24const_host_device_scalarIT2_EEPKiS8_PKS5_SA_S6_PS5_21rocsparse_index_base_b,"axG",@progbits,_ZN9rocsparseL19gebsrmvn_2xn_kernelILj128ELj9ELj16E21rocsparse_complex_numIfEEEvi20rocsparse_direction_NS_24const_host_device_scalarIT2_EEPKiS8_PKS5_SA_S6_PS5_21rocsparse_index_base_b,comdat
.Lfunc_end189:
	.size	_ZN9rocsparseL19gebsrmvn_2xn_kernelILj128ELj9ELj16E21rocsparse_complex_numIfEEEvi20rocsparse_direction_NS_24const_host_device_scalarIT2_EEPKiS8_PKS5_SA_S6_PS5_21rocsparse_index_base_b, .Lfunc_end189-_ZN9rocsparseL19gebsrmvn_2xn_kernelILj128ELj9ELj16E21rocsparse_complex_numIfEEEvi20rocsparse_direction_NS_24const_host_device_scalarIT2_EEPKiS8_PKS5_SA_S6_PS5_21rocsparse_index_base_b
                                        ; -- End function
	.set _ZN9rocsparseL19gebsrmvn_2xn_kernelILj128ELj9ELj16E21rocsparse_complex_numIfEEEvi20rocsparse_direction_NS_24const_host_device_scalarIT2_EEPKiS8_PKS5_SA_S6_PS5_21rocsparse_index_base_b.num_vgpr, 38
	.set _ZN9rocsparseL19gebsrmvn_2xn_kernelILj128ELj9ELj16E21rocsparse_complex_numIfEEEvi20rocsparse_direction_NS_24const_host_device_scalarIT2_EEPKiS8_PKS5_SA_S6_PS5_21rocsparse_index_base_b.num_agpr, 0
	.set _ZN9rocsparseL19gebsrmvn_2xn_kernelILj128ELj9ELj16E21rocsparse_complex_numIfEEEvi20rocsparse_direction_NS_24const_host_device_scalarIT2_EEPKiS8_PKS5_SA_S6_PS5_21rocsparse_index_base_b.numbered_sgpr, 16
	.set _ZN9rocsparseL19gebsrmvn_2xn_kernelILj128ELj9ELj16E21rocsparse_complex_numIfEEEvi20rocsparse_direction_NS_24const_host_device_scalarIT2_EEPKiS8_PKS5_SA_S6_PS5_21rocsparse_index_base_b.num_named_barrier, 0
	.set _ZN9rocsparseL19gebsrmvn_2xn_kernelILj128ELj9ELj16E21rocsparse_complex_numIfEEEvi20rocsparse_direction_NS_24const_host_device_scalarIT2_EEPKiS8_PKS5_SA_S6_PS5_21rocsparse_index_base_b.private_seg_size, 0
	.set _ZN9rocsparseL19gebsrmvn_2xn_kernelILj128ELj9ELj16E21rocsparse_complex_numIfEEEvi20rocsparse_direction_NS_24const_host_device_scalarIT2_EEPKiS8_PKS5_SA_S6_PS5_21rocsparse_index_base_b.uses_vcc, 1
	.set _ZN9rocsparseL19gebsrmvn_2xn_kernelILj128ELj9ELj16E21rocsparse_complex_numIfEEEvi20rocsparse_direction_NS_24const_host_device_scalarIT2_EEPKiS8_PKS5_SA_S6_PS5_21rocsparse_index_base_b.uses_flat_scratch, 0
	.set _ZN9rocsparseL19gebsrmvn_2xn_kernelILj128ELj9ELj16E21rocsparse_complex_numIfEEEvi20rocsparse_direction_NS_24const_host_device_scalarIT2_EEPKiS8_PKS5_SA_S6_PS5_21rocsparse_index_base_b.has_dyn_sized_stack, 0
	.set _ZN9rocsparseL19gebsrmvn_2xn_kernelILj128ELj9ELj16E21rocsparse_complex_numIfEEEvi20rocsparse_direction_NS_24const_host_device_scalarIT2_EEPKiS8_PKS5_SA_S6_PS5_21rocsparse_index_base_b.has_recursion, 0
	.set _ZN9rocsparseL19gebsrmvn_2xn_kernelILj128ELj9ELj16E21rocsparse_complex_numIfEEEvi20rocsparse_direction_NS_24const_host_device_scalarIT2_EEPKiS8_PKS5_SA_S6_PS5_21rocsparse_index_base_b.has_indirect_call, 0
	.section	.AMDGPU.csdata,"",@progbits
; Kernel info:
; codeLenInByte = 3104
; TotalNumSgprs: 20
; NumVgprs: 38
; ScratchSize: 0
; MemoryBound: 0
; FloatMode: 240
; IeeeMode: 1
; LDSByteSize: 0 bytes/workgroup (compile time only)
; SGPRBlocks: 2
; VGPRBlocks: 9
; NumSGPRsForWavesPerEU: 20
; NumVGPRsForWavesPerEU: 38
; Occupancy: 6
; WaveLimiterHint : 1
; COMPUTE_PGM_RSRC2:SCRATCH_EN: 0
; COMPUTE_PGM_RSRC2:USER_SGPR: 6
; COMPUTE_PGM_RSRC2:TRAP_HANDLER: 0
; COMPUTE_PGM_RSRC2:TGID_X_EN: 1
; COMPUTE_PGM_RSRC2:TGID_Y_EN: 0
; COMPUTE_PGM_RSRC2:TGID_Z_EN: 0
; COMPUTE_PGM_RSRC2:TIDIG_COMP_CNT: 0
	.section	.text._ZN9rocsparseL19gebsrmvn_2xn_kernelILj128ELj9ELj32E21rocsparse_complex_numIfEEEvi20rocsparse_direction_NS_24const_host_device_scalarIT2_EEPKiS8_PKS5_SA_S6_PS5_21rocsparse_index_base_b,"axG",@progbits,_ZN9rocsparseL19gebsrmvn_2xn_kernelILj128ELj9ELj32E21rocsparse_complex_numIfEEEvi20rocsparse_direction_NS_24const_host_device_scalarIT2_EEPKiS8_PKS5_SA_S6_PS5_21rocsparse_index_base_b,comdat
	.globl	_ZN9rocsparseL19gebsrmvn_2xn_kernelILj128ELj9ELj32E21rocsparse_complex_numIfEEEvi20rocsparse_direction_NS_24const_host_device_scalarIT2_EEPKiS8_PKS5_SA_S6_PS5_21rocsparse_index_base_b ; -- Begin function _ZN9rocsparseL19gebsrmvn_2xn_kernelILj128ELj9ELj32E21rocsparse_complex_numIfEEEvi20rocsparse_direction_NS_24const_host_device_scalarIT2_EEPKiS8_PKS5_SA_S6_PS5_21rocsparse_index_base_b
	.p2align	8
	.type	_ZN9rocsparseL19gebsrmvn_2xn_kernelILj128ELj9ELj32E21rocsparse_complex_numIfEEEvi20rocsparse_direction_NS_24const_host_device_scalarIT2_EEPKiS8_PKS5_SA_S6_PS5_21rocsparse_index_base_b,@function
_ZN9rocsparseL19gebsrmvn_2xn_kernelILj128ELj9ELj32E21rocsparse_complex_numIfEEEvi20rocsparse_direction_NS_24const_host_device_scalarIT2_EEPKiS8_PKS5_SA_S6_PS5_21rocsparse_index_base_b: ; @_ZN9rocsparseL19gebsrmvn_2xn_kernelILj128ELj9ELj32E21rocsparse_complex_numIfEEEvi20rocsparse_direction_NS_24const_host_device_scalarIT2_EEPKiS8_PKS5_SA_S6_PS5_21rocsparse_index_base_b
; %bb.0:
	s_load_dwordx2 s[0:1], s[4:5], 0x8
	s_load_dwordx2 s[8:9], s[4:5], 0x30
	;; [unrolled: 1-line block ×3, first 2 shown]
	s_add_u32 s7, s4, 8
	s_addc_u32 s10, s5, 0
	s_add_u32 s11, s4, 48
	s_addc_u32 s12, s5, 0
	s_waitcnt lgkmcnt(0)
	s_bitcmp1_b32 s3, 0
	s_cselect_b32 s1, s10, s1
	s_cselect_b32 s0, s7, s0
	v_mov_b32_e32 v1, s0
	v_mov_b32_e32 v2, s1
	flat_load_dwordx2 v[1:2], v[1:2]
	s_cselect_b32 s0, s12, s9
	s_cselect_b32 s1, s11, s8
	v_mov_b32_e32 v3, s1
	v_mov_b32_e32 v4, s0
	flat_load_dwordx2 v[3:4], v[3:4]
	s_waitcnt vmcnt(0) lgkmcnt(0)
	v_cmp_eq_f32_e32 vcc, 0, v1
	v_cmp_eq_f32_e64 s[0:1], 0, v2
	s_and_b64 s[10:11], vcc, s[0:1]
	s_mov_b64 s[0:1], -1
	s_and_saveexec_b64 s[8:9], s[10:11]
; %bb.1:
	v_cmp_neq_f32_e32 vcc, 1.0, v3
	v_cmp_neq_f32_e64 s[0:1], 0, v4
	s_or_b64 s[0:1], vcc, s[0:1]
	s_orn2_b64 s[0:1], s[0:1], exec
; %bb.2:
	s_or_b64 exec, exec, s[8:9]
	s_and_saveexec_b64 s[8:9], s[0:1]
	s_cbranch_execz .LBB190_21
; %bb.3:
	s_load_dwordx2 s[0:1], s[4:5], 0x0
	v_lshrrev_b32_e32 v5, 5, v0
	v_lshl_or_b32 v5, s6, 2, v5
	s_waitcnt lgkmcnt(0)
	v_cmp_gt_i32_e32 vcc, s0, v5
	s_and_b64 exec, exec, vcc
	s_cbranch_execz .LBB190_21
; %bb.4:
	s_load_dwordx8 s[8:15], s[4:5], 0x10
	v_ashrrev_i32_e32 v6, 31, v5
	v_lshlrev_b64 v[6:7], 2, v[5:6]
	v_and_b32_e32 v0, 31, v0
	s_cmp_lg_u32 s1, 0
	s_waitcnt lgkmcnt(0)
	v_mov_b32_e32 v8, s9
	v_add_co_u32_e32 v6, vcc, s8, v6
	v_addc_co_u32_e32 v7, vcc, v8, v7, vcc
	global_load_dwordx2 v[6:7], v[6:7], off
	s_waitcnt vmcnt(0)
	v_subrev_u32_e32 v6, s2, v6
	v_subrev_u32_e32 v15, s2, v7
	v_add_u32_e32 v6, v6, v0
	v_cmp_lt_i32_e64 s[0:1], v6, v15
	s_cbranch_scc0 .LBB190_10
; %bb.5:
	v_mov_b32_e32 v14, 0
	v_mov_b32_e32 v17, 0
	;; [unrolled: 1-line block ×4, first 2 shown]
	s_and_saveexec_b64 s[6:7], s[0:1]
	s_cbranch_execz .LBB190_9
; %bb.6:
	v_mad_u64_u32 v[7:8], s[8:9], v6, 18, 16
	v_mov_b32_e32 v10, 0
	s_mov_b64 s[8:9], 0
	v_mov_b32_e32 v18, s11
	v_mov_b32_e32 v19, s13
	;; [unrolled: 1-line block ×8, first 2 shown]
.LBB190_7:                              ; =>This Inner Loop Header: Depth=1
	v_ashrrev_i32_e32 v12, 31, v11
	v_lshlrev_b64 v[21:22], 2, v[11:12]
	v_add_u32_e32 v9, -16, v7
	v_lshlrev_b64 v[23:24], 3, v[9:10]
	v_add_co_u32_e32 v27, vcc, s10, v21
	v_addc_co_u32_e32 v28, vcc, v18, v22, vcc
	v_add_co_u32_e32 v31, vcc, s12, v23
	v_addc_co_u32_e32 v32, vcc, v19, v24, vcc
	global_load_dword v12, v[27:28], off
	global_load_dwordx4 v[21:24], v[31:32], off
	v_mov_b32_e32 v8, v10
	v_lshlrev_b64 v[25:26], 3, v[7:8]
	v_add_u32_e32 v9, -14, v7
	v_lshlrev_b64 v[8:9], 3, v[9:10]
	v_add_co_u32_e32 v33, vcc, s12, v25
	v_mov_b32_e32 v30, v10
	v_addc_co_u32_e32 v34, vcc, v19, v26, vcc
	v_add_co_u32_e32 v8, vcc, s12, v8
	v_addc_co_u32_e32 v9, vcc, v19, v9, vcc
	v_add_u32_e32 v11, 32, v11
	s_waitcnt vmcnt(1)
	v_subrev_u32_e32 v12, s2, v12
	v_lshl_add_u32 v29, v12, 3, v12
	v_lshlrev_b64 v[25:26], 3, v[29:30]
	v_add_co_u32_e32 v30, vcc, s14, v25
	v_addc_co_u32_e32 v31, vcc, v20, v26, vcc
	global_load_dwordx4 v[25:28], v[33:34], off
	global_load_dwordx2 v[35:36], v[30:31], off
	s_waitcnt vmcnt(0)
	v_fmac_f32_e32 v17, v21, v35
	v_fmac_f32_e32 v14, v22, v35
	;; [unrolled: 1-line block ×4, first 2 shown]
	v_fma_f32 v12, -v22, v36, v17
	v_fmac_f32_e32 v14, v21, v36
	v_fma_f32 v32, -v24, v36, v16
	v_fmac_f32_e32 v13, v23, v36
	global_load_dwordx4 v[21:24], v[8:9], off
	v_add_u32_e32 v9, 1, v29
	v_lshlrev_b64 v[16:17], 3, v[9:10]
	v_add_u32_e32 v9, -12, v7
	v_add_co_u32_e32 v16, vcc, s14, v16
	v_addc_co_u32_e32 v17, vcc, v20, v17, vcc
	global_load_dwordx2 v[16:17], v[16:17], off
	v_lshlrev_b64 v[30:31], 3, v[9:10]
	v_add_u32_e32 v9, 2, v29
	v_add_co_u32_e32 v30, vcc, s12, v30
	v_addc_co_u32_e32 v31, vcc, v19, v31, vcc
	s_waitcnt vmcnt(0)
	v_fmac_f32_e32 v12, v21, v16
	v_fmac_f32_e32 v14, v22, v16
	;; [unrolled: 1-line block ×4, first 2 shown]
	v_fma_f32 v8, -v22, v17, v12
	v_fmac_f32_e32 v14, v21, v17
	v_fma_f32 v12, -v24, v17, v32
	v_fmac_f32_e32 v13, v23, v17
	v_lshlrev_b64 v[16:17], 3, v[9:10]
	v_add_u32_e32 v9, -10, v7
	v_add_co_u32_e32 v16, vcc, s14, v16
	v_addc_co_u32_e32 v17, vcc, v20, v17, vcc
	global_load_dwordx4 v[21:24], v[30:31], off
	global_load_dwordx2 v[34:35], v[16:17], off
	v_lshlrev_b64 v[32:33], 3, v[9:10]
	v_add_u32_e32 v9, 3, v29
	v_lshlrev_b64 v[16:17], 3, v[9:10]
	v_add_co_u32_e32 v30, vcc, s12, v32
	v_addc_co_u32_e32 v31, vcc, v19, v33, vcc
	v_add_co_u32_e32 v16, vcc, s14, v16
	v_addc_co_u32_e32 v17, vcc, v20, v17, vcc
	v_add_u32_e32 v9, -8, v7
	v_lshlrev_b64 v[32:33], 3, v[9:10]
	v_add_u32_e32 v9, 4, v29
	s_waitcnt vmcnt(0)
	v_fmac_f32_e32 v8, v21, v34
	v_fmac_f32_e32 v14, v22, v34
	v_fmac_f32_e32 v12, v23, v34
	v_fmac_f32_e32 v13, v24, v34
	v_fma_f32 v8, -v22, v35, v8
	v_fmac_f32_e32 v14, v21, v35
	v_fma_f32 v12, -v24, v35, v12
	v_fmac_f32_e32 v13, v23, v35
	global_load_dwordx4 v[21:24], v[30:31], off
	global_load_dwordx2 v[34:35], v[16:17], off
	v_lshlrev_b64 v[16:17], 3, v[9:10]
	v_add_co_u32_e32 v30, vcc, s12, v32
	v_addc_co_u32_e32 v31, vcc, v19, v33, vcc
	v_add_co_u32_e32 v16, vcc, s14, v16
	v_addc_co_u32_e32 v17, vcc, v20, v17, vcc
	v_add_u32_e32 v9, -6, v7
	v_lshlrev_b64 v[32:33], 3, v[9:10]
	v_add_u32_e32 v9, 5, v29
	s_waitcnt vmcnt(0)
	v_fmac_f32_e32 v8, v21, v34
	v_fmac_f32_e32 v14, v22, v34
	v_fmac_f32_e32 v12, v23, v34
	v_fmac_f32_e32 v13, v24, v34
	v_fma_f32 v8, -v22, v35, v8
	v_fmac_f32_e32 v14, v21, v35
	v_fma_f32 v12, -v24, v35, v12
	v_fmac_f32_e32 v13, v23, v35
	global_load_dwordx4 v[21:24], v[30:31], off
	global_load_dwordx2 v[34:35], v[16:17], off
	;; [unrolled: 19-line block ×3, first 2 shown]
	v_lshlrev_b64 v[16:17], 3, v[9:10]
	v_add_co_u32_e32 v30, vcc, s12, v32
	v_add_u32_e32 v9, -2, v7
	v_addc_co_u32_e32 v31, vcc, v19, v33, vcc
	v_add_co_u32_e32 v16, vcc, s14, v16
	v_addc_co_u32_e32 v17, vcc, v20, v17, vcc
	v_add_u32_e32 v7, 0x240, v7
	s_waitcnt vmcnt(0)
	v_fmac_f32_e32 v8, v21, v34
	v_fmac_f32_e32 v14, v22, v34
	v_fma_f32 v8, -v22, v35, v8
	v_fmac_f32_e32 v14, v21, v35
	v_lshlrev_b64 v[21:22], 3, v[9:10]
	v_fmac_f32_e32 v12, v23, v34
	v_fmac_f32_e32 v13, v24, v34
	v_add_co_u32_e32 v34, vcc, s12, v21
	v_fma_f32 v12, -v24, v35, v12
	v_fmac_f32_e32 v13, v23, v35
	v_addc_co_u32_e32 v35, vcc, v19, v22, vcc
	global_load_dwordx4 v[21:24], v[30:31], off
	global_load_dwordx2 v[36:37], v[16:17], off
	v_add_u32_e32 v9, 7, v29
	v_lshlrev_b64 v[32:33], 3, v[9:10]
	v_add_u32_e32 v9, 8, v29
	v_add_co_u32_e32 v16, vcc, s14, v32
	v_addc_co_u32_e32 v17, vcc, v20, v33, vcc
	s_waitcnt vmcnt(0)
	v_fmac_f32_e32 v8, v21, v36
	v_fma_f32 v31, -v22, v37, v8
	v_lshlrev_b64 v[8:9], 3, v[9:10]
	v_fmac_f32_e32 v14, v22, v36
	v_fmac_f32_e32 v12, v23, v36
	;; [unrolled: 1-line block ×4, first 2 shown]
	v_fma_f32 v12, -v24, v37, v12
	v_fmac_f32_e32 v13, v23, v37
	global_load_dwordx4 v[21:24], v[34:35], off
	global_load_dwordx2 v[29:30], v[16:17], off
	v_add_co_u32_e32 v8, vcc, s14, v8
	v_addc_co_u32_e32 v9, vcc, v20, v9, vcc
	global_load_dwordx2 v[8:9], v[8:9], off
	v_cmp_ge_i32_e32 vcc, v11, v15
	s_or_b64 s[8:9], vcc, s[8:9]
	s_waitcnt vmcnt(1)
	v_fmac_f32_e32 v31, v21, v29
	v_fmac_f32_e32 v14, v22, v29
	;; [unrolled: 1-line block ×4, first 2 shown]
	v_fma_f32 v16, -v22, v30, v31
	v_fmac_f32_e32 v14, v21, v30
	v_fma_f32 v12, -v24, v30, v12
	v_fmac_f32_e32 v13, v23, v30
	s_waitcnt vmcnt(0)
	v_fmac_f32_e32 v16, v25, v8
	v_fmac_f32_e32 v14, v26, v8
	;; [unrolled: 1-line block ×4, first 2 shown]
	v_fma_f32 v17, -v26, v9, v16
	v_fmac_f32_e32 v14, v25, v9
	v_fma_f32 v16, -v28, v9, v12
	v_fmac_f32_e32 v13, v27, v9
	s_andn2_b64 exec, exec, s[8:9]
	s_cbranch_execnz .LBB190_7
; %bb.8:
	s_or_b64 exec, exec, s[8:9]
.LBB190_9:
	s_or_b64 exec, exec, s[6:7]
	s_cbranch_execz .LBB190_11
	s_branch .LBB190_16
.LBB190_10:
                                        ; implicit-def: $vgpr14
                                        ; implicit-def: $vgpr17
                                        ; implicit-def: $vgpr16
                                        ; implicit-def: $vgpr13
.LBB190_11:
	v_mov_b32_e32 v14, 0
	v_mov_b32_e32 v17, 0
	;; [unrolled: 1-line block ×4, first 2 shown]
	s_and_saveexec_b64 s[6:7], s[0:1]
	s_cbranch_execz .LBB190_15
; %bb.12:
	v_mad_u64_u32 v[8:9], s[0:1], v6, 18, 17
	v_mov_b32_e32 v11, 0
	s_mov_b64 s[0:1], 0
	v_mov_b32_e32 v12, s11
	v_mov_b32_e32 v18, s13
	;; [unrolled: 1-line block ×7, first 2 shown]
.LBB190_13:                             ; =>This Inner Loop Header: Depth=1
	v_ashrrev_i32_e32 v7, 31, v6
	v_lshlrev_b64 v[22:23], 2, v[6:7]
	v_subrev_u32_e32 v10, 17, v8
	v_add_co_u32_e32 v22, vcc, s10, v22
	v_addc_co_u32_e32 v23, vcc, v12, v23, vcc
	global_load_dword v7, v[22:23], off
	v_lshlrev_b64 v[24:25], 3, v[10:11]
	v_add_u32_e32 v20, -8, v8
	v_mov_b32_e32 v21, v11
	v_lshlrev_b64 v[20:21], 3, v[20:21]
	v_add_co_u32_e32 v24, vcc, s12, v24
	v_mov_b32_e32 v9, v11
	v_addc_co_u32_e32 v25, vcc, v18, v25, vcc
	v_lshlrev_b64 v[9:10], 3, v[8:9]
	v_add_co_u32_e32 v20, vcc, s12, v20
	v_addc_co_u32_e32 v21, vcc, v18, v21, vcc
	v_add_co_u32_e32 v26, vcc, s12, v9
	v_addc_co_u32_e32 v27, vcc, v18, v10, vcc
	v_mov_b32_e32 v10, v11
	v_add_u32_e32 v6, 32, v6
	s_waitcnt vmcnt(0)
	v_subrev_u32_e32 v7, s2, v7
	v_lshl_add_u32 v9, v7, 3, v7
	v_lshlrev_b64 v[22:23], 3, v[9:10]
	v_add_u32_e32 v10, 1, v9
	v_add_co_u32_e32 v22, vcc, s14, v22
	v_addc_co_u32_e32 v23, vcc, v19, v23, vcc
	global_load_dwordx2 v[30:31], v[20:21], off
	global_load_dwordx2 v[32:33], v[22:23], off
	v_lshlrev_b64 v[28:29], 3, v[10:11]
	global_load_dwordx4 v[20:23], v[24:25], off
	v_add_co_u32_e32 v28, vcc, s14, v28
	v_addc_co_u32_e32 v29, vcc, v19, v29, vcc
	v_add_u32_e32 v10, -7, v8
	s_waitcnt vmcnt(1)
	v_fmac_f32_e32 v16, v30, v32
	v_fma_f32 v7, -v31, v33, v16
	s_waitcnt vmcnt(0)
	v_fmac_f32_e32 v17, v20, v32
	v_fmac_f32_e32 v14, v21, v32
	v_fma_f32 v21, -v21, v33, v17
	global_load_dwordx2 v[16:17], v[28:29], off
	v_fmac_f32_e32 v13, v31, v32
	v_fmac_f32_e32 v13, v30, v33
	;; [unrolled: 1-line block ×3, first 2 shown]
	s_waitcnt vmcnt(0)
	v_fmac_f32_e32 v21, v22, v16
	v_fma_f32 v30, -v23, v17, v21
	v_lshlrev_b64 v[20:21], 3, v[10:11]
	v_fmac_f32_e32 v14, v23, v16
	v_add_u32_e32 v10, -15, v8
	v_fmac_f32_e32 v14, v22, v17
	v_add_co_u32_e32 v20, vcc, s12, v20
	v_lshlrev_b64 v[22:23], 3, v[10:11]
	v_addc_co_u32_e32 v21, vcc, v18, v21, vcc
	v_add_co_u32_e32 v22, vcc, s12, v22
	v_addc_co_u32_e32 v23, vcc, v18, v23, vcc
	global_load_dwordx2 v[24:25], v[20:21], off
	global_load_dwordx2 v[28:29], v[22:23], off
	v_add_u32_e32 v10, 2, v9
	s_waitcnt vmcnt(1)
	v_fmac_f32_e32 v7, v24, v16
	v_fmac_f32_e32 v13, v25, v16
	v_fma_f32 v7, -v25, v17, v7
	v_fmac_f32_e32 v13, v24, v17
	v_lshlrev_b64 v[16:17], 3, v[10:11]
	v_add_u32_e32 v10, -6, v8
	v_add_co_u32_e32 v16, vcc, s14, v16
	v_addc_co_u32_e32 v17, vcc, v19, v17, vcc
	global_load_dwordx2 v[16:17], v[16:17], off
	v_lshlrev_b64 v[20:21], 3, v[10:11]
	v_add_u32_e32 v10, -14, v8
	v_add_co_u32_e32 v20, vcc, s12, v20
	v_lshlrev_b64 v[22:23], 3, v[10:11]
	v_addc_co_u32_e32 v21, vcc, v18, v21, vcc
	v_add_co_u32_e32 v22, vcc, s12, v22
	v_addc_co_u32_e32 v23, vcc, v18, v23, vcc
	v_add_u32_e32 v10, 3, v9
	s_waitcnt vmcnt(0)
	v_fmac_f32_e32 v30, v28, v16
	v_fmac_f32_e32 v14, v29, v16
	v_fma_f32 v30, -v29, v17, v30
	v_fmac_f32_e32 v14, v28, v17
	global_load_dwordx2 v[24:25], v[20:21], off
	global_load_dwordx2 v[28:29], v[22:23], off
	s_waitcnt vmcnt(1)
	v_fmac_f32_e32 v7, v24, v16
	v_fmac_f32_e32 v13, v25, v16
	v_fma_f32 v7, -v25, v17, v7
	v_fmac_f32_e32 v13, v24, v17
	v_lshlrev_b64 v[16:17], 3, v[10:11]
	v_add_u32_e32 v10, -5, v8
	v_add_co_u32_e32 v16, vcc, s14, v16
	v_addc_co_u32_e32 v17, vcc, v19, v17, vcc
	global_load_dwordx2 v[16:17], v[16:17], off
	v_lshlrev_b64 v[20:21], 3, v[10:11]
	v_add_u32_e32 v10, -13, v8
	v_add_co_u32_e32 v20, vcc, s12, v20
	v_lshlrev_b64 v[22:23], 3, v[10:11]
	v_addc_co_u32_e32 v21, vcc, v18, v21, vcc
	v_add_co_u32_e32 v22, vcc, s12, v22
	v_addc_co_u32_e32 v23, vcc, v18, v23, vcc
	v_add_u32_e32 v10, 4, v9
	s_waitcnt vmcnt(0)
	v_fmac_f32_e32 v30, v28, v16
	v_fmac_f32_e32 v14, v29, v16
	v_fma_f32 v30, -v29, v17, v30
	v_fmac_f32_e32 v14, v28, v17
	global_load_dwordx2 v[24:25], v[20:21], off
	global_load_dwordx2 v[28:29], v[22:23], off
	;; [unrolled: 25-line block ×5, first 2 shown]
	s_waitcnt vmcnt(1)
	v_fmac_f32_e32 v7, v24, v16
	v_fmac_f32_e32 v13, v25, v16
	v_fma_f32 v7, -v25, v17, v7
	v_fmac_f32_e32 v13, v24, v17
	v_lshlrev_b64 v[16:17], 3, v[10:11]
	v_add_u32_e32 v10, -1, v8
	v_add_co_u32_e32 v16, vcc, s14, v16
	v_addc_co_u32_e32 v17, vcc, v19, v17, vcc
	global_load_dwordx2 v[16:17], v[16:17], off
	v_lshlrev_b64 v[20:21], 3, v[10:11]
	v_add_u32_e32 v10, -9, v8
	v_lshlrev_b64 v[22:23], 3, v[10:11]
	v_add_co_u32_e32 v20, vcc, s12, v20
	v_add_u32_e32 v10, 8, v9
	v_addc_co_u32_e32 v21, vcc, v18, v21, vcc
	v_add_co_u32_e32 v22, vcc, s12, v22
	v_lshlrev_b64 v[9:10], 3, v[10:11]
	v_addc_co_u32_e32 v23, vcc, v18, v23, vcc
	v_add_co_u32_e32 v9, vcc, s14, v9
	v_addc_co_u32_e32 v10, vcc, v19, v10, vcc
	v_cmp_ge_i32_e32 vcc, v6, v15
	s_or_b64 s[0:1], vcc, s[0:1]
	v_add_u32_e32 v8, 0x240, v8
	s_waitcnt vmcnt(0)
	v_fmac_f32_e32 v30, v28, v16
	v_fmac_f32_e32 v14, v29, v16
	v_fma_f32 v34, -v29, v17, v30
	v_fmac_f32_e32 v14, v28, v17
	global_load_dwordx2 v[24:25], v[26:27], off
	global_load_dwordx2 v[28:29], v[20:21], off
	;; [unrolled: 1-line block ×4, first 2 shown]
	s_waitcnt vmcnt(2)
	v_fmac_f32_e32 v7, v28, v16
	v_fmac_f32_e32 v13, v29, v16
	v_fma_f32 v7, -v29, v17, v7
	v_fmac_f32_e32 v13, v28, v17
	s_waitcnt vmcnt(0)
	v_fmac_f32_e32 v34, v30, v32
	v_fmac_f32_e32 v14, v31, v32
	;; [unrolled: 1-line block ×4, first 2 shown]
	v_fma_f32 v17, -v31, v33, v34
	v_fmac_f32_e32 v14, v30, v33
	v_fma_f32 v16, -v25, v33, v7
	v_fmac_f32_e32 v13, v24, v33
	s_andn2_b64 exec, exec, s[0:1]
	s_cbranch_execnz .LBB190_13
; %bb.14:
	s_or_b64 exec, exec, s[0:1]
.LBB190_15:
	s_or_b64 exec, exec, s[6:7]
.LBB190_16:
	v_mov_b32_dpp v6, v17 row_shr:1 row_mask:0xf bank_mask:0xf
	v_mov_b32_dpp v8, v14 row_shr:1 row_mask:0xf bank_mask:0xf
	v_mov_b32_dpp v10, v16 row_shr:1 row_mask:0xf bank_mask:0xf
	v_mov_b32_dpp v12, v13 row_shr:1 row_mask:0xf bank_mask:0xf
	v_add_f32_e32 v6, v17, v6
	v_add_f32_e32 v8, v14, v8
	v_add_f32_e32 v10, v16, v10
	v_add_f32_e32 v12, v13, v12
	v_mov_b32_dpp v7, v6 row_shr:2 row_mask:0xf bank_mask:0xf
	v_mov_b32_dpp v9, v8 row_shr:2 row_mask:0xf bank_mask:0xf
	v_mov_b32_dpp v11, v10 row_shr:2 row_mask:0xf bank_mask:0xf
	v_mov_b32_dpp v13, v12 row_shr:2 row_mask:0xf bank_mask:0xf
	v_add_f32_e32 v6, v6, v7
	v_add_f32_e32 v8, v8, v9
	v_add_f32_e32 v10, v10, v11
	v_add_f32_e32 v12, v12, v13
	;; [unrolled: 8-line block ×4, first 2 shown]
	v_mov_b32_dpp v7, v6 row_bcast:15 row_mask:0xa bank_mask:0xf
	v_mov_b32_dpp v9, v8 row_bcast:15 row_mask:0xa bank_mask:0xf
	;; [unrolled: 1-line block ×4, first 2 shown]
	v_cmp_eq_u32_e32 vcc, 31, v0
	s_and_b64 exec, exec, vcc
	s_cbranch_execz .LBB190_21
; %bb.17:
	s_load_dwordx2 s[2:3], s[4:5], 0x38
	v_cmp_eq_f32_e32 vcc, 0, v3
	v_cmp_eq_f32_e64 s[0:1], 0, v4
	v_add_f32_e32 v7, v6, v7
	v_add_f32_e32 v8, v8, v9
	;; [unrolled: 1-line block ×4, first 2 shown]
	s_and_b64 s[0:1], vcc, s[0:1]
	s_and_saveexec_b64 s[4:5], s[0:1]
	s_xor_b64 s[0:1], exec, s[4:5]
	s_cbranch_execz .LBB190_19
; %bb.18:
	v_mul_f32_e64 v3, v8, -v2
	v_mul_f32_e32 v4, v1, v8
	v_fmac_f32_e32 v3, v1, v7
	v_fmac_f32_e32 v4, v2, v7
	v_lshlrev_b32_e32 v7, 1, v5
	v_ashrrev_i32_e32 v8, 31, v7
	v_lshlrev_b64 v[7:8], 3, v[7:8]
	s_waitcnt lgkmcnt(0)
	v_mov_b32_e32 v5, s3
	v_add_co_u32_e32 v7, vcc, s2, v7
	v_addc_co_u32_e32 v8, vcc, v5, v8, vcc
	v_mul_f32_e64 v5, v6, -v2
	v_mul_f32_e32 v6, v1, v6
	v_fmac_f32_e32 v5, v1, v0
	v_fmac_f32_e32 v6, v2, v0
	global_store_dwordx4 v[7:8], v[3:6], off
                                        ; implicit-def: $vgpr5
                                        ; implicit-def: $vgpr1_vgpr2
                                        ; implicit-def: $vgpr8
                                        ; implicit-def: $vgpr7
                                        ; implicit-def: $vgpr3_vgpr4
                                        ; implicit-def: $vgpr6
                                        ; implicit-def: $vgpr0
.LBB190_19:
	s_andn2_saveexec_b64 s[0:1], s[0:1]
	s_cbranch_execz .LBB190_21
; %bb.20:
	v_lshlrev_b32_e32 v9, 1, v5
	v_ashrrev_i32_e32 v10, 31, v9
	v_lshlrev_b64 v[9:10], 3, v[9:10]
	s_waitcnt lgkmcnt(0)
	v_mov_b32_e32 v5, s3
	v_add_co_u32_e32 v17, vcc, s2, v9
	v_addc_co_u32_e32 v18, vcc, v5, v10, vcc
	global_load_dwordx4 v[9:12], v[17:18], off
	v_mul_f32_e64 v5, v8, -v2
	v_mul_f32_e32 v14, v1, v8
	v_mul_f32_e64 v8, v6, -v2
	v_mul_f32_e32 v16, v1, v6
	v_fmac_f32_e32 v5, v1, v7
	v_fmac_f32_e32 v14, v2, v7
	;; [unrolled: 1-line block ×4, first 2 shown]
	s_waitcnt vmcnt(0)
	v_fmac_f32_e32 v5, v3, v9
	v_fmac_f32_e32 v14, v4, v9
	;; [unrolled: 1-line block ×4, first 2 shown]
	v_fma_f32 v13, -v4, v10, v5
	v_fmac_f32_e32 v14, v3, v10
	v_fma_f32 v15, -v4, v12, v8
	v_fmac_f32_e32 v16, v3, v12
	global_store_dwordx4 v[17:18], v[13:16], off
.LBB190_21:
	s_endpgm
	.section	.rodata,"a",@progbits
	.p2align	6, 0x0
	.amdhsa_kernel _ZN9rocsparseL19gebsrmvn_2xn_kernelILj128ELj9ELj32E21rocsparse_complex_numIfEEEvi20rocsparse_direction_NS_24const_host_device_scalarIT2_EEPKiS8_PKS5_SA_S6_PS5_21rocsparse_index_base_b
		.amdhsa_group_segment_fixed_size 0
		.amdhsa_private_segment_fixed_size 0
		.amdhsa_kernarg_size 72
		.amdhsa_user_sgpr_count 6
		.amdhsa_user_sgpr_private_segment_buffer 1
		.amdhsa_user_sgpr_dispatch_ptr 0
		.amdhsa_user_sgpr_queue_ptr 0
		.amdhsa_user_sgpr_kernarg_segment_ptr 1
		.amdhsa_user_sgpr_dispatch_id 0
		.amdhsa_user_sgpr_flat_scratch_init 0
		.amdhsa_user_sgpr_private_segment_size 0
		.amdhsa_uses_dynamic_stack 0
		.amdhsa_system_sgpr_private_segment_wavefront_offset 0
		.amdhsa_system_sgpr_workgroup_id_x 1
		.amdhsa_system_sgpr_workgroup_id_y 0
		.amdhsa_system_sgpr_workgroup_id_z 0
		.amdhsa_system_sgpr_workgroup_info 0
		.amdhsa_system_vgpr_workitem_id 0
		.amdhsa_next_free_vgpr 38
		.amdhsa_next_free_sgpr 16
		.amdhsa_reserve_vcc 1
		.amdhsa_reserve_flat_scratch 0
		.amdhsa_float_round_mode_32 0
		.amdhsa_float_round_mode_16_64 0
		.amdhsa_float_denorm_mode_32 3
		.amdhsa_float_denorm_mode_16_64 3
		.amdhsa_dx10_clamp 1
		.amdhsa_ieee_mode 1
		.amdhsa_fp16_overflow 0
		.amdhsa_exception_fp_ieee_invalid_op 0
		.amdhsa_exception_fp_denorm_src 0
		.amdhsa_exception_fp_ieee_div_zero 0
		.amdhsa_exception_fp_ieee_overflow 0
		.amdhsa_exception_fp_ieee_underflow 0
		.amdhsa_exception_fp_ieee_inexact 0
		.amdhsa_exception_int_div_zero 0
	.end_amdhsa_kernel
	.section	.text._ZN9rocsparseL19gebsrmvn_2xn_kernelILj128ELj9ELj32E21rocsparse_complex_numIfEEEvi20rocsparse_direction_NS_24const_host_device_scalarIT2_EEPKiS8_PKS5_SA_S6_PS5_21rocsparse_index_base_b,"axG",@progbits,_ZN9rocsparseL19gebsrmvn_2xn_kernelILj128ELj9ELj32E21rocsparse_complex_numIfEEEvi20rocsparse_direction_NS_24const_host_device_scalarIT2_EEPKiS8_PKS5_SA_S6_PS5_21rocsparse_index_base_b,comdat
.Lfunc_end190:
	.size	_ZN9rocsparseL19gebsrmvn_2xn_kernelILj128ELj9ELj32E21rocsparse_complex_numIfEEEvi20rocsparse_direction_NS_24const_host_device_scalarIT2_EEPKiS8_PKS5_SA_S6_PS5_21rocsparse_index_base_b, .Lfunc_end190-_ZN9rocsparseL19gebsrmvn_2xn_kernelILj128ELj9ELj32E21rocsparse_complex_numIfEEEvi20rocsparse_direction_NS_24const_host_device_scalarIT2_EEPKiS8_PKS5_SA_S6_PS5_21rocsparse_index_base_b
                                        ; -- End function
	.set _ZN9rocsparseL19gebsrmvn_2xn_kernelILj128ELj9ELj32E21rocsparse_complex_numIfEEEvi20rocsparse_direction_NS_24const_host_device_scalarIT2_EEPKiS8_PKS5_SA_S6_PS5_21rocsparse_index_base_b.num_vgpr, 38
	.set _ZN9rocsparseL19gebsrmvn_2xn_kernelILj128ELj9ELj32E21rocsparse_complex_numIfEEEvi20rocsparse_direction_NS_24const_host_device_scalarIT2_EEPKiS8_PKS5_SA_S6_PS5_21rocsparse_index_base_b.num_agpr, 0
	.set _ZN9rocsparseL19gebsrmvn_2xn_kernelILj128ELj9ELj32E21rocsparse_complex_numIfEEEvi20rocsparse_direction_NS_24const_host_device_scalarIT2_EEPKiS8_PKS5_SA_S6_PS5_21rocsparse_index_base_b.numbered_sgpr, 16
	.set _ZN9rocsparseL19gebsrmvn_2xn_kernelILj128ELj9ELj32E21rocsparse_complex_numIfEEEvi20rocsparse_direction_NS_24const_host_device_scalarIT2_EEPKiS8_PKS5_SA_S6_PS5_21rocsparse_index_base_b.num_named_barrier, 0
	.set _ZN9rocsparseL19gebsrmvn_2xn_kernelILj128ELj9ELj32E21rocsparse_complex_numIfEEEvi20rocsparse_direction_NS_24const_host_device_scalarIT2_EEPKiS8_PKS5_SA_S6_PS5_21rocsparse_index_base_b.private_seg_size, 0
	.set _ZN9rocsparseL19gebsrmvn_2xn_kernelILj128ELj9ELj32E21rocsparse_complex_numIfEEEvi20rocsparse_direction_NS_24const_host_device_scalarIT2_EEPKiS8_PKS5_SA_S6_PS5_21rocsparse_index_base_b.uses_vcc, 1
	.set _ZN9rocsparseL19gebsrmvn_2xn_kernelILj128ELj9ELj32E21rocsparse_complex_numIfEEEvi20rocsparse_direction_NS_24const_host_device_scalarIT2_EEPKiS8_PKS5_SA_S6_PS5_21rocsparse_index_base_b.uses_flat_scratch, 0
	.set _ZN9rocsparseL19gebsrmvn_2xn_kernelILj128ELj9ELj32E21rocsparse_complex_numIfEEEvi20rocsparse_direction_NS_24const_host_device_scalarIT2_EEPKiS8_PKS5_SA_S6_PS5_21rocsparse_index_base_b.has_dyn_sized_stack, 0
	.set _ZN9rocsparseL19gebsrmvn_2xn_kernelILj128ELj9ELj32E21rocsparse_complex_numIfEEEvi20rocsparse_direction_NS_24const_host_device_scalarIT2_EEPKiS8_PKS5_SA_S6_PS5_21rocsparse_index_base_b.has_recursion, 0
	.set _ZN9rocsparseL19gebsrmvn_2xn_kernelILj128ELj9ELj32E21rocsparse_complex_numIfEEEvi20rocsparse_direction_NS_24const_host_device_scalarIT2_EEPKiS8_PKS5_SA_S6_PS5_21rocsparse_index_base_b.has_indirect_call, 0
	.section	.AMDGPU.csdata,"",@progbits
; Kernel info:
; codeLenInByte = 3152
; TotalNumSgprs: 20
; NumVgprs: 38
; ScratchSize: 0
; MemoryBound: 0
; FloatMode: 240
; IeeeMode: 1
; LDSByteSize: 0 bytes/workgroup (compile time only)
; SGPRBlocks: 2
; VGPRBlocks: 9
; NumSGPRsForWavesPerEU: 20
; NumVGPRsForWavesPerEU: 38
; Occupancy: 6
; WaveLimiterHint : 1
; COMPUTE_PGM_RSRC2:SCRATCH_EN: 0
; COMPUTE_PGM_RSRC2:USER_SGPR: 6
; COMPUTE_PGM_RSRC2:TRAP_HANDLER: 0
; COMPUTE_PGM_RSRC2:TGID_X_EN: 1
; COMPUTE_PGM_RSRC2:TGID_Y_EN: 0
; COMPUTE_PGM_RSRC2:TGID_Z_EN: 0
; COMPUTE_PGM_RSRC2:TIDIG_COMP_CNT: 0
	.section	.text._ZN9rocsparseL19gebsrmvn_2xn_kernelILj128ELj9ELj64E21rocsparse_complex_numIfEEEvi20rocsparse_direction_NS_24const_host_device_scalarIT2_EEPKiS8_PKS5_SA_S6_PS5_21rocsparse_index_base_b,"axG",@progbits,_ZN9rocsparseL19gebsrmvn_2xn_kernelILj128ELj9ELj64E21rocsparse_complex_numIfEEEvi20rocsparse_direction_NS_24const_host_device_scalarIT2_EEPKiS8_PKS5_SA_S6_PS5_21rocsparse_index_base_b,comdat
	.globl	_ZN9rocsparseL19gebsrmvn_2xn_kernelILj128ELj9ELj64E21rocsparse_complex_numIfEEEvi20rocsparse_direction_NS_24const_host_device_scalarIT2_EEPKiS8_PKS5_SA_S6_PS5_21rocsparse_index_base_b ; -- Begin function _ZN9rocsparseL19gebsrmvn_2xn_kernelILj128ELj9ELj64E21rocsparse_complex_numIfEEEvi20rocsparse_direction_NS_24const_host_device_scalarIT2_EEPKiS8_PKS5_SA_S6_PS5_21rocsparse_index_base_b
	.p2align	8
	.type	_ZN9rocsparseL19gebsrmvn_2xn_kernelILj128ELj9ELj64E21rocsparse_complex_numIfEEEvi20rocsparse_direction_NS_24const_host_device_scalarIT2_EEPKiS8_PKS5_SA_S6_PS5_21rocsparse_index_base_b,@function
_ZN9rocsparseL19gebsrmvn_2xn_kernelILj128ELj9ELj64E21rocsparse_complex_numIfEEEvi20rocsparse_direction_NS_24const_host_device_scalarIT2_EEPKiS8_PKS5_SA_S6_PS5_21rocsparse_index_base_b: ; @_ZN9rocsparseL19gebsrmvn_2xn_kernelILj128ELj9ELj64E21rocsparse_complex_numIfEEEvi20rocsparse_direction_NS_24const_host_device_scalarIT2_EEPKiS8_PKS5_SA_S6_PS5_21rocsparse_index_base_b
; %bb.0:
	s_load_dwordx2 s[0:1], s[4:5], 0x8
	s_load_dwordx2 s[8:9], s[4:5], 0x30
	;; [unrolled: 1-line block ×3, first 2 shown]
	s_add_u32 s7, s4, 8
	s_addc_u32 s10, s5, 0
	s_add_u32 s11, s4, 48
	s_addc_u32 s12, s5, 0
	s_waitcnt lgkmcnt(0)
	s_bitcmp1_b32 s3, 0
	s_cselect_b32 s1, s10, s1
	s_cselect_b32 s0, s7, s0
	v_mov_b32_e32 v1, s0
	v_mov_b32_e32 v2, s1
	flat_load_dwordx2 v[1:2], v[1:2]
	s_cselect_b32 s0, s12, s9
	s_cselect_b32 s1, s11, s8
	v_mov_b32_e32 v3, s1
	v_mov_b32_e32 v4, s0
	flat_load_dwordx2 v[3:4], v[3:4]
	s_waitcnt vmcnt(0) lgkmcnt(0)
	v_cmp_eq_f32_e32 vcc, 0, v1
	v_cmp_eq_f32_e64 s[0:1], 0, v2
	s_and_b64 s[10:11], vcc, s[0:1]
	s_mov_b64 s[0:1], -1
	s_and_saveexec_b64 s[8:9], s[10:11]
; %bb.1:
	v_cmp_neq_f32_e32 vcc, 1.0, v3
	v_cmp_neq_f32_e64 s[0:1], 0, v4
	s_or_b64 s[0:1], vcc, s[0:1]
	s_orn2_b64 s[0:1], s[0:1], exec
; %bb.2:
	s_or_b64 exec, exec, s[8:9]
	s_and_saveexec_b64 s[8:9], s[0:1]
	s_cbranch_execz .LBB191_21
; %bb.3:
	s_load_dwordx2 s[0:1], s[4:5], 0x0
	v_lshrrev_b32_e32 v5, 6, v0
	v_lshl_or_b32 v5, s6, 1, v5
	s_waitcnt lgkmcnt(0)
	v_cmp_gt_i32_e32 vcc, s0, v5
	s_and_b64 exec, exec, vcc
	s_cbranch_execz .LBB191_21
; %bb.4:
	s_load_dwordx8 s[8:15], s[4:5], 0x10
	v_ashrrev_i32_e32 v6, 31, v5
	v_lshlrev_b64 v[6:7], 2, v[5:6]
	v_and_b32_e32 v0, 63, v0
	s_cmp_lg_u32 s1, 0
	s_waitcnt lgkmcnt(0)
	v_mov_b32_e32 v8, s9
	v_add_co_u32_e32 v6, vcc, s8, v6
	v_addc_co_u32_e32 v7, vcc, v8, v7, vcc
	global_load_dwordx2 v[6:7], v[6:7], off
	s_waitcnt vmcnt(0)
	v_subrev_u32_e32 v6, s2, v6
	v_subrev_u32_e32 v15, s2, v7
	v_add_u32_e32 v6, v6, v0
	v_cmp_lt_i32_e64 s[0:1], v6, v15
	s_cbranch_scc0 .LBB191_10
; %bb.5:
	v_mov_b32_e32 v14, 0
	v_mov_b32_e32 v17, 0
	;; [unrolled: 1-line block ×4, first 2 shown]
	s_and_saveexec_b64 s[6:7], s[0:1]
	s_cbranch_execz .LBB191_9
; %bb.6:
	v_mad_u64_u32 v[7:8], s[8:9], v6, 18, 16
	v_mov_b32_e32 v10, 0
	s_mov_b64 s[8:9], 0
	v_mov_b32_e32 v18, s11
	v_mov_b32_e32 v19, s13
	;; [unrolled: 1-line block ×8, first 2 shown]
.LBB191_7:                              ; =>This Inner Loop Header: Depth=1
	v_ashrrev_i32_e32 v12, 31, v11
	v_lshlrev_b64 v[21:22], 2, v[11:12]
	v_add_u32_e32 v9, -16, v7
	v_lshlrev_b64 v[23:24], 3, v[9:10]
	v_add_co_u32_e32 v27, vcc, s10, v21
	v_addc_co_u32_e32 v28, vcc, v18, v22, vcc
	v_add_co_u32_e32 v31, vcc, s12, v23
	v_addc_co_u32_e32 v32, vcc, v19, v24, vcc
	global_load_dword v12, v[27:28], off
	global_load_dwordx4 v[21:24], v[31:32], off
	v_mov_b32_e32 v8, v10
	v_lshlrev_b64 v[25:26], 3, v[7:8]
	v_add_u32_e32 v9, -14, v7
	v_lshlrev_b64 v[8:9], 3, v[9:10]
	v_add_co_u32_e32 v33, vcc, s12, v25
	v_mov_b32_e32 v30, v10
	v_addc_co_u32_e32 v34, vcc, v19, v26, vcc
	v_add_co_u32_e32 v8, vcc, s12, v8
	v_addc_co_u32_e32 v9, vcc, v19, v9, vcc
	v_add_u32_e32 v11, 64, v11
	s_waitcnt vmcnt(1)
	v_subrev_u32_e32 v12, s2, v12
	v_lshl_add_u32 v29, v12, 3, v12
	v_lshlrev_b64 v[25:26], 3, v[29:30]
	v_add_co_u32_e32 v30, vcc, s14, v25
	v_addc_co_u32_e32 v31, vcc, v20, v26, vcc
	global_load_dwordx4 v[25:28], v[33:34], off
	global_load_dwordx2 v[35:36], v[30:31], off
	s_waitcnt vmcnt(0)
	v_fmac_f32_e32 v17, v21, v35
	v_fmac_f32_e32 v14, v22, v35
	;; [unrolled: 1-line block ×4, first 2 shown]
	v_fma_f32 v12, -v22, v36, v17
	v_fmac_f32_e32 v14, v21, v36
	v_fma_f32 v32, -v24, v36, v16
	v_fmac_f32_e32 v13, v23, v36
	global_load_dwordx4 v[21:24], v[8:9], off
	v_add_u32_e32 v9, 1, v29
	v_lshlrev_b64 v[16:17], 3, v[9:10]
	v_add_u32_e32 v9, -12, v7
	v_add_co_u32_e32 v16, vcc, s14, v16
	v_addc_co_u32_e32 v17, vcc, v20, v17, vcc
	global_load_dwordx2 v[16:17], v[16:17], off
	v_lshlrev_b64 v[30:31], 3, v[9:10]
	v_add_u32_e32 v9, 2, v29
	v_add_co_u32_e32 v30, vcc, s12, v30
	v_addc_co_u32_e32 v31, vcc, v19, v31, vcc
	s_waitcnt vmcnt(0)
	v_fmac_f32_e32 v12, v21, v16
	v_fmac_f32_e32 v14, v22, v16
	;; [unrolled: 1-line block ×4, first 2 shown]
	v_fma_f32 v8, -v22, v17, v12
	v_fmac_f32_e32 v14, v21, v17
	v_fma_f32 v12, -v24, v17, v32
	v_fmac_f32_e32 v13, v23, v17
	v_lshlrev_b64 v[16:17], 3, v[9:10]
	v_add_u32_e32 v9, -10, v7
	v_add_co_u32_e32 v16, vcc, s14, v16
	v_addc_co_u32_e32 v17, vcc, v20, v17, vcc
	global_load_dwordx4 v[21:24], v[30:31], off
	global_load_dwordx2 v[34:35], v[16:17], off
	v_lshlrev_b64 v[32:33], 3, v[9:10]
	v_add_u32_e32 v9, 3, v29
	v_lshlrev_b64 v[16:17], 3, v[9:10]
	v_add_co_u32_e32 v30, vcc, s12, v32
	v_addc_co_u32_e32 v31, vcc, v19, v33, vcc
	v_add_co_u32_e32 v16, vcc, s14, v16
	v_addc_co_u32_e32 v17, vcc, v20, v17, vcc
	v_add_u32_e32 v9, -8, v7
	v_lshlrev_b64 v[32:33], 3, v[9:10]
	v_add_u32_e32 v9, 4, v29
	s_waitcnt vmcnt(0)
	v_fmac_f32_e32 v8, v21, v34
	v_fmac_f32_e32 v14, v22, v34
	v_fmac_f32_e32 v12, v23, v34
	v_fmac_f32_e32 v13, v24, v34
	v_fma_f32 v8, -v22, v35, v8
	v_fmac_f32_e32 v14, v21, v35
	v_fma_f32 v12, -v24, v35, v12
	v_fmac_f32_e32 v13, v23, v35
	global_load_dwordx4 v[21:24], v[30:31], off
	global_load_dwordx2 v[34:35], v[16:17], off
	v_lshlrev_b64 v[16:17], 3, v[9:10]
	v_add_co_u32_e32 v30, vcc, s12, v32
	v_addc_co_u32_e32 v31, vcc, v19, v33, vcc
	v_add_co_u32_e32 v16, vcc, s14, v16
	v_addc_co_u32_e32 v17, vcc, v20, v17, vcc
	v_add_u32_e32 v9, -6, v7
	v_lshlrev_b64 v[32:33], 3, v[9:10]
	v_add_u32_e32 v9, 5, v29
	s_waitcnt vmcnt(0)
	v_fmac_f32_e32 v8, v21, v34
	v_fmac_f32_e32 v14, v22, v34
	v_fmac_f32_e32 v12, v23, v34
	v_fmac_f32_e32 v13, v24, v34
	v_fma_f32 v8, -v22, v35, v8
	v_fmac_f32_e32 v14, v21, v35
	v_fma_f32 v12, -v24, v35, v12
	v_fmac_f32_e32 v13, v23, v35
	global_load_dwordx4 v[21:24], v[30:31], off
	global_load_dwordx2 v[34:35], v[16:17], off
	;; [unrolled: 19-line block ×3, first 2 shown]
	v_lshlrev_b64 v[16:17], 3, v[9:10]
	v_add_co_u32_e32 v30, vcc, s12, v32
	v_add_u32_e32 v9, -2, v7
	v_addc_co_u32_e32 v31, vcc, v19, v33, vcc
	v_add_co_u32_e32 v16, vcc, s14, v16
	v_addc_co_u32_e32 v17, vcc, v20, v17, vcc
	v_add_u32_e32 v7, 0x480, v7
	s_waitcnt vmcnt(0)
	v_fmac_f32_e32 v8, v21, v34
	v_fmac_f32_e32 v14, v22, v34
	v_fma_f32 v8, -v22, v35, v8
	v_fmac_f32_e32 v14, v21, v35
	v_lshlrev_b64 v[21:22], 3, v[9:10]
	v_fmac_f32_e32 v12, v23, v34
	v_fmac_f32_e32 v13, v24, v34
	v_add_co_u32_e32 v34, vcc, s12, v21
	v_fma_f32 v12, -v24, v35, v12
	v_fmac_f32_e32 v13, v23, v35
	v_addc_co_u32_e32 v35, vcc, v19, v22, vcc
	global_load_dwordx4 v[21:24], v[30:31], off
	global_load_dwordx2 v[36:37], v[16:17], off
	v_add_u32_e32 v9, 7, v29
	v_lshlrev_b64 v[32:33], 3, v[9:10]
	v_add_u32_e32 v9, 8, v29
	v_add_co_u32_e32 v16, vcc, s14, v32
	v_addc_co_u32_e32 v17, vcc, v20, v33, vcc
	s_waitcnt vmcnt(0)
	v_fmac_f32_e32 v8, v21, v36
	v_fma_f32 v31, -v22, v37, v8
	v_lshlrev_b64 v[8:9], 3, v[9:10]
	v_fmac_f32_e32 v14, v22, v36
	v_fmac_f32_e32 v12, v23, v36
	;; [unrolled: 1-line block ×4, first 2 shown]
	v_fma_f32 v12, -v24, v37, v12
	v_fmac_f32_e32 v13, v23, v37
	global_load_dwordx4 v[21:24], v[34:35], off
	global_load_dwordx2 v[29:30], v[16:17], off
	v_add_co_u32_e32 v8, vcc, s14, v8
	v_addc_co_u32_e32 v9, vcc, v20, v9, vcc
	global_load_dwordx2 v[8:9], v[8:9], off
	v_cmp_ge_i32_e32 vcc, v11, v15
	s_or_b64 s[8:9], vcc, s[8:9]
	s_waitcnt vmcnt(1)
	v_fmac_f32_e32 v31, v21, v29
	v_fmac_f32_e32 v14, v22, v29
	v_fmac_f32_e32 v12, v23, v29
	v_fmac_f32_e32 v13, v24, v29
	v_fma_f32 v16, -v22, v30, v31
	v_fmac_f32_e32 v14, v21, v30
	v_fma_f32 v12, -v24, v30, v12
	v_fmac_f32_e32 v13, v23, v30
	s_waitcnt vmcnt(0)
	v_fmac_f32_e32 v16, v25, v8
	v_fmac_f32_e32 v14, v26, v8
	v_fmac_f32_e32 v12, v27, v8
	v_fmac_f32_e32 v13, v28, v8
	v_fma_f32 v17, -v26, v9, v16
	v_fmac_f32_e32 v14, v25, v9
	v_fma_f32 v16, -v28, v9, v12
	v_fmac_f32_e32 v13, v27, v9
	s_andn2_b64 exec, exec, s[8:9]
	s_cbranch_execnz .LBB191_7
; %bb.8:
	s_or_b64 exec, exec, s[8:9]
.LBB191_9:
	s_or_b64 exec, exec, s[6:7]
	s_cbranch_execz .LBB191_11
	s_branch .LBB191_16
.LBB191_10:
                                        ; implicit-def: $vgpr14
                                        ; implicit-def: $vgpr17
                                        ; implicit-def: $vgpr16
                                        ; implicit-def: $vgpr13
.LBB191_11:
	v_mov_b32_e32 v14, 0
	v_mov_b32_e32 v17, 0
	;; [unrolled: 1-line block ×4, first 2 shown]
	s_and_saveexec_b64 s[6:7], s[0:1]
	s_cbranch_execz .LBB191_15
; %bb.12:
	v_mad_u64_u32 v[8:9], s[0:1], v6, 18, 17
	v_mov_b32_e32 v11, 0
	s_mov_b64 s[0:1], 0
	v_mov_b32_e32 v12, s11
	v_mov_b32_e32 v18, s13
	;; [unrolled: 1-line block ×7, first 2 shown]
.LBB191_13:                             ; =>This Inner Loop Header: Depth=1
	v_ashrrev_i32_e32 v7, 31, v6
	v_lshlrev_b64 v[22:23], 2, v[6:7]
	v_subrev_u32_e32 v10, 17, v8
	v_add_co_u32_e32 v22, vcc, s10, v22
	v_addc_co_u32_e32 v23, vcc, v12, v23, vcc
	global_load_dword v7, v[22:23], off
	v_lshlrev_b64 v[24:25], 3, v[10:11]
	v_add_u32_e32 v20, -8, v8
	v_mov_b32_e32 v21, v11
	v_lshlrev_b64 v[20:21], 3, v[20:21]
	v_add_co_u32_e32 v24, vcc, s12, v24
	v_mov_b32_e32 v9, v11
	v_addc_co_u32_e32 v25, vcc, v18, v25, vcc
	v_lshlrev_b64 v[9:10], 3, v[8:9]
	v_add_co_u32_e32 v20, vcc, s12, v20
	v_addc_co_u32_e32 v21, vcc, v18, v21, vcc
	v_add_co_u32_e32 v26, vcc, s12, v9
	v_addc_co_u32_e32 v27, vcc, v18, v10, vcc
	v_mov_b32_e32 v10, v11
	v_add_u32_e32 v6, 64, v6
	s_waitcnt vmcnt(0)
	v_subrev_u32_e32 v7, s2, v7
	v_lshl_add_u32 v9, v7, 3, v7
	v_lshlrev_b64 v[22:23], 3, v[9:10]
	v_add_u32_e32 v10, 1, v9
	v_add_co_u32_e32 v22, vcc, s14, v22
	v_addc_co_u32_e32 v23, vcc, v19, v23, vcc
	global_load_dwordx2 v[30:31], v[20:21], off
	global_load_dwordx2 v[32:33], v[22:23], off
	v_lshlrev_b64 v[28:29], 3, v[10:11]
	global_load_dwordx4 v[20:23], v[24:25], off
	v_add_co_u32_e32 v28, vcc, s14, v28
	v_addc_co_u32_e32 v29, vcc, v19, v29, vcc
	v_add_u32_e32 v10, -7, v8
	s_waitcnt vmcnt(1)
	v_fmac_f32_e32 v16, v30, v32
	v_fma_f32 v7, -v31, v33, v16
	s_waitcnt vmcnt(0)
	v_fmac_f32_e32 v17, v20, v32
	v_fmac_f32_e32 v14, v21, v32
	v_fma_f32 v21, -v21, v33, v17
	global_load_dwordx2 v[16:17], v[28:29], off
	v_fmac_f32_e32 v13, v31, v32
	v_fmac_f32_e32 v13, v30, v33
	;; [unrolled: 1-line block ×3, first 2 shown]
	s_waitcnt vmcnt(0)
	v_fmac_f32_e32 v21, v22, v16
	v_fma_f32 v30, -v23, v17, v21
	v_lshlrev_b64 v[20:21], 3, v[10:11]
	v_fmac_f32_e32 v14, v23, v16
	v_add_u32_e32 v10, -15, v8
	v_fmac_f32_e32 v14, v22, v17
	v_add_co_u32_e32 v20, vcc, s12, v20
	v_lshlrev_b64 v[22:23], 3, v[10:11]
	v_addc_co_u32_e32 v21, vcc, v18, v21, vcc
	v_add_co_u32_e32 v22, vcc, s12, v22
	v_addc_co_u32_e32 v23, vcc, v18, v23, vcc
	global_load_dwordx2 v[24:25], v[20:21], off
	global_load_dwordx2 v[28:29], v[22:23], off
	v_add_u32_e32 v10, 2, v9
	s_waitcnt vmcnt(1)
	v_fmac_f32_e32 v7, v24, v16
	v_fmac_f32_e32 v13, v25, v16
	v_fma_f32 v7, -v25, v17, v7
	v_fmac_f32_e32 v13, v24, v17
	v_lshlrev_b64 v[16:17], 3, v[10:11]
	v_add_u32_e32 v10, -6, v8
	v_add_co_u32_e32 v16, vcc, s14, v16
	v_addc_co_u32_e32 v17, vcc, v19, v17, vcc
	global_load_dwordx2 v[16:17], v[16:17], off
	v_lshlrev_b64 v[20:21], 3, v[10:11]
	v_add_u32_e32 v10, -14, v8
	v_add_co_u32_e32 v20, vcc, s12, v20
	v_lshlrev_b64 v[22:23], 3, v[10:11]
	v_addc_co_u32_e32 v21, vcc, v18, v21, vcc
	v_add_co_u32_e32 v22, vcc, s12, v22
	v_addc_co_u32_e32 v23, vcc, v18, v23, vcc
	v_add_u32_e32 v10, 3, v9
	s_waitcnt vmcnt(0)
	v_fmac_f32_e32 v30, v28, v16
	v_fmac_f32_e32 v14, v29, v16
	v_fma_f32 v30, -v29, v17, v30
	v_fmac_f32_e32 v14, v28, v17
	global_load_dwordx2 v[24:25], v[20:21], off
	global_load_dwordx2 v[28:29], v[22:23], off
	s_waitcnt vmcnt(1)
	v_fmac_f32_e32 v7, v24, v16
	v_fmac_f32_e32 v13, v25, v16
	v_fma_f32 v7, -v25, v17, v7
	v_fmac_f32_e32 v13, v24, v17
	v_lshlrev_b64 v[16:17], 3, v[10:11]
	v_add_u32_e32 v10, -5, v8
	v_add_co_u32_e32 v16, vcc, s14, v16
	v_addc_co_u32_e32 v17, vcc, v19, v17, vcc
	global_load_dwordx2 v[16:17], v[16:17], off
	v_lshlrev_b64 v[20:21], 3, v[10:11]
	v_add_u32_e32 v10, -13, v8
	v_add_co_u32_e32 v20, vcc, s12, v20
	v_lshlrev_b64 v[22:23], 3, v[10:11]
	v_addc_co_u32_e32 v21, vcc, v18, v21, vcc
	v_add_co_u32_e32 v22, vcc, s12, v22
	v_addc_co_u32_e32 v23, vcc, v18, v23, vcc
	v_add_u32_e32 v10, 4, v9
	s_waitcnt vmcnt(0)
	v_fmac_f32_e32 v30, v28, v16
	v_fmac_f32_e32 v14, v29, v16
	v_fma_f32 v30, -v29, v17, v30
	v_fmac_f32_e32 v14, v28, v17
	global_load_dwordx2 v[24:25], v[20:21], off
	global_load_dwordx2 v[28:29], v[22:23], off
	;; [unrolled: 25-line block ×5, first 2 shown]
	s_waitcnt vmcnt(1)
	v_fmac_f32_e32 v7, v24, v16
	v_fmac_f32_e32 v13, v25, v16
	v_fma_f32 v7, -v25, v17, v7
	v_fmac_f32_e32 v13, v24, v17
	v_lshlrev_b64 v[16:17], 3, v[10:11]
	v_add_u32_e32 v10, -1, v8
	v_add_co_u32_e32 v16, vcc, s14, v16
	v_addc_co_u32_e32 v17, vcc, v19, v17, vcc
	global_load_dwordx2 v[16:17], v[16:17], off
	v_lshlrev_b64 v[20:21], 3, v[10:11]
	v_add_u32_e32 v10, -9, v8
	v_lshlrev_b64 v[22:23], 3, v[10:11]
	v_add_co_u32_e32 v20, vcc, s12, v20
	v_add_u32_e32 v10, 8, v9
	v_addc_co_u32_e32 v21, vcc, v18, v21, vcc
	v_add_co_u32_e32 v22, vcc, s12, v22
	v_lshlrev_b64 v[9:10], 3, v[10:11]
	v_addc_co_u32_e32 v23, vcc, v18, v23, vcc
	v_add_co_u32_e32 v9, vcc, s14, v9
	v_addc_co_u32_e32 v10, vcc, v19, v10, vcc
	v_cmp_ge_i32_e32 vcc, v6, v15
	s_or_b64 s[0:1], vcc, s[0:1]
	v_add_u32_e32 v8, 0x480, v8
	s_waitcnt vmcnt(0)
	v_fmac_f32_e32 v30, v28, v16
	v_fmac_f32_e32 v14, v29, v16
	v_fma_f32 v34, -v29, v17, v30
	v_fmac_f32_e32 v14, v28, v17
	global_load_dwordx2 v[24:25], v[26:27], off
	global_load_dwordx2 v[28:29], v[20:21], off
	;; [unrolled: 1-line block ×4, first 2 shown]
	s_waitcnt vmcnt(2)
	v_fmac_f32_e32 v7, v28, v16
	v_fmac_f32_e32 v13, v29, v16
	v_fma_f32 v7, -v29, v17, v7
	v_fmac_f32_e32 v13, v28, v17
	s_waitcnt vmcnt(0)
	v_fmac_f32_e32 v34, v30, v32
	v_fmac_f32_e32 v14, v31, v32
	;; [unrolled: 1-line block ×4, first 2 shown]
	v_fma_f32 v17, -v31, v33, v34
	v_fmac_f32_e32 v14, v30, v33
	v_fma_f32 v16, -v25, v33, v7
	v_fmac_f32_e32 v13, v24, v33
	s_andn2_b64 exec, exec, s[0:1]
	s_cbranch_execnz .LBB191_13
; %bb.14:
	s_or_b64 exec, exec, s[0:1]
.LBB191_15:
	s_or_b64 exec, exec, s[6:7]
.LBB191_16:
	v_mov_b32_dpp v6, v17 row_shr:1 row_mask:0xf bank_mask:0xf
	v_mov_b32_dpp v8, v14 row_shr:1 row_mask:0xf bank_mask:0xf
	v_mov_b32_dpp v10, v16 row_shr:1 row_mask:0xf bank_mask:0xf
	v_mov_b32_dpp v12, v13 row_shr:1 row_mask:0xf bank_mask:0xf
	v_add_f32_e32 v6, v17, v6
	v_add_f32_e32 v8, v14, v8
	v_add_f32_e32 v10, v16, v10
	v_add_f32_e32 v12, v13, v12
	v_mov_b32_dpp v7, v6 row_shr:2 row_mask:0xf bank_mask:0xf
	v_mov_b32_dpp v9, v8 row_shr:2 row_mask:0xf bank_mask:0xf
	v_mov_b32_dpp v11, v10 row_shr:2 row_mask:0xf bank_mask:0xf
	v_mov_b32_dpp v13, v12 row_shr:2 row_mask:0xf bank_mask:0xf
	v_add_f32_e32 v6, v6, v7
	v_add_f32_e32 v8, v8, v9
	v_add_f32_e32 v10, v10, v11
	v_add_f32_e32 v12, v12, v13
	;; [unrolled: 8-line block ×4, first 2 shown]
	v_mov_b32_dpp v7, v6 row_bcast:15 row_mask:0xa bank_mask:0xf
	v_mov_b32_dpp v9, v8 row_bcast:15 row_mask:0xa bank_mask:0xf
	;; [unrolled: 1-line block ×4, first 2 shown]
	v_add_f32_e32 v6, v6, v7
	v_add_f32_e32 v8, v8, v9
	;; [unrolled: 1-line block ×4, first 2 shown]
	v_mov_b32_dpp v7, v6 row_bcast:31 row_mask:0xc bank_mask:0xf
	v_mov_b32_dpp v9, v8 row_bcast:31 row_mask:0xc bank_mask:0xf
	;; [unrolled: 1-line block ×4, first 2 shown]
	v_cmp_eq_u32_e32 vcc, 63, v0
	s_and_b64 exec, exec, vcc
	s_cbranch_execz .LBB191_21
; %bb.17:
	s_load_dwordx2 s[2:3], s[4:5], 0x38
	v_cmp_eq_f32_e32 vcc, 0, v3
	v_cmp_eq_f32_e64 s[0:1], 0, v4
	v_add_f32_e32 v7, v6, v7
	v_add_f32_e32 v8, v8, v9
	;; [unrolled: 1-line block ×4, first 2 shown]
	s_and_b64 s[0:1], vcc, s[0:1]
	s_and_saveexec_b64 s[4:5], s[0:1]
	s_xor_b64 s[0:1], exec, s[4:5]
	s_cbranch_execz .LBB191_19
; %bb.18:
	v_mul_f32_e64 v3, v8, -v2
	v_mul_f32_e32 v4, v1, v8
	v_fmac_f32_e32 v3, v1, v7
	v_fmac_f32_e32 v4, v2, v7
	v_lshlrev_b32_e32 v7, 1, v5
	v_ashrrev_i32_e32 v8, 31, v7
	v_lshlrev_b64 v[7:8], 3, v[7:8]
	s_waitcnt lgkmcnt(0)
	v_mov_b32_e32 v5, s3
	v_add_co_u32_e32 v7, vcc, s2, v7
	v_addc_co_u32_e32 v8, vcc, v5, v8, vcc
	v_mul_f32_e64 v5, v6, -v2
	v_mul_f32_e32 v6, v1, v6
	v_fmac_f32_e32 v5, v1, v0
	v_fmac_f32_e32 v6, v2, v0
	global_store_dwordx4 v[7:8], v[3:6], off
                                        ; implicit-def: $vgpr5
                                        ; implicit-def: $vgpr1_vgpr2
                                        ; implicit-def: $vgpr8
                                        ; implicit-def: $vgpr7
                                        ; implicit-def: $vgpr3_vgpr4
                                        ; implicit-def: $vgpr6
                                        ; implicit-def: $vgpr0
.LBB191_19:
	s_andn2_saveexec_b64 s[0:1], s[0:1]
	s_cbranch_execz .LBB191_21
; %bb.20:
	v_lshlrev_b32_e32 v9, 1, v5
	v_ashrrev_i32_e32 v10, 31, v9
	v_lshlrev_b64 v[9:10], 3, v[9:10]
	s_waitcnt lgkmcnt(0)
	v_mov_b32_e32 v5, s3
	v_add_co_u32_e32 v17, vcc, s2, v9
	v_addc_co_u32_e32 v18, vcc, v5, v10, vcc
	global_load_dwordx4 v[9:12], v[17:18], off
	v_mul_f32_e64 v5, v8, -v2
	v_mul_f32_e32 v14, v1, v8
	v_mul_f32_e64 v8, v6, -v2
	v_mul_f32_e32 v16, v1, v6
	v_fmac_f32_e32 v5, v1, v7
	v_fmac_f32_e32 v14, v2, v7
	;; [unrolled: 1-line block ×4, first 2 shown]
	s_waitcnt vmcnt(0)
	v_fmac_f32_e32 v5, v3, v9
	v_fmac_f32_e32 v14, v4, v9
	;; [unrolled: 1-line block ×4, first 2 shown]
	v_fma_f32 v13, -v4, v10, v5
	v_fmac_f32_e32 v14, v3, v10
	v_fma_f32 v15, -v4, v12, v8
	v_fmac_f32_e32 v16, v3, v12
	global_store_dwordx4 v[17:18], v[13:16], off
.LBB191_21:
	s_endpgm
	.section	.rodata,"a",@progbits
	.p2align	6, 0x0
	.amdhsa_kernel _ZN9rocsparseL19gebsrmvn_2xn_kernelILj128ELj9ELj64E21rocsparse_complex_numIfEEEvi20rocsparse_direction_NS_24const_host_device_scalarIT2_EEPKiS8_PKS5_SA_S6_PS5_21rocsparse_index_base_b
		.amdhsa_group_segment_fixed_size 0
		.amdhsa_private_segment_fixed_size 0
		.amdhsa_kernarg_size 72
		.amdhsa_user_sgpr_count 6
		.amdhsa_user_sgpr_private_segment_buffer 1
		.amdhsa_user_sgpr_dispatch_ptr 0
		.amdhsa_user_sgpr_queue_ptr 0
		.amdhsa_user_sgpr_kernarg_segment_ptr 1
		.amdhsa_user_sgpr_dispatch_id 0
		.amdhsa_user_sgpr_flat_scratch_init 0
		.amdhsa_user_sgpr_private_segment_size 0
		.amdhsa_uses_dynamic_stack 0
		.amdhsa_system_sgpr_private_segment_wavefront_offset 0
		.amdhsa_system_sgpr_workgroup_id_x 1
		.amdhsa_system_sgpr_workgroup_id_y 0
		.amdhsa_system_sgpr_workgroup_id_z 0
		.amdhsa_system_sgpr_workgroup_info 0
		.amdhsa_system_vgpr_workitem_id 0
		.amdhsa_next_free_vgpr 38
		.amdhsa_next_free_sgpr 16
		.amdhsa_reserve_vcc 1
		.amdhsa_reserve_flat_scratch 0
		.amdhsa_float_round_mode_32 0
		.amdhsa_float_round_mode_16_64 0
		.amdhsa_float_denorm_mode_32 3
		.amdhsa_float_denorm_mode_16_64 3
		.amdhsa_dx10_clamp 1
		.amdhsa_ieee_mode 1
		.amdhsa_fp16_overflow 0
		.amdhsa_exception_fp_ieee_invalid_op 0
		.amdhsa_exception_fp_denorm_src 0
		.amdhsa_exception_fp_ieee_div_zero 0
		.amdhsa_exception_fp_ieee_overflow 0
		.amdhsa_exception_fp_ieee_underflow 0
		.amdhsa_exception_fp_ieee_inexact 0
		.amdhsa_exception_int_div_zero 0
	.end_amdhsa_kernel
	.section	.text._ZN9rocsparseL19gebsrmvn_2xn_kernelILj128ELj9ELj64E21rocsparse_complex_numIfEEEvi20rocsparse_direction_NS_24const_host_device_scalarIT2_EEPKiS8_PKS5_SA_S6_PS5_21rocsparse_index_base_b,"axG",@progbits,_ZN9rocsparseL19gebsrmvn_2xn_kernelILj128ELj9ELj64E21rocsparse_complex_numIfEEEvi20rocsparse_direction_NS_24const_host_device_scalarIT2_EEPKiS8_PKS5_SA_S6_PS5_21rocsparse_index_base_b,comdat
.Lfunc_end191:
	.size	_ZN9rocsparseL19gebsrmvn_2xn_kernelILj128ELj9ELj64E21rocsparse_complex_numIfEEEvi20rocsparse_direction_NS_24const_host_device_scalarIT2_EEPKiS8_PKS5_SA_S6_PS5_21rocsparse_index_base_b, .Lfunc_end191-_ZN9rocsparseL19gebsrmvn_2xn_kernelILj128ELj9ELj64E21rocsparse_complex_numIfEEEvi20rocsparse_direction_NS_24const_host_device_scalarIT2_EEPKiS8_PKS5_SA_S6_PS5_21rocsparse_index_base_b
                                        ; -- End function
	.set _ZN9rocsparseL19gebsrmvn_2xn_kernelILj128ELj9ELj64E21rocsparse_complex_numIfEEEvi20rocsparse_direction_NS_24const_host_device_scalarIT2_EEPKiS8_PKS5_SA_S6_PS5_21rocsparse_index_base_b.num_vgpr, 38
	.set _ZN9rocsparseL19gebsrmvn_2xn_kernelILj128ELj9ELj64E21rocsparse_complex_numIfEEEvi20rocsparse_direction_NS_24const_host_device_scalarIT2_EEPKiS8_PKS5_SA_S6_PS5_21rocsparse_index_base_b.num_agpr, 0
	.set _ZN9rocsparseL19gebsrmvn_2xn_kernelILj128ELj9ELj64E21rocsparse_complex_numIfEEEvi20rocsparse_direction_NS_24const_host_device_scalarIT2_EEPKiS8_PKS5_SA_S6_PS5_21rocsparse_index_base_b.numbered_sgpr, 16
	.set _ZN9rocsparseL19gebsrmvn_2xn_kernelILj128ELj9ELj64E21rocsparse_complex_numIfEEEvi20rocsparse_direction_NS_24const_host_device_scalarIT2_EEPKiS8_PKS5_SA_S6_PS5_21rocsparse_index_base_b.num_named_barrier, 0
	.set _ZN9rocsparseL19gebsrmvn_2xn_kernelILj128ELj9ELj64E21rocsparse_complex_numIfEEEvi20rocsparse_direction_NS_24const_host_device_scalarIT2_EEPKiS8_PKS5_SA_S6_PS5_21rocsparse_index_base_b.private_seg_size, 0
	.set _ZN9rocsparseL19gebsrmvn_2xn_kernelILj128ELj9ELj64E21rocsparse_complex_numIfEEEvi20rocsparse_direction_NS_24const_host_device_scalarIT2_EEPKiS8_PKS5_SA_S6_PS5_21rocsparse_index_base_b.uses_vcc, 1
	.set _ZN9rocsparseL19gebsrmvn_2xn_kernelILj128ELj9ELj64E21rocsparse_complex_numIfEEEvi20rocsparse_direction_NS_24const_host_device_scalarIT2_EEPKiS8_PKS5_SA_S6_PS5_21rocsparse_index_base_b.uses_flat_scratch, 0
	.set _ZN9rocsparseL19gebsrmvn_2xn_kernelILj128ELj9ELj64E21rocsparse_complex_numIfEEEvi20rocsparse_direction_NS_24const_host_device_scalarIT2_EEPKiS8_PKS5_SA_S6_PS5_21rocsparse_index_base_b.has_dyn_sized_stack, 0
	.set _ZN9rocsparseL19gebsrmvn_2xn_kernelILj128ELj9ELj64E21rocsparse_complex_numIfEEEvi20rocsparse_direction_NS_24const_host_device_scalarIT2_EEPKiS8_PKS5_SA_S6_PS5_21rocsparse_index_base_b.has_recursion, 0
	.set _ZN9rocsparseL19gebsrmvn_2xn_kernelILj128ELj9ELj64E21rocsparse_complex_numIfEEEvi20rocsparse_direction_NS_24const_host_device_scalarIT2_EEPKiS8_PKS5_SA_S6_PS5_21rocsparse_index_base_b.has_indirect_call, 0
	.section	.AMDGPU.csdata,"",@progbits
; Kernel info:
; codeLenInByte = 3200
; TotalNumSgprs: 20
; NumVgprs: 38
; ScratchSize: 0
; MemoryBound: 0
; FloatMode: 240
; IeeeMode: 1
; LDSByteSize: 0 bytes/workgroup (compile time only)
; SGPRBlocks: 2
; VGPRBlocks: 9
; NumSGPRsForWavesPerEU: 20
; NumVGPRsForWavesPerEU: 38
; Occupancy: 6
; WaveLimiterHint : 1
; COMPUTE_PGM_RSRC2:SCRATCH_EN: 0
; COMPUTE_PGM_RSRC2:USER_SGPR: 6
; COMPUTE_PGM_RSRC2:TRAP_HANDLER: 0
; COMPUTE_PGM_RSRC2:TGID_X_EN: 1
; COMPUTE_PGM_RSRC2:TGID_Y_EN: 0
; COMPUTE_PGM_RSRC2:TGID_Z_EN: 0
; COMPUTE_PGM_RSRC2:TIDIG_COMP_CNT: 0
	.section	.text._ZN9rocsparseL19gebsrmvn_2xn_kernelILj128ELj10ELj4E21rocsparse_complex_numIfEEEvi20rocsparse_direction_NS_24const_host_device_scalarIT2_EEPKiS8_PKS5_SA_S6_PS5_21rocsparse_index_base_b,"axG",@progbits,_ZN9rocsparseL19gebsrmvn_2xn_kernelILj128ELj10ELj4E21rocsparse_complex_numIfEEEvi20rocsparse_direction_NS_24const_host_device_scalarIT2_EEPKiS8_PKS5_SA_S6_PS5_21rocsparse_index_base_b,comdat
	.globl	_ZN9rocsparseL19gebsrmvn_2xn_kernelILj128ELj10ELj4E21rocsparse_complex_numIfEEEvi20rocsparse_direction_NS_24const_host_device_scalarIT2_EEPKiS8_PKS5_SA_S6_PS5_21rocsparse_index_base_b ; -- Begin function _ZN9rocsparseL19gebsrmvn_2xn_kernelILj128ELj10ELj4E21rocsparse_complex_numIfEEEvi20rocsparse_direction_NS_24const_host_device_scalarIT2_EEPKiS8_PKS5_SA_S6_PS5_21rocsparse_index_base_b
	.p2align	8
	.type	_ZN9rocsparseL19gebsrmvn_2xn_kernelILj128ELj10ELj4E21rocsparse_complex_numIfEEEvi20rocsparse_direction_NS_24const_host_device_scalarIT2_EEPKiS8_PKS5_SA_S6_PS5_21rocsparse_index_base_b,@function
_ZN9rocsparseL19gebsrmvn_2xn_kernelILj128ELj10ELj4E21rocsparse_complex_numIfEEEvi20rocsparse_direction_NS_24const_host_device_scalarIT2_EEPKiS8_PKS5_SA_S6_PS5_21rocsparse_index_base_b: ; @_ZN9rocsparseL19gebsrmvn_2xn_kernelILj128ELj10ELj4E21rocsparse_complex_numIfEEEvi20rocsparse_direction_NS_24const_host_device_scalarIT2_EEPKiS8_PKS5_SA_S6_PS5_21rocsparse_index_base_b
; %bb.0:
	s_load_dwordx2 s[0:1], s[4:5], 0x8
	s_load_dwordx2 s[8:9], s[4:5], 0x30
	;; [unrolled: 1-line block ×3, first 2 shown]
	s_add_u32 s7, s4, 8
	s_addc_u32 s10, s5, 0
	s_add_u32 s11, s4, 48
	s_addc_u32 s12, s5, 0
	s_waitcnt lgkmcnt(0)
	s_bitcmp1_b32 s3, 0
	s_cselect_b32 s1, s10, s1
	s_cselect_b32 s0, s7, s0
	v_mov_b32_e32 v1, s0
	v_mov_b32_e32 v2, s1
	flat_load_dwordx2 v[1:2], v[1:2]
	s_cselect_b32 s0, s12, s9
	s_cselect_b32 s1, s11, s8
	v_mov_b32_e32 v3, s1
	v_mov_b32_e32 v4, s0
	flat_load_dwordx2 v[3:4], v[3:4]
	s_waitcnt vmcnt(0) lgkmcnt(0)
	v_cmp_eq_f32_e32 vcc, 0, v1
	v_cmp_eq_f32_e64 s[0:1], 0, v2
	s_and_b64 s[10:11], vcc, s[0:1]
	s_mov_b64 s[0:1], -1
	s_and_saveexec_b64 s[8:9], s[10:11]
; %bb.1:
	v_cmp_neq_f32_e32 vcc, 1.0, v3
	v_cmp_neq_f32_e64 s[0:1], 0, v4
	s_or_b64 s[0:1], vcc, s[0:1]
	s_orn2_b64 s[0:1], s[0:1], exec
; %bb.2:
	s_or_b64 exec, exec, s[8:9]
	s_and_saveexec_b64 s[8:9], s[0:1]
	s_cbranch_execz .LBB192_21
; %bb.3:
	s_load_dwordx2 s[0:1], s[4:5], 0x0
	v_lshrrev_b32_e32 v5, 2, v0
	v_lshl_or_b32 v5, s6, 5, v5
	s_waitcnt lgkmcnt(0)
	v_cmp_gt_i32_e32 vcc, s0, v5
	s_and_b64 exec, exec, vcc
	s_cbranch_execz .LBB192_21
; %bb.4:
	s_load_dwordx8 s[8:15], s[4:5], 0x10
	v_ashrrev_i32_e32 v6, 31, v5
	v_lshlrev_b64 v[6:7], 2, v[5:6]
	v_and_b32_e32 v0, 3, v0
	s_cmp_lg_u32 s1, 0
	s_waitcnt lgkmcnt(0)
	v_mov_b32_e32 v8, s9
	v_add_co_u32_e32 v6, vcc, s8, v6
	v_addc_co_u32_e32 v7, vcc, v8, v7, vcc
	global_load_dwordx2 v[6:7], v[6:7], off
	s_waitcnt vmcnt(0)
	v_subrev_u32_e32 v6, s2, v6
	v_subrev_u32_e32 v14, s2, v7
	v_add_u32_e32 v6, v6, v0
	v_cmp_lt_i32_e64 s[0:1], v6, v14
	s_cbranch_scc0 .LBB192_10
; %bb.5:
	v_mov_b32_e32 v15, 0
	v_mov_b32_e32 v18, 0
	;; [unrolled: 1-line block ×4, first 2 shown]
	s_and_saveexec_b64 s[6:7], s[0:1]
	s_cbranch_execz .LBB192_9
; %bb.6:
	v_mad_u64_u32 v[7:8], s[8:9], v6, 20, 18
	v_mov_b32_e32 v10, 0
	s_mov_b64 s[8:9], 0
	v_mov_b32_e32 v13, s11
	v_mov_b32_e32 v19, s13
	;; [unrolled: 1-line block ×8, first 2 shown]
.LBB192_7:                              ; =>This Inner Loop Header: Depth=1
	v_ashrrev_i32_e32 v12, 31, v11
	v_lshlrev_b64 v[21:22], 2, v[11:12]
	v_subrev_u32_e32 v9, 18, v7
	v_lshlrev_b64 v[23:24], 3, v[9:10]
	v_add_co_u32_e32 v29, vcc, s10, v21
	v_mov_b32_e32 v8, v10
	v_addc_co_u32_e32 v30, vcc, v13, v22, vcc
	v_lshlrev_b64 v[25:26], 3, v[7:8]
	v_add_co_u32_e32 v31, vcc, s12, v23
	v_addc_co_u32_e32 v32, vcc, v19, v24, vcc
	v_add_co_u32_e32 v49, vcc, s12, v25
	v_addc_co_u32_e32 v50, vcc, v19, v26, vcc
	global_load_dword v12, v[29:30], off
	global_load_dwordx4 v[21:24], v[31:32], off
	global_load_dwordx4 v[25:28], v[31:32], off offset:16
	v_add_u32_e32 v9, -14, v7
	v_lshlrev_b64 v[8:9], 3, v[9:10]
	v_mov_b32_e32 v42, v10
	v_add_co_u32_e32 v8, vcc, s12, v8
	v_addc_co_u32_e32 v9, vcc, v19, v9, vcc
	global_load_dwordx4 v[29:32], v[8:9], off
	v_add_u32_e32 v11, 4, v11
	s_waitcnt vmcnt(3)
	v_subrev_u32_e32 v8, s2, v12
	v_mul_lo_u32 v41, v8, 10
	v_lshlrev_b64 v[33:34], 3, v[41:42]
	v_add_u32_e32 v9, 2, v41
	v_add_co_u32_e32 v33, vcc, s14, v33
	v_addc_co_u32_e32 v34, vcc, v20, v34, vcc
	global_load_dwordx4 v[33:36], v[33:34], off
	v_lshlrev_b64 v[37:38], 3, v[9:10]
	v_add_u32_e32 v9, -12, v7
	v_add_co_u32_e32 v37, vcc, s14, v37
	v_addc_co_u32_e32 v38, vcc, v20, v38, vcc
	global_load_dwordx4 v[37:40], v[37:38], off
	v_lshlrev_b64 v[42:43], 3, v[9:10]
	v_add_u32_e32 v9, -10, v7
	v_add_co_u32_e32 v42, vcc, s12, v42
	v_addc_co_u32_e32 v43, vcc, v19, v43, vcc
	v_lshlrev_b64 v[44:45], 3, v[9:10]
	v_add_u32_e32 v9, 4, v41
	v_lshlrev_b64 v[46:47], 3, v[9:10]
	v_add_u32_e32 v9, -8, v7
	s_waitcnt vmcnt(1)
	v_fmac_f32_e32 v18, v21, v33
	v_fmac_f32_e32 v15, v22, v33
	;; [unrolled: 1-line block ×4, first 2 shown]
	v_fma_f32 v8, -v22, v34, v18
	v_fmac_f32_e32 v15, v21, v34
	v_fma_f32 v12, -v24, v34, v17
	v_fmac_f32_e32 v16, v23, v34
	global_load_dwordx4 v[21:24], v[42:43], off
	v_add_co_u32_e32 v17, vcc, s12, v44
	v_addc_co_u32_e32 v18, vcc, v19, v45, vcc
	v_fmac_f32_e32 v8, v25, v35
	v_fmac_f32_e32 v15, v26, v35
	;; [unrolled: 1-line block ×4, first 2 shown]
	v_lshlrev_b64 v[42:43], 3, v[9:10]
	v_fma_f32 v8, -v26, v36, v8
	v_fmac_f32_e32 v15, v25, v36
	v_fma_f32 v12, -v28, v36, v12
	v_fmac_f32_e32 v16, v27, v36
	global_load_dwordx4 v[25:28], v[17:18], off
	v_add_co_u32_e32 v17, vcc, s14, v46
	v_addc_co_u32_e32 v18, vcc, v20, v47, vcc
	global_load_dwordx4 v[33:36], v[17:18], off
	v_add_co_u32_e32 v17, vcc, s12, v42
	v_addc_co_u32_e32 v18, vcc, v19, v43, vcc
	s_waitcnt vmcnt(3)
	v_fmac_f32_e32 v8, v29, v37
	v_fmac_f32_e32 v15, v30, v37
	;; [unrolled: 1-line block ×4, first 2 shown]
	v_fma_f32 v8, -v30, v38, v8
	v_fmac_f32_e32 v15, v29, v38
	v_fma_f32 v12, -v32, v38, v12
	v_fmac_f32_e32 v16, v31, v38
	global_load_dwordx4 v[29:32], v[17:18], off
	v_add_u32_e32 v9, -6, v7
	v_lshlrev_b64 v[44:45], 3, v[9:10]
	v_add_u32_e32 v9, 6, v41
	v_lshlrev_b64 v[42:43], 3, v[9:10]
	v_add_co_u32_e32 v17, vcc, s12, v44
	v_add_u32_e32 v9, -4, v7
	v_addc_co_u32_e32 v18, vcc, v19, v45, vcc
	v_lshlrev_b64 v[44:45], 3, v[9:10]
	v_add_u32_e32 v9, -2, v7
	v_add_u32_e32 v7, 0x50, v7
	s_waitcnt vmcnt(3)
	v_fmac_f32_e32 v8, v21, v39
	v_fmac_f32_e32 v15, v22, v39
	;; [unrolled: 1-line block ×4, first 2 shown]
	v_fma_f32 v47, -v22, v40, v8
	v_fmac_f32_e32 v15, v21, v40
	v_fma_f32 v12, -v24, v40, v12
	v_fmac_f32_e32 v16, v23, v40
	global_load_dwordx4 v[21:24], v[17:18], off
	v_add_co_u32_e32 v17, vcc, s14, v42
	v_addc_co_u32_e32 v18, vcc, v20, v43, vcc
	v_lshlrev_b64 v[42:43], 3, v[9:10]
	global_load_dwordx4 v[37:40], v[17:18], off
	v_add_co_u32_e32 v17, vcc, s12, v44
	v_add_u32_e32 v9, 8, v41
	v_addc_co_u32_e32 v18, vcc, v19, v45, vcc
	v_lshlrev_b64 v[8:9], 3, v[9:10]
	v_add_co_u32_e32 v45, vcc, s12, v42
	v_addc_co_u32_e32 v46, vcc, v19, v43, vcc
	global_load_dwordx4 v[41:44], v[17:18], off
	v_add_co_u32_e32 v8, vcc, s14, v8
	s_waitcnt vmcnt(4)
	v_fmac_f32_e32 v47, v25, v33
	v_fmac_f32_e32 v15, v26, v33
	v_fmac_f32_e32 v12, v27, v33
	v_fmac_f32_e32 v16, v28, v33
	v_addc_co_u32_e32 v9, vcc, v20, v9, vcc
	v_fma_f32 v17, -v26, v34, v47
	v_fmac_f32_e32 v15, v25, v34
	v_fma_f32 v12, -v28, v34, v12
	v_fmac_f32_e32 v16, v27, v34
	global_load_dwordx4 v[25:28], v[45:46], off
	s_waitcnt vmcnt(4)
	v_fmac_f32_e32 v17, v29, v35
	global_load_dwordx4 v[45:48], v[8:9], off
	v_fmac_f32_e32 v15, v30, v35
	v_fmac_f32_e32 v12, v31, v35
	;; [unrolled: 1-line block ×3, first 2 shown]
	v_fma_f32 v8, -v30, v36, v17
	v_fmac_f32_e32 v15, v29, v36
	v_fma_f32 v9, -v32, v36, v12
	v_fmac_f32_e32 v16, v31, v36
	global_load_dwordx4 v[29:32], v[49:50], off
	v_cmp_ge_i32_e32 vcc, v11, v14
	s_or_b64 s[8:9], vcc, s[8:9]
	s_waitcnt vmcnt(4)
	v_fmac_f32_e32 v8, v21, v37
	v_fmac_f32_e32 v15, v22, v37
	v_fmac_f32_e32 v9, v23, v37
	v_fmac_f32_e32 v16, v24, v37
	v_fma_f32 v8, -v22, v38, v8
	v_fmac_f32_e32 v15, v21, v38
	v_fma_f32 v9, -v24, v38, v9
	v_fmac_f32_e32 v16, v23, v38
	s_waitcnt vmcnt(3)
	v_fmac_f32_e32 v8, v41, v39
	v_fmac_f32_e32 v15, v42, v39
	v_fmac_f32_e32 v9, v43, v39
	v_fmac_f32_e32 v16, v44, v39
	v_fma_f32 v8, -v42, v40, v8
	v_fmac_f32_e32 v15, v41, v40
	v_fma_f32 v9, -v44, v40, v9
	v_fmac_f32_e32 v16, v43, v40
	;; [unrolled: 9-line block ×4, first 2 shown]
	s_andn2_b64 exec, exec, s[8:9]
	s_cbranch_execnz .LBB192_7
; %bb.8:
	s_or_b64 exec, exec, s[8:9]
.LBB192_9:
	s_or_b64 exec, exec, s[6:7]
	s_cbranch_execz .LBB192_11
	s_branch .LBB192_16
.LBB192_10:
                                        ; implicit-def: $vgpr15
                                        ; implicit-def: $vgpr18
                                        ; implicit-def: $vgpr17
                                        ; implicit-def: $vgpr16
.LBB192_11:
	v_mov_b32_e32 v15, 0
	v_mov_b32_e32 v18, 0
	;; [unrolled: 1-line block ×4, first 2 shown]
	s_and_saveexec_b64 s[6:7], s[0:1]
	s_cbranch_execz .LBB192_15
; %bb.12:
	v_mad_u64_u32 v[8:9], s[0:1], v6, 20, 19
	v_mov_b32_e32 v11, 0
	s_mov_b64 s[0:1], 0
	v_mov_b32_e32 v19, s11
	v_mov_b32_e32 v20, s13
	;; [unrolled: 1-line block ×7, first 2 shown]
.LBB192_13:                             ; =>This Inner Loop Header: Depth=1
	v_ashrrev_i32_e32 v7, 31, v6
	v_lshlrev_b64 v[24:25], 2, v[6:7]
	v_subrev_u32_e32 v10, 19, v8
	v_lshlrev_b64 v[26:27], 3, v[10:11]
	v_add_co_u32_e32 v30, vcc, s10, v24
	v_addc_co_u32_e32 v31, vcc, v19, v25, vcc
	v_add_u32_e32 v22, -9, v8
	v_mov_b32_e32 v23, v11
	v_add_co_u32_e32 v32, vcc, s12, v26
	v_lshlrev_b64 v[34:35], 3, v[22:23]
	v_addc_co_u32_e32 v33, vcc, v20, v27, vcc
	global_load_dword v7, v[30:31], off
	global_load_dwordx4 v[22:25], v[32:33], off
	global_load_dwordx4 v[26:29], v[32:33], off offset:16
	v_mov_b32_e32 v13, v11
	v_mov_b32_e32 v9, v11
	v_lshlrev_b64 v[36:37], 3, v[8:9]
	v_add_u32_e32 v10, -8, v8
	v_lshlrev_b64 v[9:10], 3, v[10:11]
	v_add_u32_e32 v6, 4, v6
	s_waitcnt vmcnt(2)
	v_subrev_u32_e32 v7, s2, v7
	v_mul_lo_u32 v12, v7, 10
	v_lshlrev_b64 v[30:31], 3, v[12:13]
	v_add_co_u32_e32 v30, vcc, s14, v30
	v_addc_co_u32_e32 v31, vcc, v21, v31, vcc
	global_load_dwordx4 v[30:33], v[30:31], off
	s_waitcnt vmcnt(0)
	v_fmac_f32_e32 v15, v23, v30
	v_fmac_f32_e32 v18, v22, v30
	;; [unrolled: 1-line block ×3, first 2 shown]
	v_add_co_u32_e32 v22, vcc, s12, v34
	v_fma_f32 v7, -v23, v31, v18
	v_addc_co_u32_e32 v23, vcc, v20, v35, vcc
	v_add_co_u32_e32 v34, vcc, s12, v36
	v_fmac_f32_e32 v15, v25, v32
	v_addc_co_u32_e32 v35, vcc, v20, v37, vcc
	v_fmac_f32_e32 v7, v24, v32
	v_fmac_f32_e32 v15, v24, v33
	v_add_co_u32_e32 v24, vcc, s12, v9
	v_fma_f32 v7, -v25, v33, v7
	v_addc_co_u32_e32 v25, vcc, v20, v10, vcc
	global_load_dwordx2 v[38:39], v[22:23], off
	global_load_dwordx2 v[40:41], v[24:25], off
	v_add_u32_e32 v10, 2, v12
	v_lshlrev_b64 v[9:10], 3, v[10:11]
	v_add_co_u32_e32 v36, vcc, s14, v9
	v_addc_co_u32_e32 v37, vcc, v21, v10, vcc
	global_load_dwordx4 v[22:25], v[36:37], off
	v_add_u32_e32 v10, -7, v8
	s_waitcnt vmcnt(2)
	v_fmac_f32_e32 v17, v38, v30
	v_fma_f32 v9, -v39, v31, v17
	v_lshlrev_b64 v[17:18], 3, v[10:11]
	v_fmac_f32_e32 v16, v39, v30
	v_add_u32_e32 v10, -6, v8
	v_fmac_f32_e32 v16, v38, v31
	v_lshlrev_b64 v[30:31], 3, v[10:11]
	v_add_co_u32_e32 v17, vcc, s12, v17
	v_addc_co_u32_e32 v18, vcc, v20, v18, vcc
	v_add_co_u32_e32 v30, vcc, s12, v30
	v_addc_co_u32_e32 v31, vcc, v20, v31, vcc
	global_load_dwordx2 v[36:37], v[17:18], off
	global_load_dwordx2 v[38:39], v[30:31], off
	s_waitcnt vmcnt(3)
	v_fmac_f32_e32 v9, v40, v32
	v_fmac_f32_e32 v16, v41, v32
	v_add_u32_e32 v10, -15, v8
	s_waitcnt vmcnt(2)
	v_fmac_f32_e32 v15, v27, v22
	v_fma_f32 v13, -v41, v33, v9
	v_fmac_f32_e32 v16, v40, v33
	v_lshlrev_b64 v[32:33], 3, v[10:11]
	v_fmac_f32_e32 v7, v26, v22
	v_fmac_f32_e32 v15, v26, v23
	v_add_u32_e32 v10, 4, v12
	v_fma_f32 v7, -v27, v23, v7
	v_fmac_f32_e32 v15, v29, v24
	v_fmac_f32_e32 v7, v28, v24
	;; [unrolled: 1-line block ×3, first 2 shown]
	v_lshlrev_b64 v[26:27], 3, v[10:11]
	v_add_co_u32_e32 v28, vcc, s12, v32
	v_fma_f32 v7, -v29, v25, v7
	v_add_u32_e32 v10, -5, v8
	v_addc_co_u32_e32 v29, vcc, v20, v33, vcc
	v_add_co_u32_e32 v26, vcc, s14, v26
	v_lshlrev_b64 v[9:10], 3, v[10:11]
	v_addc_co_u32_e32 v27, vcc, v21, v27, vcc
	v_add_co_u32_e32 v32, vcc, s12, v9
	v_addc_co_u32_e32 v33, vcc, v20, v10, vcc
	v_add_u32_e32 v10, -14, v8
	global_load_dwordx2 v[17:18], v[28:29], off
	s_waitcnt vmcnt(2)
	v_fmac_f32_e32 v13, v36, v22
	v_fmac_f32_e32 v16, v37, v22
	v_fma_f32 v9, -v37, v23, v13
	v_fmac_f32_e32 v16, v36, v23
	v_lshlrev_b64 v[22:23], 3, v[10:11]
	v_add_u32_e32 v10, -4, v8
	s_waitcnt vmcnt(1)
	v_fmac_f32_e32 v9, v38, v24
	v_fmac_f32_e32 v16, v39, v24
	v_fma_f32 v13, -v39, v25, v9
	v_fmac_f32_e32 v16, v38, v25
	v_lshlrev_b64 v[24:25], 3, v[10:11]
	v_add_co_u32_e32 v28, vcc, s12, v22
	v_add_u32_e32 v10, -13, v8
	v_addc_co_u32_e32 v29, vcc, v20, v23, vcc
	v_lshlrev_b64 v[22:23], 3, v[10:11]
	v_add_co_u32_e32 v30, vcc, s12, v24
	v_addc_co_u32_e32 v31, vcc, v20, v25, vcc
	v_add_co_u32_e32 v36, vcc, s12, v22
	v_addc_co_u32_e32 v37, vcc, v20, v23, vcc
	global_load_dwordx4 v[22:25], v[26:27], off
	v_add_u32_e32 v10, 6, v12
	v_lshlrev_b64 v[9:10], 3, v[10:11]
	v_add_co_u32_e32 v38, vcc, s14, v9
	v_addc_co_u32_e32 v39, vcc, v21, v10, vcc
	v_add_u32_e32 v10, -3, v8
	v_lshlrev_b64 v[9:10], 3, v[10:11]
	v_add_co_u32_e32 v40, vcc, s12, v9
	v_addc_co_u32_e32 v41, vcc, v20, v10, vcc
	s_waitcnt vmcnt(0)
	v_fmac_f32_e32 v7, v17, v22
	v_fmac_f32_e32 v15, v18, v22
	v_fma_f32 v7, -v18, v23, v7
	v_fmac_f32_e32 v15, v17, v23
	global_load_dwordx2 v[9:10], v[32:33], off
	global_load_dwordx2 v[17:18], v[28:29], off
	;; [unrolled: 1-line block ×4, first 2 shown]
	s_waitcnt vmcnt(3)
	v_fmac_f32_e32 v13, v9, v22
	v_fmac_f32_e32 v16, v10, v22
	v_fma_f32 v13, -v10, v23, v13
	v_add_u32_e32 v10, -12, v8
	s_waitcnt vmcnt(2)
	v_fmac_f32_e32 v7, v17, v24
	v_fmac_f32_e32 v15, v18, v24
	v_fma_f32 v7, -v18, v25, v7
	v_fmac_f32_e32 v15, v17, v25
	v_lshlrev_b64 v[17:18], 3, v[10:11]
	v_add_u32_e32 v10, -2, v8
	v_fmac_f32_e32 v16, v9, v23
	v_lshlrev_b64 v[22:23], 3, v[10:11]
	v_add_co_u32_e32 v17, vcc, s12, v17
	s_waitcnt vmcnt(1)
	v_fmac_f32_e32 v13, v26, v24
	v_fmac_f32_e32 v16, v27, v24
	v_add_u32_e32 v10, -11, v8
	v_addc_co_u32_e32 v18, vcc, v20, v18, vcc
	v_fma_f32 v44, -v27, v25, v13
	v_fmac_f32_e32 v16, v26, v25
	v_lshlrev_b64 v[24:25], 3, v[10:11]
	v_add_u32_e32 v10, 8, v12
	v_add_co_u32_e32 v12, vcc, s12, v22
	v_addc_co_u32_e32 v13, vcc, v20, v23, vcc
	v_lshlrev_b64 v[22:23], 3, v[10:11]
	v_add_co_u32_e32 v26, vcc, s12, v24
	v_addc_co_u32_e32 v27, vcc, v20, v25, vcc
	v_add_co_u32_e32 v30, vcc, s14, v22
	v_addc_co_u32_e32 v31, vcc, v21, v23, vcc
	global_load_dwordx4 v[22:25], v[38:39], off
	v_add_u32_e32 v10, -1, v8
	v_lshlrev_b64 v[9:10], 3, v[10:11]
	v_add_co_u32_e32 v32, vcc, s12, v9
	v_addc_co_u32_e32 v33, vcc, v20, v10, vcc
	v_add_u32_e32 v10, -10, v8
	v_lshlrev_b64 v[9:10], 3, v[10:11]
	v_add_u32_e32 v8, 0x50, v8
	v_add_co_u32_e32 v9, vcc, s12, v9
	v_addc_co_u32_e32 v10, vcc, v20, v10, vcc
	v_cmp_ge_i32_e32 vcc, v6, v14
	s_or_b64 s[0:1], vcc, s[0:1]
	s_waitcnt vmcnt(0)
	v_fmac_f32_e32 v7, v42, v22
	v_fmac_f32_e32 v15, v43, v22
	v_fma_f32 v7, -v43, v23, v7
	v_fmac_f32_e32 v15, v42, v23
	global_load_dwordx2 v[28:29], v[40:41], off
	global_load_dwordx2 v[36:37], v[17:18], off
	global_load_dwordx2 v[38:39], v[12:13], off
	global_load_dwordx2 v[42:43], v[26:27], off
	s_waitcnt vmcnt(3)
	v_fmac_f32_e32 v44, v28, v22
	v_fmac_f32_e32 v16, v29, v22
	v_fma_f32 v40, -v29, v23, v44
	v_fmac_f32_e32 v16, v28, v23
	global_load_dwordx4 v[26:29], v[30:31], off
	global_load_dwordx2 v[12:13], v[32:33], off
	global_load_dwordx2 v[17:18], v[9:10], off
	;; [unrolled: 1-line block ×3, first 2 shown]
	s_waitcnt vmcnt(6)
	v_fmac_f32_e32 v7, v36, v24
	v_fmac_f32_e32 v15, v37, v24
	s_waitcnt vmcnt(5)
	v_fmac_f32_e32 v40, v38, v24
	v_fmac_f32_e32 v16, v39, v24
	v_fma_f32 v7, -v37, v25, v7
	v_fmac_f32_e32 v15, v36, v25
	v_fma_f32 v9, -v39, v25, v40
	v_fmac_f32_e32 v16, v38, v25
	s_waitcnt vmcnt(3)
	v_fmac_f32_e32 v7, v42, v26
	v_fmac_f32_e32 v15, v43, v26
	s_waitcnt vmcnt(2)
	v_fmac_f32_e32 v9, v12, v26
	v_fmac_f32_e32 v16, v13, v26
	v_fma_f32 v7, -v43, v27, v7
	v_fmac_f32_e32 v15, v42, v27
	v_fma_f32 v9, -v13, v27, v9
	v_fmac_f32_e32 v16, v12, v27
	;; [unrolled: 10-line block ×3, first 2 shown]
	s_andn2_b64 exec, exec, s[0:1]
	s_cbranch_execnz .LBB192_13
; %bb.14:
	s_or_b64 exec, exec, s[0:1]
.LBB192_15:
	s_or_b64 exec, exec, s[6:7]
.LBB192_16:
	v_mov_b32_dpp v6, v18 row_shr:1 row_mask:0xf bank_mask:0xf
	v_mov_b32_dpp v8, v15 row_shr:1 row_mask:0xf bank_mask:0xf
	;; [unrolled: 1-line block ×4, first 2 shown]
	v_add_f32_e32 v6, v18, v6
	v_add_f32_e32 v8, v15, v8
	v_add_f32_e32 v10, v17, v10
	v_add_f32_e32 v12, v16, v12
	v_mov_b32_dpp v7, v6 row_shr:2 row_mask:0xf bank_mask:0xf
	v_mov_b32_dpp v9, v8 row_shr:2 row_mask:0xf bank_mask:0xf
	;; [unrolled: 1-line block ×4, first 2 shown]
	v_cmp_eq_u32_e32 vcc, 3, v0
	s_and_b64 exec, exec, vcc
	s_cbranch_execz .LBB192_21
; %bb.17:
	s_load_dwordx2 s[2:3], s[4:5], 0x38
	v_cmp_eq_f32_e32 vcc, 0, v3
	v_cmp_eq_f32_e64 s[0:1], 0, v4
	v_add_f32_e32 v7, v6, v7
	v_add_f32_e32 v8, v8, v9
	;; [unrolled: 1-line block ×4, first 2 shown]
	s_and_b64 s[0:1], vcc, s[0:1]
	s_and_saveexec_b64 s[4:5], s[0:1]
	s_xor_b64 s[0:1], exec, s[4:5]
	s_cbranch_execz .LBB192_19
; %bb.18:
	v_mul_f32_e64 v3, v8, -v2
	v_mul_f32_e32 v4, v1, v8
	v_fmac_f32_e32 v3, v1, v7
	v_fmac_f32_e32 v4, v2, v7
	v_lshlrev_b32_e32 v7, 1, v5
	v_ashrrev_i32_e32 v8, 31, v7
	v_lshlrev_b64 v[7:8], 3, v[7:8]
	s_waitcnt lgkmcnt(0)
	v_mov_b32_e32 v5, s3
	v_add_co_u32_e32 v7, vcc, s2, v7
	v_addc_co_u32_e32 v8, vcc, v5, v8, vcc
	v_mul_f32_e64 v5, v6, -v2
	v_mul_f32_e32 v6, v1, v6
	v_fmac_f32_e32 v5, v1, v0
	v_fmac_f32_e32 v6, v2, v0
	global_store_dwordx4 v[7:8], v[3:6], off
                                        ; implicit-def: $vgpr5
                                        ; implicit-def: $vgpr1_vgpr2
                                        ; implicit-def: $vgpr8
                                        ; implicit-def: $vgpr7
                                        ; implicit-def: $vgpr3_vgpr4
                                        ; implicit-def: $vgpr6
                                        ; implicit-def: $vgpr0
.LBB192_19:
	s_andn2_saveexec_b64 s[0:1], s[0:1]
	s_cbranch_execz .LBB192_21
; %bb.20:
	v_lshlrev_b32_e32 v9, 1, v5
	v_ashrrev_i32_e32 v10, 31, v9
	v_lshlrev_b64 v[9:10], 3, v[9:10]
	s_waitcnt lgkmcnt(0)
	v_mov_b32_e32 v5, s3
	v_add_co_u32_e32 v17, vcc, s2, v9
	v_addc_co_u32_e32 v18, vcc, v5, v10, vcc
	global_load_dwordx4 v[9:12], v[17:18], off
	v_mul_f32_e64 v5, v8, -v2
	v_mul_f32_e32 v14, v1, v8
	v_mul_f32_e64 v8, v6, -v2
	v_mul_f32_e32 v16, v1, v6
	v_fmac_f32_e32 v5, v1, v7
	v_fmac_f32_e32 v14, v2, v7
	v_fmac_f32_e32 v8, v1, v0
	v_fmac_f32_e32 v16, v2, v0
	s_waitcnt vmcnt(0)
	v_fmac_f32_e32 v5, v3, v9
	v_fmac_f32_e32 v14, v4, v9
	;; [unrolled: 1-line block ×4, first 2 shown]
	v_fma_f32 v13, -v4, v10, v5
	v_fmac_f32_e32 v14, v3, v10
	v_fma_f32 v15, -v4, v12, v8
	v_fmac_f32_e32 v16, v3, v12
	global_store_dwordx4 v[17:18], v[13:16], off
.LBB192_21:
	s_endpgm
	.section	.rodata,"a",@progbits
	.p2align	6, 0x0
	.amdhsa_kernel _ZN9rocsparseL19gebsrmvn_2xn_kernelILj128ELj10ELj4E21rocsparse_complex_numIfEEEvi20rocsparse_direction_NS_24const_host_device_scalarIT2_EEPKiS8_PKS5_SA_S6_PS5_21rocsparse_index_base_b
		.amdhsa_group_segment_fixed_size 0
		.amdhsa_private_segment_fixed_size 0
		.amdhsa_kernarg_size 72
		.amdhsa_user_sgpr_count 6
		.amdhsa_user_sgpr_private_segment_buffer 1
		.amdhsa_user_sgpr_dispatch_ptr 0
		.amdhsa_user_sgpr_queue_ptr 0
		.amdhsa_user_sgpr_kernarg_segment_ptr 1
		.amdhsa_user_sgpr_dispatch_id 0
		.amdhsa_user_sgpr_flat_scratch_init 0
		.amdhsa_user_sgpr_private_segment_size 0
		.amdhsa_uses_dynamic_stack 0
		.amdhsa_system_sgpr_private_segment_wavefront_offset 0
		.amdhsa_system_sgpr_workgroup_id_x 1
		.amdhsa_system_sgpr_workgroup_id_y 0
		.amdhsa_system_sgpr_workgroup_id_z 0
		.amdhsa_system_sgpr_workgroup_info 0
		.amdhsa_system_vgpr_workitem_id 0
		.amdhsa_next_free_vgpr 51
		.amdhsa_next_free_sgpr 16
		.amdhsa_reserve_vcc 1
		.amdhsa_reserve_flat_scratch 0
		.amdhsa_float_round_mode_32 0
		.amdhsa_float_round_mode_16_64 0
		.amdhsa_float_denorm_mode_32 3
		.amdhsa_float_denorm_mode_16_64 3
		.amdhsa_dx10_clamp 1
		.amdhsa_ieee_mode 1
		.amdhsa_fp16_overflow 0
		.amdhsa_exception_fp_ieee_invalid_op 0
		.amdhsa_exception_fp_denorm_src 0
		.amdhsa_exception_fp_ieee_div_zero 0
		.amdhsa_exception_fp_ieee_overflow 0
		.amdhsa_exception_fp_ieee_underflow 0
		.amdhsa_exception_fp_ieee_inexact 0
		.amdhsa_exception_int_div_zero 0
	.end_amdhsa_kernel
	.section	.text._ZN9rocsparseL19gebsrmvn_2xn_kernelILj128ELj10ELj4E21rocsparse_complex_numIfEEEvi20rocsparse_direction_NS_24const_host_device_scalarIT2_EEPKiS8_PKS5_SA_S6_PS5_21rocsparse_index_base_b,"axG",@progbits,_ZN9rocsparseL19gebsrmvn_2xn_kernelILj128ELj10ELj4E21rocsparse_complex_numIfEEEvi20rocsparse_direction_NS_24const_host_device_scalarIT2_EEPKiS8_PKS5_SA_S6_PS5_21rocsparse_index_base_b,comdat
.Lfunc_end192:
	.size	_ZN9rocsparseL19gebsrmvn_2xn_kernelILj128ELj10ELj4E21rocsparse_complex_numIfEEEvi20rocsparse_direction_NS_24const_host_device_scalarIT2_EEPKiS8_PKS5_SA_S6_PS5_21rocsparse_index_base_b, .Lfunc_end192-_ZN9rocsparseL19gebsrmvn_2xn_kernelILj128ELj10ELj4E21rocsparse_complex_numIfEEEvi20rocsparse_direction_NS_24const_host_device_scalarIT2_EEPKiS8_PKS5_SA_S6_PS5_21rocsparse_index_base_b
                                        ; -- End function
	.set _ZN9rocsparseL19gebsrmvn_2xn_kernelILj128ELj10ELj4E21rocsparse_complex_numIfEEEvi20rocsparse_direction_NS_24const_host_device_scalarIT2_EEPKiS8_PKS5_SA_S6_PS5_21rocsparse_index_base_b.num_vgpr, 51
	.set _ZN9rocsparseL19gebsrmvn_2xn_kernelILj128ELj10ELj4E21rocsparse_complex_numIfEEEvi20rocsparse_direction_NS_24const_host_device_scalarIT2_EEPKiS8_PKS5_SA_S6_PS5_21rocsparse_index_base_b.num_agpr, 0
	.set _ZN9rocsparseL19gebsrmvn_2xn_kernelILj128ELj10ELj4E21rocsparse_complex_numIfEEEvi20rocsparse_direction_NS_24const_host_device_scalarIT2_EEPKiS8_PKS5_SA_S6_PS5_21rocsparse_index_base_b.numbered_sgpr, 16
	.set _ZN9rocsparseL19gebsrmvn_2xn_kernelILj128ELj10ELj4E21rocsparse_complex_numIfEEEvi20rocsparse_direction_NS_24const_host_device_scalarIT2_EEPKiS8_PKS5_SA_S6_PS5_21rocsparse_index_base_b.num_named_barrier, 0
	.set _ZN9rocsparseL19gebsrmvn_2xn_kernelILj128ELj10ELj4E21rocsparse_complex_numIfEEEvi20rocsparse_direction_NS_24const_host_device_scalarIT2_EEPKiS8_PKS5_SA_S6_PS5_21rocsparse_index_base_b.private_seg_size, 0
	.set _ZN9rocsparseL19gebsrmvn_2xn_kernelILj128ELj10ELj4E21rocsparse_complex_numIfEEEvi20rocsparse_direction_NS_24const_host_device_scalarIT2_EEPKiS8_PKS5_SA_S6_PS5_21rocsparse_index_base_b.uses_vcc, 1
	.set _ZN9rocsparseL19gebsrmvn_2xn_kernelILj128ELj10ELj4E21rocsparse_complex_numIfEEEvi20rocsparse_direction_NS_24const_host_device_scalarIT2_EEPKiS8_PKS5_SA_S6_PS5_21rocsparse_index_base_b.uses_flat_scratch, 0
	.set _ZN9rocsparseL19gebsrmvn_2xn_kernelILj128ELj10ELj4E21rocsparse_complex_numIfEEEvi20rocsparse_direction_NS_24const_host_device_scalarIT2_EEPKiS8_PKS5_SA_S6_PS5_21rocsparse_index_base_b.has_dyn_sized_stack, 0
	.set _ZN9rocsparseL19gebsrmvn_2xn_kernelILj128ELj10ELj4E21rocsparse_complex_numIfEEEvi20rocsparse_direction_NS_24const_host_device_scalarIT2_EEPKiS8_PKS5_SA_S6_PS5_21rocsparse_index_base_b.has_recursion, 0
	.set _ZN9rocsparseL19gebsrmvn_2xn_kernelILj128ELj10ELj4E21rocsparse_complex_numIfEEEvi20rocsparse_direction_NS_24const_host_device_scalarIT2_EEPKiS8_PKS5_SA_S6_PS5_21rocsparse_index_base_b.has_indirect_call, 0
	.section	.AMDGPU.csdata,"",@progbits
; Kernel info:
; codeLenInByte = 2884
; TotalNumSgprs: 20
; NumVgprs: 51
; ScratchSize: 0
; MemoryBound: 0
; FloatMode: 240
; IeeeMode: 1
; LDSByteSize: 0 bytes/workgroup (compile time only)
; SGPRBlocks: 2
; VGPRBlocks: 12
; NumSGPRsForWavesPerEU: 20
; NumVGPRsForWavesPerEU: 51
; Occupancy: 4
; WaveLimiterHint : 1
; COMPUTE_PGM_RSRC2:SCRATCH_EN: 0
; COMPUTE_PGM_RSRC2:USER_SGPR: 6
; COMPUTE_PGM_RSRC2:TRAP_HANDLER: 0
; COMPUTE_PGM_RSRC2:TGID_X_EN: 1
; COMPUTE_PGM_RSRC2:TGID_Y_EN: 0
; COMPUTE_PGM_RSRC2:TGID_Z_EN: 0
; COMPUTE_PGM_RSRC2:TIDIG_COMP_CNT: 0
	.section	.text._ZN9rocsparseL19gebsrmvn_2xn_kernelILj128ELj10ELj8E21rocsparse_complex_numIfEEEvi20rocsparse_direction_NS_24const_host_device_scalarIT2_EEPKiS8_PKS5_SA_S6_PS5_21rocsparse_index_base_b,"axG",@progbits,_ZN9rocsparseL19gebsrmvn_2xn_kernelILj128ELj10ELj8E21rocsparse_complex_numIfEEEvi20rocsparse_direction_NS_24const_host_device_scalarIT2_EEPKiS8_PKS5_SA_S6_PS5_21rocsparse_index_base_b,comdat
	.globl	_ZN9rocsparseL19gebsrmvn_2xn_kernelILj128ELj10ELj8E21rocsparse_complex_numIfEEEvi20rocsparse_direction_NS_24const_host_device_scalarIT2_EEPKiS8_PKS5_SA_S6_PS5_21rocsparse_index_base_b ; -- Begin function _ZN9rocsparseL19gebsrmvn_2xn_kernelILj128ELj10ELj8E21rocsparse_complex_numIfEEEvi20rocsparse_direction_NS_24const_host_device_scalarIT2_EEPKiS8_PKS5_SA_S6_PS5_21rocsparse_index_base_b
	.p2align	8
	.type	_ZN9rocsparseL19gebsrmvn_2xn_kernelILj128ELj10ELj8E21rocsparse_complex_numIfEEEvi20rocsparse_direction_NS_24const_host_device_scalarIT2_EEPKiS8_PKS5_SA_S6_PS5_21rocsparse_index_base_b,@function
_ZN9rocsparseL19gebsrmvn_2xn_kernelILj128ELj10ELj8E21rocsparse_complex_numIfEEEvi20rocsparse_direction_NS_24const_host_device_scalarIT2_EEPKiS8_PKS5_SA_S6_PS5_21rocsparse_index_base_b: ; @_ZN9rocsparseL19gebsrmvn_2xn_kernelILj128ELj10ELj8E21rocsparse_complex_numIfEEEvi20rocsparse_direction_NS_24const_host_device_scalarIT2_EEPKiS8_PKS5_SA_S6_PS5_21rocsparse_index_base_b
; %bb.0:
	s_load_dwordx2 s[0:1], s[4:5], 0x8
	s_load_dwordx2 s[8:9], s[4:5], 0x30
	;; [unrolled: 1-line block ×3, first 2 shown]
	s_add_u32 s7, s4, 8
	s_addc_u32 s10, s5, 0
	s_add_u32 s11, s4, 48
	s_addc_u32 s12, s5, 0
	s_waitcnt lgkmcnt(0)
	s_bitcmp1_b32 s3, 0
	s_cselect_b32 s1, s10, s1
	s_cselect_b32 s0, s7, s0
	v_mov_b32_e32 v1, s0
	v_mov_b32_e32 v2, s1
	flat_load_dwordx2 v[1:2], v[1:2]
	s_cselect_b32 s0, s12, s9
	s_cselect_b32 s1, s11, s8
	v_mov_b32_e32 v3, s1
	v_mov_b32_e32 v4, s0
	flat_load_dwordx2 v[3:4], v[3:4]
	s_waitcnt vmcnt(0) lgkmcnt(0)
	v_cmp_eq_f32_e32 vcc, 0, v1
	v_cmp_eq_f32_e64 s[0:1], 0, v2
	s_and_b64 s[10:11], vcc, s[0:1]
	s_mov_b64 s[0:1], -1
	s_and_saveexec_b64 s[8:9], s[10:11]
; %bb.1:
	v_cmp_neq_f32_e32 vcc, 1.0, v3
	v_cmp_neq_f32_e64 s[0:1], 0, v4
	s_or_b64 s[0:1], vcc, s[0:1]
	s_orn2_b64 s[0:1], s[0:1], exec
; %bb.2:
	s_or_b64 exec, exec, s[8:9]
	s_and_saveexec_b64 s[8:9], s[0:1]
	s_cbranch_execz .LBB193_21
; %bb.3:
	s_load_dwordx2 s[0:1], s[4:5], 0x0
	v_lshrrev_b32_e32 v5, 3, v0
	v_lshl_or_b32 v5, s6, 4, v5
	s_waitcnt lgkmcnt(0)
	v_cmp_gt_i32_e32 vcc, s0, v5
	s_and_b64 exec, exec, vcc
	s_cbranch_execz .LBB193_21
; %bb.4:
	s_load_dwordx8 s[8:15], s[4:5], 0x10
	v_ashrrev_i32_e32 v6, 31, v5
	v_lshlrev_b64 v[6:7], 2, v[5:6]
	v_and_b32_e32 v0, 7, v0
	s_cmp_lg_u32 s1, 0
	s_waitcnt lgkmcnt(0)
	v_mov_b32_e32 v8, s9
	v_add_co_u32_e32 v6, vcc, s8, v6
	v_addc_co_u32_e32 v7, vcc, v8, v7, vcc
	global_load_dwordx2 v[6:7], v[6:7], off
	s_waitcnt vmcnt(0)
	v_subrev_u32_e32 v6, s2, v6
	v_subrev_u32_e32 v14, s2, v7
	v_add_u32_e32 v6, v6, v0
	v_cmp_lt_i32_e64 s[0:1], v6, v14
	s_cbranch_scc0 .LBB193_10
; %bb.5:
	v_mov_b32_e32 v15, 0
	v_mov_b32_e32 v18, 0
	;; [unrolled: 1-line block ×4, first 2 shown]
	s_and_saveexec_b64 s[6:7], s[0:1]
	s_cbranch_execz .LBB193_9
; %bb.6:
	v_mad_u64_u32 v[7:8], s[8:9], v6, 20, 18
	v_mov_b32_e32 v10, 0
	s_mov_b64 s[8:9], 0
	v_mov_b32_e32 v13, s11
	v_mov_b32_e32 v19, s13
	;; [unrolled: 1-line block ×8, first 2 shown]
.LBB193_7:                              ; =>This Inner Loop Header: Depth=1
	v_ashrrev_i32_e32 v12, 31, v11
	v_lshlrev_b64 v[21:22], 2, v[11:12]
	v_subrev_u32_e32 v9, 18, v7
	v_lshlrev_b64 v[23:24], 3, v[9:10]
	v_add_co_u32_e32 v29, vcc, s10, v21
	v_mov_b32_e32 v8, v10
	v_addc_co_u32_e32 v30, vcc, v13, v22, vcc
	v_lshlrev_b64 v[25:26], 3, v[7:8]
	v_add_co_u32_e32 v31, vcc, s12, v23
	v_addc_co_u32_e32 v32, vcc, v19, v24, vcc
	v_add_co_u32_e32 v49, vcc, s12, v25
	v_addc_co_u32_e32 v50, vcc, v19, v26, vcc
	global_load_dword v12, v[29:30], off
	global_load_dwordx4 v[21:24], v[31:32], off
	global_load_dwordx4 v[25:28], v[31:32], off offset:16
	v_add_u32_e32 v9, -14, v7
	v_lshlrev_b64 v[8:9], 3, v[9:10]
	v_mov_b32_e32 v42, v10
	v_add_co_u32_e32 v8, vcc, s12, v8
	v_addc_co_u32_e32 v9, vcc, v19, v9, vcc
	global_load_dwordx4 v[29:32], v[8:9], off
	v_add_u32_e32 v11, 8, v11
	s_waitcnt vmcnt(3)
	v_subrev_u32_e32 v8, s2, v12
	v_mul_lo_u32 v41, v8, 10
	v_lshlrev_b64 v[33:34], 3, v[41:42]
	v_add_u32_e32 v9, 2, v41
	v_add_co_u32_e32 v33, vcc, s14, v33
	v_addc_co_u32_e32 v34, vcc, v20, v34, vcc
	global_load_dwordx4 v[33:36], v[33:34], off
	v_lshlrev_b64 v[37:38], 3, v[9:10]
	v_add_u32_e32 v9, -12, v7
	v_add_co_u32_e32 v37, vcc, s14, v37
	v_addc_co_u32_e32 v38, vcc, v20, v38, vcc
	global_load_dwordx4 v[37:40], v[37:38], off
	v_lshlrev_b64 v[42:43], 3, v[9:10]
	v_add_u32_e32 v9, -10, v7
	v_add_co_u32_e32 v42, vcc, s12, v42
	v_addc_co_u32_e32 v43, vcc, v19, v43, vcc
	v_lshlrev_b64 v[44:45], 3, v[9:10]
	v_add_u32_e32 v9, 4, v41
	v_lshlrev_b64 v[46:47], 3, v[9:10]
	v_add_u32_e32 v9, -8, v7
	s_waitcnt vmcnt(1)
	v_fmac_f32_e32 v18, v21, v33
	v_fmac_f32_e32 v15, v22, v33
	;; [unrolled: 1-line block ×4, first 2 shown]
	v_fma_f32 v8, -v22, v34, v18
	v_fmac_f32_e32 v15, v21, v34
	v_fma_f32 v12, -v24, v34, v17
	v_fmac_f32_e32 v16, v23, v34
	global_load_dwordx4 v[21:24], v[42:43], off
	v_add_co_u32_e32 v17, vcc, s12, v44
	v_addc_co_u32_e32 v18, vcc, v19, v45, vcc
	v_fmac_f32_e32 v8, v25, v35
	v_fmac_f32_e32 v15, v26, v35
	;; [unrolled: 1-line block ×4, first 2 shown]
	v_lshlrev_b64 v[42:43], 3, v[9:10]
	v_fma_f32 v8, -v26, v36, v8
	v_fmac_f32_e32 v15, v25, v36
	v_fma_f32 v12, -v28, v36, v12
	v_fmac_f32_e32 v16, v27, v36
	global_load_dwordx4 v[25:28], v[17:18], off
	v_add_co_u32_e32 v17, vcc, s14, v46
	v_addc_co_u32_e32 v18, vcc, v20, v47, vcc
	global_load_dwordx4 v[33:36], v[17:18], off
	v_add_co_u32_e32 v17, vcc, s12, v42
	v_addc_co_u32_e32 v18, vcc, v19, v43, vcc
	s_waitcnt vmcnt(3)
	v_fmac_f32_e32 v8, v29, v37
	v_fmac_f32_e32 v15, v30, v37
	;; [unrolled: 1-line block ×4, first 2 shown]
	v_fma_f32 v8, -v30, v38, v8
	v_fmac_f32_e32 v15, v29, v38
	v_fma_f32 v12, -v32, v38, v12
	v_fmac_f32_e32 v16, v31, v38
	global_load_dwordx4 v[29:32], v[17:18], off
	v_add_u32_e32 v9, -6, v7
	v_lshlrev_b64 v[44:45], 3, v[9:10]
	v_add_u32_e32 v9, 6, v41
	v_lshlrev_b64 v[42:43], 3, v[9:10]
	v_add_co_u32_e32 v17, vcc, s12, v44
	v_add_u32_e32 v9, -4, v7
	v_addc_co_u32_e32 v18, vcc, v19, v45, vcc
	v_lshlrev_b64 v[44:45], 3, v[9:10]
	v_add_u32_e32 v9, -2, v7
	v_add_u32_e32 v7, 0xa0, v7
	s_waitcnt vmcnt(3)
	v_fmac_f32_e32 v8, v21, v39
	v_fmac_f32_e32 v15, v22, v39
	;; [unrolled: 1-line block ×4, first 2 shown]
	v_fma_f32 v47, -v22, v40, v8
	v_fmac_f32_e32 v15, v21, v40
	v_fma_f32 v12, -v24, v40, v12
	v_fmac_f32_e32 v16, v23, v40
	global_load_dwordx4 v[21:24], v[17:18], off
	v_add_co_u32_e32 v17, vcc, s14, v42
	v_addc_co_u32_e32 v18, vcc, v20, v43, vcc
	v_lshlrev_b64 v[42:43], 3, v[9:10]
	global_load_dwordx4 v[37:40], v[17:18], off
	v_add_co_u32_e32 v17, vcc, s12, v44
	v_add_u32_e32 v9, 8, v41
	v_addc_co_u32_e32 v18, vcc, v19, v45, vcc
	v_lshlrev_b64 v[8:9], 3, v[9:10]
	v_add_co_u32_e32 v45, vcc, s12, v42
	v_addc_co_u32_e32 v46, vcc, v19, v43, vcc
	global_load_dwordx4 v[41:44], v[17:18], off
	v_add_co_u32_e32 v8, vcc, s14, v8
	s_waitcnt vmcnt(4)
	v_fmac_f32_e32 v47, v25, v33
	v_fmac_f32_e32 v15, v26, v33
	;; [unrolled: 1-line block ×4, first 2 shown]
	v_addc_co_u32_e32 v9, vcc, v20, v9, vcc
	v_fma_f32 v17, -v26, v34, v47
	v_fmac_f32_e32 v15, v25, v34
	v_fma_f32 v12, -v28, v34, v12
	v_fmac_f32_e32 v16, v27, v34
	global_load_dwordx4 v[25:28], v[45:46], off
	s_waitcnt vmcnt(4)
	v_fmac_f32_e32 v17, v29, v35
	global_load_dwordx4 v[45:48], v[8:9], off
	v_fmac_f32_e32 v15, v30, v35
	v_fmac_f32_e32 v12, v31, v35
	;; [unrolled: 1-line block ×3, first 2 shown]
	v_fma_f32 v8, -v30, v36, v17
	v_fmac_f32_e32 v15, v29, v36
	v_fma_f32 v9, -v32, v36, v12
	v_fmac_f32_e32 v16, v31, v36
	global_load_dwordx4 v[29:32], v[49:50], off
	v_cmp_ge_i32_e32 vcc, v11, v14
	s_or_b64 s[8:9], vcc, s[8:9]
	s_waitcnt vmcnt(4)
	v_fmac_f32_e32 v8, v21, v37
	v_fmac_f32_e32 v15, v22, v37
	v_fmac_f32_e32 v9, v23, v37
	v_fmac_f32_e32 v16, v24, v37
	v_fma_f32 v8, -v22, v38, v8
	v_fmac_f32_e32 v15, v21, v38
	v_fma_f32 v9, -v24, v38, v9
	v_fmac_f32_e32 v16, v23, v38
	s_waitcnt vmcnt(3)
	v_fmac_f32_e32 v8, v41, v39
	v_fmac_f32_e32 v15, v42, v39
	v_fmac_f32_e32 v9, v43, v39
	v_fmac_f32_e32 v16, v44, v39
	v_fma_f32 v8, -v42, v40, v8
	v_fmac_f32_e32 v15, v41, v40
	v_fma_f32 v9, -v44, v40, v9
	v_fmac_f32_e32 v16, v43, v40
	;; [unrolled: 9-line block ×4, first 2 shown]
	s_andn2_b64 exec, exec, s[8:9]
	s_cbranch_execnz .LBB193_7
; %bb.8:
	s_or_b64 exec, exec, s[8:9]
.LBB193_9:
	s_or_b64 exec, exec, s[6:7]
	s_cbranch_execz .LBB193_11
	s_branch .LBB193_16
.LBB193_10:
                                        ; implicit-def: $vgpr15
                                        ; implicit-def: $vgpr18
                                        ; implicit-def: $vgpr17
                                        ; implicit-def: $vgpr16
.LBB193_11:
	v_mov_b32_e32 v15, 0
	v_mov_b32_e32 v18, 0
	;; [unrolled: 1-line block ×4, first 2 shown]
	s_and_saveexec_b64 s[6:7], s[0:1]
	s_cbranch_execz .LBB193_15
; %bb.12:
	v_mad_u64_u32 v[8:9], s[0:1], v6, 20, 19
	v_mov_b32_e32 v11, 0
	s_mov_b64 s[0:1], 0
	v_mov_b32_e32 v19, s11
	v_mov_b32_e32 v20, s13
	v_mov_b32_e32 v21, s15
	v_mov_b32_e32 v15, 0
	v_mov_b32_e32 v18, 0
	v_mov_b32_e32 v17, 0
	v_mov_b32_e32 v16, 0
.LBB193_13:                             ; =>This Inner Loop Header: Depth=1
	v_ashrrev_i32_e32 v7, 31, v6
	v_lshlrev_b64 v[24:25], 2, v[6:7]
	v_subrev_u32_e32 v10, 19, v8
	v_lshlrev_b64 v[26:27], 3, v[10:11]
	v_add_co_u32_e32 v30, vcc, s10, v24
	v_addc_co_u32_e32 v31, vcc, v19, v25, vcc
	v_add_u32_e32 v22, -9, v8
	v_mov_b32_e32 v23, v11
	v_add_co_u32_e32 v32, vcc, s12, v26
	v_lshlrev_b64 v[34:35], 3, v[22:23]
	v_addc_co_u32_e32 v33, vcc, v20, v27, vcc
	global_load_dword v7, v[30:31], off
	global_load_dwordx4 v[22:25], v[32:33], off
	global_load_dwordx4 v[26:29], v[32:33], off offset:16
	v_mov_b32_e32 v13, v11
	v_mov_b32_e32 v9, v11
	v_lshlrev_b64 v[36:37], 3, v[8:9]
	v_add_u32_e32 v10, -8, v8
	v_lshlrev_b64 v[9:10], 3, v[10:11]
	v_add_u32_e32 v6, 8, v6
	s_waitcnt vmcnt(2)
	v_subrev_u32_e32 v7, s2, v7
	v_mul_lo_u32 v12, v7, 10
	v_lshlrev_b64 v[30:31], 3, v[12:13]
	v_add_co_u32_e32 v30, vcc, s14, v30
	v_addc_co_u32_e32 v31, vcc, v21, v31, vcc
	global_load_dwordx4 v[30:33], v[30:31], off
	s_waitcnt vmcnt(0)
	v_fmac_f32_e32 v15, v23, v30
	v_fmac_f32_e32 v18, v22, v30
	;; [unrolled: 1-line block ×3, first 2 shown]
	v_add_co_u32_e32 v22, vcc, s12, v34
	v_fma_f32 v7, -v23, v31, v18
	v_addc_co_u32_e32 v23, vcc, v20, v35, vcc
	v_add_co_u32_e32 v34, vcc, s12, v36
	v_fmac_f32_e32 v15, v25, v32
	v_addc_co_u32_e32 v35, vcc, v20, v37, vcc
	v_fmac_f32_e32 v7, v24, v32
	v_fmac_f32_e32 v15, v24, v33
	v_add_co_u32_e32 v24, vcc, s12, v9
	v_fma_f32 v7, -v25, v33, v7
	v_addc_co_u32_e32 v25, vcc, v20, v10, vcc
	global_load_dwordx2 v[38:39], v[22:23], off
	global_load_dwordx2 v[40:41], v[24:25], off
	v_add_u32_e32 v10, 2, v12
	v_lshlrev_b64 v[9:10], 3, v[10:11]
	v_add_co_u32_e32 v36, vcc, s14, v9
	v_addc_co_u32_e32 v37, vcc, v21, v10, vcc
	global_load_dwordx4 v[22:25], v[36:37], off
	v_add_u32_e32 v10, -7, v8
	s_waitcnt vmcnt(2)
	v_fmac_f32_e32 v17, v38, v30
	v_fma_f32 v9, -v39, v31, v17
	v_lshlrev_b64 v[17:18], 3, v[10:11]
	v_fmac_f32_e32 v16, v39, v30
	v_add_u32_e32 v10, -6, v8
	v_fmac_f32_e32 v16, v38, v31
	v_lshlrev_b64 v[30:31], 3, v[10:11]
	v_add_co_u32_e32 v17, vcc, s12, v17
	v_addc_co_u32_e32 v18, vcc, v20, v18, vcc
	v_add_co_u32_e32 v30, vcc, s12, v30
	v_addc_co_u32_e32 v31, vcc, v20, v31, vcc
	global_load_dwordx2 v[36:37], v[17:18], off
	global_load_dwordx2 v[38:39], v[30:31], off
	s_waitcnt vmcnt(3)
	v_fmac_f32_e32 v9, v40, v32
	v_fmac_f32_e32 v16, v41, v32
	v_add_u32_e32 v10, -15, v8
	s_waitcnt vmcnt(2)
	v_fmac_f32_e32 v15, v27, v22
	v_fma_f32 v13, -v41, v33, v9
	v_fmac_f32_e32 v16, v40, v33
	v_lshlrev_b64 v[32:33], 3, v[10:11]
	v_fmac_f32_e32 v7, v26, v22
	v_fmac_f32_e32 v15, v26, v23
	v_add_u32_e32 v10, 4, v12
	v_fma_f32 v7, -v27, v23, v7
	v_fmac_f32_e32 v15, v29, v24
	v_fmac_f32_e32 v7, v28, v24
	;; [unrolled: 1-line block ×3, first 2 shown]
	v_lshlrev_b64 v[26:27], 3, v[10:11]
	v_add_co_u32_e32 v28, vcc, s12, v32
	v_fma_f32 v7, -v29, v25, v7
	v_add_u32_e32 v10, -5, v8
	v_addc_co_u32_e32 v29, vcc, v20, v33, vcc
	v_add_co_u32_e32 v26, vcc, s14, v26
	v_lshlrev_b64 v[9:10], 3, v[10:11]
	v_addc_co_u32_e32 v27, vcc, v21, v27, vcc
	v_add_co_u32_e32 v32, vcc, s12, v9
	v_addc_co_u32_e32 v33, vcc, v20, v10, vcc
	v_add_u32_e32 v10, -14, v8
	global_load_dwordx2 v[17:18], v[28:29], off
	s_waitcnt vmcnt(2)
	v_fmac_f32_e32 v13, v36, v22
	v_fmac_f32_e32 v16, v37, v22
	v_fma_f32 v9, -v37, v23, v13
	v_fmac_f32_e32 v16, v36, v23
	v_lshlrev_b64 v[22:23], 3, v[10:11]
	v_add_u32_e32 v10, -4, v8
	s_waitcnt vmcnt(1)
	v_fmac_f32_e32 v9, v38, v24
	v_fmac_f32_e32 v16, v39, v24
	v_fma_f32 v13, -v39, v25, v9
	v_fmac_f32_e32 v16, v38, v25
	v_lshlrev_b64 v[24:25], 3, v[10:11]
	v_add_co_u32_e32 v28, vcc, s12, v22
	v_add_u32_e32 v10, -13, v8
	v_addc_co_u32_e32 v29, vcc, v20, v23, vcc
	v_lshlrev_b64 v[22:23], 3, v[10:11]
	v_add_co_u32_e32 v30, vcc, s12, v24
	v_addc_co_u32_e32 v31, vcc, v20, v25, vcc
	v_add_co_u32_e32 v36, vcc, s12, v22
	v_addc_co_u32_e32 v37, vcc, v20, v23, vcc
	global_load_dwordx4 v[22:25], v[26:27], off
	v_add_u32_e32 v10, 6, v12
	v_lshlrev_b64 v[9:10], 3, v[10:11]
	v_add_co_u32_e32 v38, vcc, s14, v9
	v_addc_co_u32_e32 v39, vcc, v21, v10, vcc
	v_add_u32_e32 v10, -3, v8
	v_lshlrev_b64 v[9:10], 3, v[10:11]
	v_add_co_u32_e32 v40, vcc, s12, v9
	v_addc_co_u32_e32 v41, vcc, v20, v10, vcc
	s_waitcnt vmcnt(0)
	v_fmac_f32_e32 v7, v17, v22
	v_fmac_f32_e32 v15, v18, v22
	v_fma_f32 v7, -v18, v23, v7
	v_fmac_f32_e32 v15, v17, v23
	global_load_dwordx2 v[9:10], v[32:33], off
	global_load_dwordx2 v[17:18], v[28:29], off
	;; [unrolled: 1-line block ×4, first 2 shown]
	s_waitcnt vmcnt(3)
	v_fmac_f32_e32 v13, v9, v22
	v_fmac_f32_e32 v16, v10, v22
	v_fma_f32 v13, -v10, v23, v13
	v_add_u32_e32 v10, -12, v8
	s_waitcnt vmcnt(2)
	v_fmac_f32_e32 v7, v17, v24
	v_fmac_f32_e32 v15, v18, v24
	v_fma_f32 v7, -v18, v25, v7
	v_fmac_f32_e32 v15, v17, v25
	v_lshlrev_b64 v[17:18], 3, v[10:11]
	v_add_u32_e32 v10, -2, v8
	v_fmac_f32_e32 v16, v9, v23
	v_lshlrev_b64 v[22:23], 3, v[10:11]
	v_add_co_u32_e32 v17, vcc, s12, v17
	s_waitcnt vmcnt(1)
	v_fmac_f32_e32 v13, v26, v24
	v_fmac_f32_e32 v16, v27, v24
	v_add_u32_e32 v10, -11, v8
	v_addc_co_u32_e32 v18, vcc, v20, v18, vcc
	v_fma_f32 v44, -v27, v25, v13
	v_fmac_f32_e32 v16, v26, v25
	v_lshlrev_b64 v[24:25], 3, v[10:11]
	v_add_u32_e32 v10, 8, v12
	v_add_co_u32_e32 v12, vcc, s12, v22
	v_addc_co_u32_e32 v13, vcc, v20, v23, vcc
	v_lshlrev_b64 v[22:23], 3, v[10:11]
	v_add_co_u32_e32 v26, vcc, s12, v24
	v_addc_co_u32_e32 v27, vcc, v20, v25, vcc
	v_add_co_u32_e32 v30, vcc, s14, v22
	v_addc_co_u32_e32 v31, vcc, v21, v23, vcc
	global_load_dwordx4 v[22:25], v[38:39], off
	v_add_u32_e32 v10, -1, v8
	v_lshlrev_b64 v[9:10], 3, v[10:11]
	v_add_co_u32_e32 v32, vcc, s12, v9
	v_addc_co_u32_e32 v33, vcc, v20, v10, vcc
	v_add_u32_e32 v10, -10, v8
	v_lshlrev_b64 v[9:10], 3, v[10:11]
	v_add_u32_e32 v8, 0xa0, v8
	v_add_co_u32_e32 v9, vcc, s12, v9
	v_addc_co_u32_e32 v10, vcc, v20, v10, vcc
	v_cmp_ge_i32_e32 vcc, v6, v14
	s_or_b64 s[0:1], vcc, s[0:1]
	s_waitcnt vmcnt(0)
	v_fmac_f32_e32 v7, v42, v22
	v_fmac_f32_e32 v15, v43, v22
	v_fma_f32 v7, -v43, v23, v7
	v_fmac_f32_e32 v15, v42, v23
	global_load_dwordx2 v[28:29], v[40:41], off
	global_load_dwordx2 v[36:37], v[17:18], off
	;; [unrolled: 1-line block ×4, first 2 shown]
	s_waitcnt vmcnt(3)
	v_fmac_f32_e32 v44, v28, v22
	v_fmac_f32_e32 v16, v29, v22
	v_fma_f32 v40, -v29, v23, v44
	v_fmac_f32_e32 v16, v28, v23
	global_load_dwordx4 v[26:29], v[30:31], off
	global_load_dwordx2 v[12:13], v[32:33], off
	global_load_dwordx2 v[17:18], v[9:10], off
	;; [unrolled: 1-line block ×3, first 2 shown]
	s_waitcnt vmcnt(6)
	v_fmac_f32_e32 v7, v36, v24
	v_fmac_f32_e32 v15, v37, v24
	s_waitcnt vmcnt(5)
	v_fmac_f32_e32 v40, v38, v24
	v_fmac_f32_e32 v16, v39, v24
	v_fma_f32 v7, -v37, v25, v7
	v_fmac_f32_e32 v15, v36, v25
	v_fma_f32 v9, -v39, v25, v40
	v_fmac_f32_e32 v16, v38, v25
	s_waitcnt vmcnt(3)
	v_fmac_f32_e32 v7, v42, v26
	v_fmac_f32_e32 v15, v43, v26
	s_waitcnt vmcnt(2)
	v_fmac_f32_e32 v9, v12, v26
	v_fmac_f32_e32 v16, v13, v26
	v_fma_f32 v7, -v43, v27, v7
	v_fmac_f32_e32 v15, v42, v27
	v_fma_f32 v9, -v13, v27, v9
	v_fmac_f32_e32 v16, v12, v27
	;; [unrolled: 10-line block ×3, first 2 shown]
	s_andn2_b64 exec, exec, s[0:1]
	s_cbranch_execnz .LBB193_13
; %bb.14:
	s_or_b64 exec, exec, s[0:1]
.LBB193_15:
	s_or_b64 exec, exec, s[6:7]
.LBB193_16:
	v_mov_b32_dpp v6, v18 row_shr:1 row_mask:0xf bank_mask:0xf
	v_mov_b32_dpp v8, v15 row_shr:1 row_mask:0xf bank_mask:0xf
	v_mov_b32_dpp v10, v17 row_shr:1 row_mask:0xf bank_mask:0xf
	v_mov_b32_dpp v12, v16 row_shr:1 row_mask:0xf bank_mask:0xf
	v_add_f32_e32 v6, v18, v6
	v_add_f32_e32 v8, v15, v8
	;; [unrolled: 1-line block ×4, first 2 shown]
	v_mov_b32_dpp v7, v6 row_shr:2 row_mask:0xf bank_mask:0xf
	v_mov_b32_dpp v9, v8 row_shr:2 row_mask:0xf bank_mask:0xf
	;; [unrolled: 1-line block ×4, first 2 shown]
	v_add_f32_e32 v6, v6, v7
	v_add_f32_e32 v8, v8, v9
	;; [unrolled: 1-line block ×4, first 2 shown]
	v_mov_b32_dpp v7, v6 row_shr:4 row_mask:0xf bank_mask:0xe
	v_mov_b32_dpp v9, v8 row_shr:4 row_mask:0xf bank_mask:0xe
	;; [unrolled: 1-line block ×4, first 2 shown]
	v_cmp_eq_u32_e32 vcc, 7, v0
	s_and_b64 exec, exec, vcc
	s_cbranch_execz .LBB193_21
; %bb.17:
	s_load_dwordx2 s[2:3], s[4:5], 0x38
	v_cmp_eq_f32_e32 vcc, 0, v3
	v_cmp_eq_f32_e64 s[0:1], 0, v4
	v_add_f32_e32 v7, v6, v7
	v_add_f32_e32 v8, v8, v9
	;; [unrolled: 1-line block ×4, first 2 shown]
	s_and_b64 s[0:1], vcc, s[0:1]
	s_and_saveexec_b64 s[4:5], s[0:1]
	s_xor_b64 s[0:1], exec, s[4:5]
	s_cbranch_execz .LBB193_19
; %bb.18:
	v_mul_f32_e64 v3, v8, -v2
	v_mul_f32_e32 v4, v1, v8
	v_fmac_f32_e32 v3, v1, v7
	v_fmac_f32_e32 v4, v2, v7
	v_lshlrev_b32_e32 v7, 1, v5
	v_ashrrev_i32_e32 v8, 31, v7
	v_lshlrev_b64 v[7:8], 3, v[7:8]
	s_waitcnt lgkmcnt(0)
	v_mov_b32_e32 v5, s3
	v_add_co_u32_e32 v7, vcc, s2, v7
	v_addc_co_u32_e32 v8, vcc, v5, v8, vcc
	v_mul_f32_e64 v5, v6, -v2
	v_mul_f32_e32 v6, v1, v6
	v_fmac_f32_e32 v5, v1, v0
	v_fmac_f32_e32 v6, v2, v0
	global_store_dwordx4 v[7:8], v[3:6], off
                                        ; implicit-def: $vgpr5
                                        ; implicit-def: $vgpr1_vgpr2
                                        ; implicit-def: $vgpr8
                                        ; implicit-def: $vgpr7
                                        ; implicit-def: $vgpr3_vgpr4
                                        ; implicit-def: $vgpr6
                                        ; implicit-def: $vgpr0
.LBB193_19:
	s_andn2_saveexec_b64 s[0:1], s[0:1]
	s_cbranch_execz .LBB193_21
; %bb.20:
	v_lshlrev_b32_e32 v9, 1, v5
	v_ashrrev_i32_e32 v10, 31, v9
	v_lshlrev_b64 v[9:10], 3, v[9:10]
	s_waitcnt lgkmcnt(0)
	v_mov_b32_e32 v5, s3
	v_add_co_u32_e32 v17, vcc, s2, v9
	v_addc_co_u32_e32 v18, vcc, v5, v10, vcc
	global_load_dwordx4 v[9:12], v[17:18], off
	v_mul_f32_e64 v5, v8, -v2
	v_mul_f32_e32 v14, v1, v8
	v_mul_f32_e64 v8, v6, -v2
	v_mul_f32_e32 v16, v1, v6
	v_fmac_f32_e32 v5, v1, v7
	v_fmac_f32_e32 v14, v2, v7
	;; [unrolled: 1-line block ×4, first 2 shown]
	s_waitcnt vmcnt(0)
	v_fmac_f32_e32 v5, v3, v9
	v_fmac_f32_e32 v14, v4, v9
	;; [unrolled: 1-line block ×4, first 2 shown]
	v_fma_f32 v13, -v4, v10, v5
	v_fmac_f32_e32 v14, v3, v10
	v_fma_f32 v15, -v4, v12, v8
	v_fmac_f32_e32 v16, v3, v12
	global_store_dwordx4 v[17:18], v[13:16], off
.LBB193_21:
	s_endpgm
	.section	.rodata,"a",@progbits
	.p2align	6, 0x0
	.amdhsa_kernel _ZN9rocsparseL19gebsrmvn_2xn_kernelILj128ELj10ELj8E21rocsparse_complex_numIfEEEvi20rocsparse_direction_NS_24const_host_device_scalarIT2_EEPKiS8_PKS5_SA_S6_PS5_21rocsparse_index_base_b
		.amdhsa_group_segment_fixed_size 0
		.amdhsa_private_segment_fixed_size 0
		.amdhsa_kernarg_size 72
		.amdhsa_user_sgpr_count 6
		.amdhsa_user_sgpr_private_segment_buffer 1
		.amdhsa_user_sgpr_dispatch_ptr 0
		.amdhsa_user_sgpr_queue_ptr 0
		.amdhsa_user_sgpr_kernarg_segment_ptr 1
		.amdhsa_user_sgpr_dispatch_id 0
		.amdhsa_user_sgpr_flat_scratch_init 0
		.amdhsa_user_sgpr_private_segment_size 0
		.amdhsa_uses_dynamic_stack 0
		.amdhsa_system_sgpr_private_segment_wavefront_offset 0
		.amdhsa_system_sgpr_workgroup_id_x 1
		.amdhsa_system_sgpr_workgroup_id_y 0
		.amdhsa_system_sgpr_workgroup_id_z 0
		.amdhsa_system_sgpr_workgroup_info 0
		.amdhsa_system_vgpr_workitem_id 0
		.amdhsa_next_free_vgpr 51
		.amdhsa_next_free_sgpr 16
		.amdhsa_reserve_vcc 1
		.amdhsa_reserve_flat_scratch 0
		.amdhsa_float_round_mode_32 0
		.amdhsa_float_round_mode_16_64 0
		.amdhsa_float_denorm_mode_32 3
		.amdhsa_float_denorm_mode_16_64 3
		.amdhsa_dx10_clamp 1
		.amdhsa_ieee_mode 1
		.amdhsa_fp16_overflow 0
		.amdhsa_exception_fp_ieee_invalid_op 0
		.amdhsa_exception_fp_denorm_src 0
		.amdhsa_exception_fp_ieee_div_zero 0
		.amdhsa_exception_fp_ieee_overflow 0
		.amdhsa_exception_fp_ieee_underflow 0
		.amdhsa_exception_fp_ieee_inexact 0
		.amdhsa_exception_int_div_zero 0
	.end_amdhsa_kernel
	.section	.text._ZN9rocsparseL19gebsrmvn_2xn_kernelILj128ELj10ELj8E21rocsparse_complex_numIfEEEvi20rocsparse_direction_NS_24const_host_device_scalarIT2_EEPKiS8_PKS5_SA_S6_PS5_21rocsparse_index_base_b,"axG",@progbits,_ZN9rocsparseL19gebsrmvn_2xn_kernelILj128ELj10ELj8E21rocsparse_complex_numIfEEEvi20rocsparse_direction_NS_24const_host_device_scalarIT2_EEPKiS8_PKS5_SA_S6_PS5_21rocsparse_index_base_b,comdat
.Lfunc_end193:
	.size	_ZN9rocsparseL19gebsrmvn_2xn_kernelILj128ELj10ELj8E21rocsparse_complex_numIfEEEvi20rocsparse_direction_NS_24const_host_device_scalarIT2_EEPKiS8_PKS5_SA_S6_PS5_21rocsparse_index_base_b, .Lfunc_end193-_ZN9rocsparseL19gebsrmvn_2xn_kernelILj128ELj10ELj8E21rocsparse_complex_numIfEEEvi20rocsparse_direction_NS_24const_host_device_scalarIT2_EEPKiS8_PKS5_SA_S6_PS5_21rocsparse_index_base_b
                                        ; -- End function
	.set _ZN9rocsparseL19gebsrmvn_2xn_kernelILj128ELj10ELj8E21rocsparse_complex_numIfEEEvi20rocsparse_direction_NS_24const_host_device_scalarIT2_EEPKiS8_PKS5_SA_S6_PS5_21rocsparse_index_base_b.num_vgpr, 51
	.set _ZN9rocsparseL19gebsrmvn_2xn_kernelILj128ELj10ELj8E21rocsparse_complex_numIfEEEvi20rocsparse_direction_NS_24const_host_device_scalarIT2_EEPKiS8_PKS5_SA_S6_PS5_21rocsparse_index_base_b.num_agpr, 0
	.set _ZN9rocsparseL19gebsrmvn_2xn_kernelILj128ELj10ELj8E21rocsparse_complex_numIfEEEvi20rocsparse_direction_NS_24const_host_device_scalarIT2_EEPKiS8_PKS5_SA_S6_PS5_21rocsparse_index_base_b.numbered_sgpr, 16
	.set _ZN9rocsparseL19gebsrmvn_2xn_kernelILj128ELj10ELj8E21rocsparse_complex_numIfEEEvi20rocsparse_direction_NS_24const_host_device_scalarIT2_EEPKiS8_PKS5_SA_S6_PS5_21rocsparse_index_base_b.num_named_barrier, 0
	.set _ZN9rocsparseL19gebsrmvn_2xn_kernelILj128ELj10ELj8E21rocsparse_complex_numIfEEEvi20rocsparse_direction_NS_24const_host_device_scalarIT2_EEPKiS8_PKS5_SA_S6_PS5_21rocsparse_index_base_b.private_seg_size, 0
	.set _ZN9rocsparseL19gebsrmvn_2xn_kernelILj128ELj10ELj8E21rocsparse_complex_numIfEEEvi20rocsparse_direction_NS_24const_host_device_scalarIT2_EEPKiS8_PKS5_SA_S6_PS5_21rocsparse_index_base_b.uses_vcc, 1
	.set _ZN9rocsparseL19gebsrmvn_2xn_kernelILj128ELj10ELj8E21rocsparse_complex_numIfEEEvi20rocsparse_direction_NS_24const_host_device_scalarIT2_EEPKiS8_PKS5_SA_S6_PS5_21rocsparse_index_base_b.uses_flat_scratch, 0
	.set _ZN9rocsparseL19gebsrmvn_2xn_kernelILj128ELj10ELj8E21rocsparse_complex_numIfEEEvi20rocsparse_direction_NS_24const_host_device_scalarIT2_EEPKiS8_PKS5_SA_S6_PS5_21rocsparse_index_base_b.has_dyn_sized_stack, 0
	.set _ZN9rocsparseL19gebsrmvn_2xn_kernelILj128ELj10ELj8E21rocsparse_complex_numIfEEEvi20rocsparse_direction_NS_24const_host_device_scalarIT2_EEPKiS8_PKS5_SA_S6_PS5_21rocsparse_index_base_b.has_recursion, 0
	.set _ZN9rocsparseL19gebsrmvn_2xn_kernelILj128ELj10ELj8E21rocsparse_complex_numIfEEEvi20rocsparse_direction_NS_24const_host_device_scalarIT2_EEPKiS8_PKS5_SA_S6_PS5_21rocsparse_index_base_b.has_indirect_call, 0
	.section	.AMDGPU.csdata,"",@progbits
; Kernel info:
; codeLenInByte = 2932
; TotalNumSgprs: 20
; NumVgprs: 51
; ScratchSize: 0
; MemoryBound: 0
; FloatMode: 240
; IeeeMode: 1
; LDSByteSize: 0 bytes/workgroup (compile time only)
; SGPRBlocks: 2
; VGPRBlocks: 12
; NumSGPRsForWavesPerEU: 20
; NumVGPRsForWavesPerEU: 51
; Occupancy: 4
; WaveLimiterHint : 1
; COMPUTE_PGM_RSRC2:SCRATCH_EN: 0
; COMPUTE_PGM_RSRC2:USER_SGPR: 6
; COMPUTE_PGM_RSRC2:TRAP_HANDLER: 0
; COMPUTE_PGM_RSRC2:TGID_X_EN: 1
; COMPUTE_PGM_RSRC2:TGID_Y_EN: 0
; COMPUTE_PGM_RSRC2:TGID_Z_EN: 0
; COMPUTE_PGM_RSRC2:TIDIG_COMP_CNT: 0
	.section	.text._ZN9rocsparseL19gebsrmvn_2xn_kernelILj128ELj10ELj16E21rocsparse_complex_numIfEEEvi20rocsparse_direction_NS_24const_host_device_scalarIT2_EEPKiS8_PKS5_SA_S6_PS5_21rocsparse_index_base_b,"axG",@progbits,_ZN9rocsparseL19gebsrmvn_2xn_kernelILj128ELj10ELj16E21rocsparse_complex_numIfEEEvi20rocsparse_direction_NS_24const_host_device_scalarIT2_EEPKiS8_PKS5_SA_S6_PS5_21rocsparse_index_base_b,comdat
	.globl	_ZN9rocsparseL19gebsrmvn_2xn_kernelILj128ELj10ELj16E21rocsparse_complex_numIfEEEvi20rocsparse_direction_NS_24const_host_device_scalarIT2_EEPKiS8_PKS5_SA_S6_PS5_21rocsparse_index_base_b ; -- Begin function _ZN9rocsparseL19gebsrmvn_2xn_kernelILj128ELj10ELj16E21rocsparse_complex_numIfEEEvi20rocsparse_direction_NS_24const_host_device_scalarIT2_EEPKiS8_PKS5_SA_S6_PS5_21rocsparse_index_base_b
	.p2align	8
	.type	_ZN9rocsparseL19gebsrmvn_2xn_kernelILj128ELj10ELj16E21rocsparse_complex_numIfEEEvi20rocsparse_direction_NS_24const_host_device_scalarIT2_EEPKiS8_PKS5_SA_S6_PS5_21rocsparse_index_base_b,@function
_ZN9rocsparseL19gebsrmvn_2xn_kernelILj128ELj10ELj16E21rocsparse_complex_numIfEEEvi20rocsparse_direction_NS_24const_host_device_scalarIT2_EEPKiS8_PKS5_SA_S6_PS5_21rocsparse_index_base_b: ; @_ZN9rocsparseL19gebsrmvn_2xn_kernelILj128ELj10ELj16E21rocsparse_complex_numIfEEEvi20rocsparse_direction_NS_24const_host_device_scalarIT2_EEPKiS8_PKS5_SA_S6_PS5_21rocsparse_index_base_b
; %bb.0:
	s_load_dwordx2 s[0:1], s[4:5], 0x8
	s_load_dwordx2 s[8:9], s[4:5], 0x30
	;; [unrolled: 1-line block ×3, first 2 shown]
	s_add_u32 s7, s4, 8
	s_addc_u32 s10, s5, 0
	s_add_u32 s11, s4, 48
	s_addc_u32 s12, s5, 0
	s_waitcnt lgkmcnt(0)
	s_bitcmp1_b32 s3, 0
	s_cselect_b32 s1, s10, s1
	s_cselect_b32 s0, s7, s0
	v_mov_b32_e32 v1, s0
	v_mov_b32_e32 v2, s1
	flat_load_dwordx2 v[1:2], v[1:2]
	s_cselect_b32 s0, s12, s9
	s_cselect_b32 s1, s11, s8
	v_mov_b32_e32 v3, s1
	v_mov_b32_e32 v4, s0
	flat_load_dwordx2 v[3:4], v[3:4]
	s_waitcnt vmcnt(0) lgkmcnt(0)
	v_cmp_eq_f32_e32 vcc, 0, v1
	v_cmp_eq_f32_e64 s[0:1], 0, v2
	s_and_b64 s[10:11], vcc, s[0:1]
	s_mov_b64 s[0:1], -1
	s_and_saveexec_b64 s[8:9], s[10:11]
; %bb.1:
	v_cmp_neq_f32_e32 vcc, 1.0, v3
	v_cmp_neq_f32_e64 s[0:1], 0, v4
	s_or_b64 s[0:1], vcc, s[0:1]
	s_orn2_b64 s[0:1], s[0:1], exec
; %bb.2:
	s_or_b64 exec, exec, s[8:9]
	s_and_saveexec_b64 s[8:9], s[0:1]
	s_cbranch_execz .LBB194_21
; %bb.3:
	s_load_dwordx2 s[0:1], s[4:5], 0x0
	v_lshrrev_b32_e32 v5, 4, v0
	v_lshl_or_b32 v5, s6, 3, v5
	s_waitcnt lgkmcnt(0)
	v_cmp_gt_i32_e32 vcc, s0, v5
	s_and_b64 exec, exec, vcc
	s_cbranch_execz .LBB194_21
; %bb.4:
	s_load_dwordx8 s[8:15], s[4:5], 0x10
	v_ashrrev_i32_e32 v6, 31, v5
	v_lshlrev_b64 v[6:7], 2, v[5:6]
	v_and_b32_e32 v0, 15, v0
	s_cmp_lg_u32 s1, 0
	s_waitcnt lgkmcnt(0)
	v_mov_b32_e32 v8, s9
	v_add_co_u32_e32 v6, vcc, s8, v6
	v_addc_co_u32_e32 v7, vcc, v8, v7, vcc
	global_load_dwordx2 v[6:7], v[6:7], off
	s_waitcnt vmcnt(0)
	v_subrev_u32_e32 v6, s2, v6
	v_subrev_u32_e32 v14, s2, v7
	v_add_u32_e32 v6, v6, v0
	v_cmp_lt_i32_e64 s[0:1], v6, v14
	s_cbranch_scc0 .LBB194_10
; %bb.5:
	v_mov_b32_e32 v15, 0
	v_mov_b32_e32 v18, 0
	;; [unrolled: 1-line block ×4, first 2 shown]
	s_and_saveexec_b64 s[6:7], s[0:1]
	s_cbranch_execz .LBB194_9
; %bb.6:
	v_mad_u64_u32 v[7:8], s[8:9], v6, 20, 18
	v_mov_b32_e32 v10, 0
	s_mov_b64 s[8:9], 0
	v_mov_b32_e32 v13, s11
	v_mov_b32_e32 v19, s13
	;; [unrolled: 1-line block ×8, first 2 shown]
.LBB194_7:                              ; =>This Inner Loop Header: Depth=1
	v_ashrrev_i32_e32 v12, 31, v11
	v_lshlrev_b64 v[21:22], 2, v[11:12]
	v_subrev_u32_e32 v9, 18, v7
	v_lshlrev_b64 v[23:24], 3, v[9:10]
	v_add_co_u32_e32 v29, vcc, s10, v21
	v_mov_b32_e32 v8, v10
	v_addc_co_u32_e32 v30, vcc, v13, v22, vcc
	v_lshlrev_b64 v[25:26], 3, v[7:8]
	v_add_co_u32_e32 v31, vcc, s12, v23
	v_addc_co_u32_e32 v32, vcc, v19, v24, vcc
	v_add_co_u32_e32 v49, vcc, s12, v25
	v_addc_co_u32_e32 v50, vcc, v19, v26, vcc
	global_load_dword v12, v[29:30], off
	global_load_dwordx4 v[21:24], v[31:32], off
	global_load_dwordx4 v[25:28], v[31:32], off offset:16
	v_add_u32_e32 v9, -14, v7
	v_lshlrev_b64 v[8:9], 3, v[9:10]
	v_mov_b32_e32 v42, v10
	v_add_co_u32_e32 v8, vcc, s12, v8
	v_addc_co_u32_e32 v9, vcc, v19, v9, vcc
	global_load_dwordx4 v[29:32], v[8:9], off
	v_add_u32_e32 v11, 16, v11
	s_waitcnt vmcnt(3)
	v_subrev_u32_e32 v8, s2, v12
	v_mul_lo_u32 v41, v8, 10
	v_lshlrev_b64 v[33:34], 3, v[41:42]
	v_add_u32_e32 v9, 2, v41
	v_add_co_u32_e32 v33, vcc, s14, v33
	v_addc_co_u32_e32 v34, vcc, v20, v34, vcc
	global_load_dwordx4 v[33:36], v[33:34], off
	v_lshlrev_b64 v[37:38], 3, v[9:10]
	v_add_u32_e32 v9, -12, v7
	v_add_co_u32_e32 v37, vcc, s14, v37
	v_addc_co_u32_e32 v38, vcc, v20, v38, vcc
	global_load_dwordx4 v[37:40], v[37:38], off
	v_lshlrev_b64 v[42:43], 3, v[9:10]
	v_add_u32_e32 v9, -10, v7
	v_add_co_u32_e32 v42, vcc, s12, v42
	v_addc_co_u32_e32 v43, vcc, v19, v43, vcc
	v_lshlrev_b64 v[44:45], 3, v[9:10]
	v_add_u32_e32 v9, 4, v41
	v_lshlrev_b64 v[46:47], 3, v[9:10]
	v_add_u32_e32 v9, -8, v7
	s_waitcnt vmcnt(1)
	v_fmac_f32_e32 v18, v21, v33
	v_fmac_f32_e32 v15, v22, v33
	v_fmac_f32_e32 v17, v23, v33
	v_fmac_f32_e32 v16, v24, v33
	v_fma_f32 v8, -v22, v34, v18
	v_fmac_f32_e32 v15, v21, v34
	v_fma_f32 v12, -v24, v34, v17
	v_fmac_f32_e32 v16, v23, v34
	global_load_dwordx4 v[21:24], v[42:43], off
	v_add_co_u32_e32 v17, vcc, s12, v44
	v_addc_co_u32_e32 v18, vcc, v19, v45, vcc
	v_fmac_f32_e32 v8, v25, v35
	v_fmac_f32_e32 v15, v26, v35
	;; [unrolled: 1-line block ×4, first 2 shown]
	v_lshlrev_b64 v[42:43], 3, v[9:10]
	v_fma_f32 v8, -v26, v36, v8
	v_fmac_f32_e32 v15, v25, v36
	v_fma_f32 v12, -v28, v36, v12
	v_fmac_f32_e32 v16, v27, v36
	global_load_dwordx4 v[25:28], v[17:18], off
	v_add_co_u32_e32 v17, vcc, s14, v46
	v_addc_co_u32_e32 v18, vcc, v20, v47, vcc
	global_load_dwordx4 v[33:36], v[17:18], off
	v_add_co_u32_e32 v17, vcc, s12, v42
	v_addc_co_u32_e32 v18, vcc, v19, v43, vcc
	s_waitcnt vmcnt(3)
	v_fmac_f32_e32 v8, v29, v37
	v_fmac_f32_e32 v15, v30, v37
	;; [unrolled: 1-line block ×4, first 2 shown]
	v_fma_f32 v8, -v30, v38, v8
	v_fmac_f32_e32 v15, v29, v38
	v_fma_f32 v12, -v32, v38, v12
	v_fmac_f32_e32 v16, v31, v38
	global_load_dwordx4 v[29:32], v[17:18], off
	v_add_u32_e32 v9, -6, v7
	v_lshlrev_b64 v[44:45], 3, v[9:10]
	v_add_u32_e32 v9, 6, v41
	v_lshlrev_b64 v[42:43], 3, v[9:10]
	v_add_co_u32_e32 v17, vcc, s12, v44
	v_add_u32_e32 v9, -4, v7
	v_addc_co_u32_e32 v18, vcc, v19, v45, vcc
	v_lshlrev_b64 v[44:45], 3, v[9:10]
	v_add_u32_e32 v9, -2, v7
	v_add_u32_e32 v7, 0x140, v7
	s_waitcnt vmcnt(3)
	v_fmac_f32_e32 v8, v21, v39
	v_fmac_f32_e32 v15, v22, v39
	;; [unrolled: 1-line block ×4, first 2 shown]
	v_fma_f32 v47, -v22, v40, v8
	v_fmac_f32_e32 v15, v21, v40
	v_fma_f32 v12, -v24, v40, v12
	v_fmac_f32_e32 v16, v23, v40
	global_load_dwordx4 v[21:24], v[17:18], off
	v_add_co_u32_e32 v17, vcc, s14, v42
	v_addc_co_u32_e32 v18, vcc, v20, v43, vcc
	v_lshlrev_b64 v[42:43], 3, v[9:10]
	global_load_dwordx4 v[37:40], v[17:18], off
	v_add_co_u32_e32 v17, vcc, s12, v44
	v_add_u32_e32 v9, 8, v41
	v_addc_co_u32_e32 v18, vcc, v19, v45, vcc
	v_lshlrev_b64 v[8:9], 3, v[9:10]
	v_add_co_u32_e32 v45, vcc, s12, v42
	v_addc_co_u32_e32 v46, vcc, v19, v43, vcc
	global_load_dwordx4 v[41:44], v[17:18], off
	v_add_co_u32_e32 v8, vcc, s14, v8
	s_waitcnt vmcnt(4)
	v_fmac_f32_e32 v47, v25, v33
	v_fmac_f32_e32 v15, v26, v33
	;; [unrolled: 1-line block ×4, first 2 shown]
	v_addc_co_u32_e32 v9, vcc, v20, v9, vcc
	v_fma_f32 v17, -v26, v34, v47
	v_fmac_f32_e32 v15, v25, v34
	v_fma_f32 v12, -v28, v34, v12
	v_fmac_f32_e32 v16, v27, v34
	global_load_dwordx4 v[25:28], v[45:46], off
	s_waitcnt vmcnt(4)
	v_fmac_f32_e32 v17, v29, v35
	global_load_dwordx4 v[45:48], v[8:9], off
	v_fmac_f32_e32 v15, v30, v35
	v_fmac_f32_e32 v12, v31, v35
	;; [unrolled: 1-line block ×3, first 2 shown]
	v_fma_f32 v8, -v30, v36, v17
	v_fmac_f32_e32 v15, v29, v36
	v_fma_f32 v9, -v32, v36, v12
	v_fmac_f32_e32 v16, v31, v36
	global_load_dwordx4 v[29:32], v[49:50], off
	v_cmp_ge_i32_e32 vcc, v11, v14
	s_or_b64 s[8:9], vcc, s[8:9]
	s_waitcnt vmcnt(4)
	v_fmac_f32_e32 v8, v21, v37
	v_fmac_f32_e32 v15, v22, v37
	v_fmac_f32_e32 v9, v23, v37
	v_fmac_f32_e32 v16, v24, v37
	v_fma_f32 v8, -v22, v38, v8
	v_fmac_f32_e32 v15, v21, v38
	v_fma_f32 v9, -v24, v38, v9
	v_fmac_f32_e32 v16, v23, v38
	s_waitcnt vmcnt(3)
	v_fmac_f32_e32 v8, v41, v39
	v_fmac_f32_e32 v15, v42, v39
	v_fmac_f32_e32 v9, v43, v39
	v_fmac_f32_e32 v16, v44, v39
	v_fma_f32 v8, -v42, v40, v8
	v_fmac_f32_e32 v15, v41, v40
	v_fma_f32 v9, -v44, v40, v9
	v_fmac_f32_e32 v16, v43, v40
	;; [unrolled: 9-line block ×4, first 2 shown]
	s_andn2_b64 exec, exec, s[8:9]
	s_cbranch_execnz .LBB194_7
; %bb.8:
	s_or_b64 exec, exec, s[8:9]
.LBB194_9:
	s_or_b64 exec, exec, s[6:7]
	s_cbranch_execz .LBB194_11
	s_branch .LBB194_16
.LBB194_10:
                                        ; implicit-def: $vgpr15
                                        ; implicit-def: $vgpr18
                                        ; implicit-def: $vgpr17
                                        ; implicit-def: $vgpr16
.LBB194_11:
	v_mov_b32_e32 v15, 0
	v_mov_b32_e32 v18, 0
	v_mov_b32_e32 v17, 0
	v_mov_b32_e32 v16, 0
	s_and_saveexec_b64 s[6:7], s[0:1]
	s_cbranch_execz .LBB194_15
; %bb.12:
	v_mad_u64_u32 v[8:9], s[0:1], v6, 20, 19
	v_mov_b32_e32 v11, 0
	s_mov_b64 s[0:1], 0
	v_mov_b32_e32 v19, s11
	v_mov_b32_e32 v20, s13
	;; [unrolled: 1-line block ×7, first 2 shown]
.LBB194_13:                             ; =>This Inner Loop Header: Depth=1
	v_ashrrev_i32_e32 v7, 31, v6
	v_lshlrev_b64 v[24:25], 2, v[6:7]
	v_subrev_u32_e32 v10, 19, v8
	v_lshlrev_b64 v[26:27], 3, v[10:11]
	v_add_co_u32_e32 v30, vcc, s10, v24
	v_addc_co_u32_e32 v31, vcc, v19, v25, vcc
	v_add_u32_e32 v22, -9, v8
	v_mov_b32_e32 v23, v11
	v_add_co_u32_e32 v32, vcc, s12, v26
	v_lshlrev_b64 v[34:35], 3, v[22:23]
	v_addc_co_u32_e32 v33, vcc, v20, v27, vcc
	global_load_dword v7, v[30:31], off
	global_load_dwordx4 v[22:25], v[32:33], off
	global_load_dwordx4 v[26:29], v[32:33], off offset:16
	v_mov_b32_e32 v13, v11
	v_mov_b32_e32 v9, v11
	v_lshlrev_b64 v[36:37], 3, v[8:9]
	v_add_u32_e32 v10, -8, v8
	v_lshlrev_b64 v[9:10], 3, v[10:11]
	v_add_u32_e32 v6, 16, v6
	s_waitcnt vmcnt(2)
	v_subrev_u32_e32 v7, s2, v7
	v_mul_lo_u32 v12, v7, 10
	v_lshlrev_b64 v[30:31], 3, v[12:13]
	v_add_co_u32_e32 v30, vcc, s14, v30
	v_addc_co_u32_e32 v31, vcc, v21, v31, vcc
	global_load_dwordx4 v[30:33], v[30:31], off
	s_waitcnt vmcnt(0)
	v_fmac_f32_e32 v15, v23, v30
	v_fmac_f32_e32 v18, v22, v30
	;; [unrolled: 1-line block ×3, first 2 shown]
	v_add_co_u32_e32 v22, vcc, s12, v34
	v_fma_f32 v7, -v23, v31, v18
	v_addc_co_u32_e32 v23, vcc, v20, v35, vcc
	v_add_co_u32_e32 v34, vcc, s12, v36
	v_fmac_f32_e32 v15, v25, v32
	v_addc_co_u32_e32 v35, vcc, v20, v37, vcc
	v_fmac_f32_e32 v7, v24, v32
	v_fmac_f32_e32 v15, v24, v33
	v_add_co_u32_e32 v24, vcc, s12, v9
	v_fma_f32 v7, -v25, v33, v7
	v_addc_co_u32_e32 v25, vcc, v20, v10, vcc
	global_load_dwordx2 v[38:39], v[22:23], off
	global_load_dwordx2 v[40:41], v[24:25], off
	v_add_u32_e32 v10, 2, v12
	v_lshlrev_b64 v[9:10], 3, v[10:11]
	v_add_co_u32_e32 v36, vcc, s14, v9
	v_addc_co_u32_e32 v37, vcc, v21, v10, vcc
	global_load_dwordx4 v[22:25], v[36:37], off
	v_add_u32_e32 v10, -7, v8
	s_waitcnt vmcnt(2)
	v_fmac_f32_e32 v17, v38, v30
	v_fma_f32 v9, -v39, v31, v17
	v_lshlrev_b64 v[17:18], 3, v[10:11]
	v_fmac_f32_e32 v16, v39, v30
	v_add_u32_e32 v10, -6, v8
	v_fmac_f32_e32 v16, v38, v31
	v_lshlrev_b64 v[30:31], 3, v[10:11]
	v_add_co_u32_e32 v17, vcc, s12, v17
	v_addc_co_u32_e32 v18, vcc, v20, v18, vcc
	v_add_co_u32_e32 v30, vcc, s12, v30
	v_addc_co_u32_e32 v31, vcc, v20, v31, vcc
	global_load_dwordx2 v[36:37], v[17:18], off
	global_load_dwordx2 v[38:39], v[30:31], off
	s_waitcnt vmcnt(3)
	v_fmac_f32_e32 v9, v40, v32
	v_fmac_f32_e32 v16, v41, v32
	v_add_u32_e32 v10, -15, v8
	s_waitcnt vmcnt(2)
	v_fmac_f32_e32 v15, v27, v22
	v_fma_f32 v13, -v41, v33, v9
	v_fmac_f32_e32 v16, v40, v33
	v_lshlrev_b64 v[32:33], 3, v[10:11]
	v_fmac_f32_e32 v7, v26, v22
	v_fmac_f32_e32 v15, v26, v23
	v_add_u32_e32 v10, 4, v12
	v_fma_f32 v7, -v27, v23, v7
	v_fmac_f32_e32 v15, v29, v24
	v_fmac_f32_e32 v7, v28, v24
	;; [unrolled: 1-line block ×3, first 2 shown]
	v_lshlrev_b64 v[26:27], 3, v[10:11]
	v_add_co_u32_e32 v28, vcc, s12, v32
	v_fma_f32 v7, -v29, v25, v7
	v_add_u32_e32 v10, -5, v8
	v_addc_co_u32_e32 v29, vcc, v20, v33, vcc
	v_add_co_u32_e32 v26, vcc, s14, v26
	v_lshlrev_b64 v[9:10], 3, v[10:11]
	v_addc_co_u32_e32 v27, vcc, v21, v27, vcc
	v_add_co_u32_e32 v32, vcc, s12, v9
	v_addc_co_u32_e32 v33, vcc, v20, v10, vcc
	v_add_u32_e32 v10, -14, v8
	global_load_dwordx2 v[17:18], v[28:29], off
	s_waitcnt vmcnt(2)
	v_fmac_f32_e32 v13, v36, v22
	v_fmac_f32_e32 v16, v37, v22
	v_fma_f32 v9, -v37, v23, v13
	v_fmac_f32_e32 v16, v36, v23
	v_lshlrev_b64 v[22:23], 3, v[10:11]
	v_add_u32_e32 v10, -4, v8
	s_waitcnt vmcnt(1)
	v_fmac_f32_e32 v9, v38, v24
	v_fmac_f32_e32 v16, v39, v24
	v_fma_f32 v13, -v39, v25, v9
	v_fmac_f32_e32 v16, v38, v25
	v_lshlrev_b64 v[24:25], 3, v[10:11]
	v_add_co_u32_e32 v28, vcc, s12, v22
	v_add_u32_e32 v10, -13, v8
	v_addc_co_u32_e32 v29, vcc, v20, v23, vcc
	v_lshlrev_b64 v[22:23], 3, v[10:11]
	v_add_co_u32_e32 v30, vcc, s12, v24
	v_addc_co_u32_e32 v31, vcc, v20, v25, vcc
	v_add_co_u32_e32 v36, vcc, s12, v22
	v_addc_co_u32_e32 v37, vcc, v20, v23, vcc
	global_load_dwordx4 v[22:25], v[26:27], off
	v_add_u32_e32 v10, 6, v12
	v_lshlrev_b64 v[9:10], 3, v[10:11]
	v_add_co_u32_e32 v38, vcc, s14, v9
	v_addc_co_u32_e32 v39, vcc, v21, v10, vcc
	v_add_u32_e32 v10, -3, v8
	v_lshlrev_b64 v[9:10], 3, v[10:11]
	v_add_co_u32_e32 v40, vcc, s12, v9
	v_addc_co_u32_e32 v41, vcc, v20, v10, vcc
	s_waitcnt vmcnt(0)
	v_fmac_f32_e32 v7, v17, v22
	v_fmac_f32_e32 v15, v18, v22
	v_fma_f32 v7, -v18, v23, v7
	v_fmac_f32_e32 v15, v17, v23
	global_load_dwordx2 v[9:10], v[32:33], off
	global_load_dwordx2 v[17:18], v[28:29], off
	global_load_dwordx2 v[26:27], v[30:31], off
	global_load_dwordx2 v[42:43], v[36:37], off
	s_waitcnt vmcnt(3)
	v_fmac_f32_e32 v13, v9, v22
	v_fmac_f32_e32 v16, v10, v22
	v_fma_f32 v13, -v10, v23, v13
	v_add_u32_e32 v10, -12, v8
	s_waitcnt vmcnt(2)
	v_fmac_f32_e32 v7, v17, v24
	v_fmac_f32_e32 v15, v18, v24
	v_fma_f32 v7, -v18, v25, v7
	v_fmac_f32_e32 v15, v17, v25
	v_lshlrev_b64 v[17:18], 3, v[10:11]
	v_add_u32_e32 v10, -2, v8
	v_fmac_f32_e32 v16, v9, v23
	v_lshlrev_b64 v[22:23], 3, v[10:11]
	v_add_co_u32_e32 v17, vcc, s12, v17
	s_waitcnt vmcnt(1)
	v_fmac_f32_e32 v13, v26, v24
	v_fmac_f32_e32 v16, v27, v24
	v_add_u32_e32 v10, -11, v8
	v_addc_co_u32_e32 v18, vcc, v20, v18, vcc
	v_fma_f32 v44, -v27, v25, v13
	v_fmac_f32_e32 v16, v26, v25
	v_lshlrev_b64 v[24:25], 3, v[10:11]
	v_add_u32_e32 v10, 8, v12
	v_add_co_u32_e32 v12, vcc, s12, v22
	v_addc_co_u32_e32 v13, vcc, v20, v23, vcc
	v_lshlrev_b64 v[22:23], 3, v[10:11]
	v_add_co_u32_e32 v26, vcc, s12, v24
	v_addc_co_u32_e32 v27, vcc, v20, v25, vcc
	v_add_co_u32_e32 v30, vcc, s14, v22
	v_addc_co_u32_e32 v31, vcc, v21, v23, vcc
	global_load_dwordx4 v[22:25], v[38:39], off
	v_add_u32_e32 v10, -1, v8
	v_lshlrev_b64 v[9:10], 3, v[10:11]
	v_add_co_u32_e32 v32, vcc, s12, v9
	v_addc_co_u32_e32 v33, vcc, v20, v10, vcc
	v_add_u32_e32 v10, -10, v8
	v_lshlrev_b64 v[9:10], 3, v[10:11]
	v_add_u32_e32 v8, 0x140, v8
	v_add_co_u32_e32 v9, vcc, s12, v9
	v_addc_co_u32_e32 v10, vcc, v20, v10, vcc
	v_cmp_ge_i32_e32 vcc, v6, v14
	s_or_b64 s[0:1], vcc, s[0:1]
	s_waitcnt vmcnt(0)
	v_fmac_f32_e32 v7, v42, v22
	v_fmac_f32_e32 v15, v43, v22
	v_fma_f32 v7, -v43, v23, v7
	v_fmac_f32_e32 v15, v42, v23
	global_load_dwordx2 v[28:29], v[40:41], off
	global_load_dwordx2 v[36:37], v[17:18], off
	;; [unrolled: 1-line block ×4, first 2 shown]
	s_waitcnt vmcnt(3)
	v_fmac_f32_e32 v44, v28, v22
	v_fmac_f32_e32 v16, v29, v22
	v_fma_f32 v40, -v29, v23, v44
	v_fmac_f32_e32 v16, v28, v23
	global_load_dwordx4 v[26:29], v[30:31], off
	global_load_dwordx2 v[12:13], v[32:33], off
	global_load_dwordx2 v[17:18], v[9:10], off
	;; [unrolled: 1-line block ×3, first 2 shown]
	s_waitcnt vmcnt(6)
	v_fmac_f32_e32 v7, v36, v24
	v_fmac_f32_e32 v15, v37, v24
	s_waitcnt vmcnt(5)
	v_fmac_f32_e32 v40, v38, v24
	v_fmac_f32_e32 v16, v39, v24
	v_fma_f32 v7, -v37, v25, v7
	v_fmac_f32_e32 v15, v36, v25
	v_fma_f32 v9, -v39, v25, v40
	v_fmac_f32_e32 v16, v38, v25
	s_waitcnt vmcnt(3)
	v_fmac_f32_e32 v7, v42, v26
	v_fmac_f32_e32 v15, v43, v26
	s_waitcnt vmcnt(2)
	v_fmac_f32_e32 v9, v12, v26
	v_fmac_f32_e32 v16, v13, v26
	v_fma_f32 v7, -v43, v27, v7
	v_fmac_f32_e32 v15, v42, v27
	v_fma_f32 v9, -v13, v27, v9
	v_fmac_f32_e32 v16, v12, v27
	;; [unrolled: 10-line block ×3, first 2 shown]
	s_andn2_b64 exec, exec, s[0:1]
	s_cbranch_execnz .LBB194_13
; %bb.14:
	s_or_b64 exec, exec, s[0:1]
.LBB194_15:
	s_or_b64 exec, exec, s[6:7]
.LBB194_16:
	v_mov_b32_dpp v6, v18 row_shr:1 row_mask:0xf bank_mask:0xf
	v_mov_b32_dpp v8, v15 row_shr:1 row_mask:0xf bank_mask:0xf
	v_mov_b32_dpp v10, v17 row_shr:1 row_mask:0xf bank_mask:0xf
	v_mov_b32_dpp v12, v16 row_shr:1 row_mask:0xf bank_mask:0xf
	v_add_f32_e32 v6, v18, v6
	v_add_f32_e32 v8, v15, v8
	v_add_f32_e32 v10, v17, v10
	v_add_f32_e32 v12, v16, v12
	v_mov_b32_dpp v7, v6 row_shr:2 row_mask:0xf bank_mask:0xf
	v_mov_b32_dpp v9, v8 row_shr:2 row_mask:0xf bank_mask:0xf
	v_mov_b32_dpp v11, v10 row_shr:2 row_mask:0xf bank_mask:0xf
	v_mov_b32_dpp v13, v12 row_shr:2 row_mask:0xf bank_mask:0xf
	v_add_f32_e32 v6, v6, v7
	v_add_f32_e32 v8, v8, v9
	v_add_f32_e32 v10, v10, v11
	v_add_f32_e32 v12, v12, v13
	;; [unrolled: 8-line block ×3, first 2 shown]
	v_mov_b32_dpp v7, v6 row_shr:8 row_mask:0xf bank_mask:0xc
	v_mov_b32_dpp v9, v8 row_shr:8 row_mask:0xf bank_mask:0xc
	;; [unrolled: 1-line block ×4, first 2 shown]
	v_cmp_eq_u32_e32 vcc, 15, v0
	s_and_b64 exec, exec, vcc
	s_cbranch_execz .LBB194_21
; %bb.17:
	s_load_dwordx2 s[2:3], s[4:5], 0x38
	v_cmp_eq_f32_e32 vcc, 0, v3
	v_cmp_eq_f32_e64 s[0:1], 0, v4
	v_add_f32_e32 v7, v6, v7
	v_add_f32_e32 v8, v8, v9
	;; [unrolled: 1-line block ×4, first 2 shown]
	s_and_b64 s[0:1], vcc, s[0:1]
	s_and_saveexec_b64 s[4:5], s[0:1]
	s_xor_b64 s[0:1], exec, s[4:5]
	s_cbranch_execz .LBB194_19
; %bb.18:
	v_mul_f32_e64 v3, v8, -v2
	v_mul_f32_e32 v4, v1, v8
	v_fmac_f32_e32 v3, v1, v7
	v_fmac_f32_e32 v4, v2, v7
	v_lshlrev_b32_e32 v7, 1, v5
	v_ashrrev_i32_e32 v8, 31, v7
	v_lshlrev_b64 v[7:8], 3, v[7:8]
	s_waitcnt lgkmcnt(0)
	v_mov_b32_e32 v5, s3
	v_add_co_u32_e32 v7, vcc, s2, v7
	v_addc_co_u32_e32 v8, vcc, v5, v8, vcc
	v_mul_f32_e64 v5, v6, -v2
	v_mul_f32_e32 v6, v1, v6
	v_fmac_f32_e32 v5, v1, v0
	v_fmac_f32_e32 v6, v2, v0
	global_store_dwordx4 v[7:8], v[3:6], off
                                        ; implicit-def: $vgpr5
                                        ; implicit-def: $vgpr1_vgpr2
                                        ; implicit-def: $vgpr8
                                        ; implicit-def: $vgpr7
                                        ; implicit-def: $vgpr3_vgpr4
                                        ; implicit-def: $vgpr6
                                        ; implicit-def: $vgpr0
.LBB194_19:
	s_andn2_saveexec_b64 s[0:1], s[0:1]
	s_cbranch_execz .LBB194_21
; %bb.20:
	v_lshlrev_b32_e32 v9, 1, v5
	v_ashrrev_i32_e32 v10, 31, v9
	v_lshlrev_b64 v[9:10], 3, v[9:10]
	s_waitcnt lgkmcnt(0)
	v_mov_b32_e32 v5, s3
	v_add_co_u32_e32 v17, vcc, s2, v9
	v_addc_co_u32_e32 v18, vcc, v5, v10, vcc
	global_load_dwordx4 v[9:12], v[17:18], off
	v_mul_f32_e64 v5, v8, -v2
	v_mul_f32_e32 v14, v1, v8
	v_mul_f32_e64 v8, v6, -v2
	v_mul_f32_e32 v16, v1, v6
	v_fmac_f32_e32 v5, v1, v7
	v_fmac_f32_e32 v14, v2, v7
	;; [unrolled: 1-line block ×4, first 2 shown]
	s_waitcnt vmcnt(0)
	v_fmac_f32_e32 v5, v3, v9
	v_fmac_f32_e32 v14, v4, v9
	v_fmac_f32_e32 v8, v3, v11
	v_fmac_f32_e32 v16, v4, v11
	v_fma_f32 v13, -v4, v10, v5
	v_fmac_f32_e32 v14, v3, v10
	v_fma_f32 v15, -v4, v12, v8
	v_fmac_f32_e32 v16, v3, v12
	global_store_dwordx4 v[17:18], v[13:16], off
.LBB194_21:
	s_endpgm
	.section	.rodata,"a",@progbits
	.p2align	6, 0x0
	.amdhsa_kernel _ZN9rocsparseL19gebsrmvn_2xn_kernelILj128ELj10ELj16E21rocsparse_complex_numIfEEEvi20rocsparse_direction_NS_24const_host_device_scalarIT2_EEPKiS8_PKS5_SA_S6_PS5_21rocsparse_index_base_b
		.amdhsa_group_segment_fixed_size 0
		.amdhsa_private_segment_fixed_size 0
		.amdhsa_kernarg_size 72
		.amdhsa_user_sgpr_count 6
		.amdhsa_user_sgpr_private_segment_buffer 1
		.amdhsa_user_sgpr_dispatch_ptr 0
		.amdhsa_user_sgpr_queue_ptr 0
		.amdhsa_user_sgpr_kernarg_segment_ptr 1
		.amdhsa_user_sgpr_dispatch_id 0
		.amdhsa_user_sgpr_flat_scratch_init 0
		.amdhsa_user_sgpr_private_segment_size 0
		.amdhsa_uses_dynamic_stack 0
		.amdhsa_system_sgpr_private_segment_wavefront_offset 0
		.amdhsa_system_sgpr_workgroup_id_x 1
		.amdhsa_system_sgpr_workgroup_id_y 0
		.amdhsa_system_sgpr_workgroup_id_z 0
		.amdhsa_system_sgpr_workgroup_info 0
		.amdhsa_system_vgpr_workitem_id 0
		.amdhsa_next_free_vgpr 51
		.amdhsa_next_free_sgpr 16
		.amdhsa_reserve_vcc 1
		.amdhsa_reserve_flat_scratch 0
		.amdhsa_float_round_mode_32 0
		.amdhsa_float_round_mode_16_64 0
		.amdhsa_float_denorm_mode_32 3
		.amdhsa_float_denorm_mode_16_64 3
		.amdhsa_dx10_clamp 1
		.amdhsa_ieee_mode 1
		.amdhsa_fp16_overflow 0
		.amdhsa_exception_fp_ieee_invalid_op 0
		.amdhsa_exception_fp_denorm_src 0
		.amdhsa_exception_fp_ieee_div_zero 0
		.amdhsa_exception_fp_ieee_overflow 0
		.amdhsa_exception_fp_ieee_underflow 0
		.amdhsa_exception_fp_ieee_inexact 0
		.amdhsa_exception_int_div_zero 0
	.end_amdhsa_kernel
	.section	.text._ZN9rocsparseL19gebsrmvn_2xn_kernelILj128ELj10ELj16E21rocsparse_complex_numIfEEEvi20rocsparse_direction_NS_24const_host_device_scalarIT2_EEPKiS8_PKS5_SA_S6_PS5_21rocsparse_index_base_b,"axG",@progbits,_ZN9rocsparseL19gebsrmvn_2xn_kernelILj128ELj10ELj16E21rocsparse_complex_numIfEEEvi20rocsparse_direction_NS_24const_host_device_scalarIT2_EEPKiS8_PKS5_SA_S6_PS5_21rocsparse_index_base_b,comdat
.Lfunc_end194:
	.size	_ZN9rocsparseL19gebsrmvn_2xn_kernelILj128ELj10ELj16E21rocsparse_complex_numIfEEEvi20rocsparse_direction_NS_24const_host_device_scalarIT2_EEPKiS8_PKS5_SA_S6_PS5_21rocsparse_index_base_b, .Lfunc_end194-_ZN9rocsparseL19gebsrmvn_2xn_kernelILj128ELj10ELj16E21rocsparse_complex_numIfEEEvi20rocsparse_direction_NS_24const_host_device_scalarIT2_EEPKiS8_PKS5_SA_S6_PS5_21rocsparse_index_base_b
                                        ; -- End function
	.set _ZN9rocsparseL19gebsrmvn_2xn_kernelILj128ELj10ELj16E21rocsparse_complex_numIfEEEvi20rocsparse_direction_NS_24const_host_device_scalarIT2_EEPKiS8_PKS5_SA_S6_PS5_21rocsparse_index_base_b.num_vgpr, 51
	.set _ZN9rocsparseL19gebsrmvn_2xn_kernelILj128ELj10ELj16E21rocsparse_complex_numIfEEEvi20rocsparse_direction_NS_24const_host_device_scalarIT2_EEPKiS8_PKS5_SA_S6_PS5_21rocsparse_index_base_b.num_agpr, 0
	.set _ZN9rocsparseL19gebsrmvn_2xn_kernelILj128ELj10ELj16E21rocsparse_complex_numIfEEEvi20rocsparse_direction_NS_24const_host_device_scalarIT2_EEPKiS8_PKS5_SA_S6_PS5_21rocsparse_index_base_b.numbered_sgpr, 16
	.set _ZN9rocsparseL19gebsrmvn_2xn_kernelILj128ELj10ELj16E21rocsparse_complex_numIfEEEvi20rocsparse_direction_NS_24const_host_device_scalarIT2_EEPKiS8_PKS5_SA_S6_PS5_21rocsparse_index_base_b.num_named_barrier, 0
	.set _ZN9rocsparseL19gebsrmvn_2xn_kernelILj128ELj10ELj16E21rocsparse_complex_numIfEEEvi20rocsparse_direction_NS_24const_host_device_scalarIT2_EEPKiS8_PKS5_SA_S6_PS5_21rocsparse_index_base_b.private_seg_size, 0
	.set _ZN9rocsparseL19gebsrmvn_2xn_kernelILj128ELj10ELj16E21rocsparse_complex_numIfEEEvi20rocsparse_direction_NS_24const_host_device_scalarIT2_EEPKiS8_PKS5_SA_S6_PS5_21rocsparse_index_base_b.uses_vcc, 1
	.set _ZN9rocsparseL19gebsrmvn_2xn_kernelILj128ELj10ELj16E21rocsparse_complex_numIfEEEvi20rocsparse_direction_NS_24const_host_device_scalarIT2_EEPKiS8_PKS5_SA_S6_PS5_21rocsparse_index_base_b.uses_flat_scratch, 0
	.set _ZN9rocsparseL19gebsrmvn_2xn_kernelILj128ELj10ELj16E21rocsparse_complex_numIfEEEvi20rocsparse_direction_NS_24const_host_device_scalarIT2_EEPKiS8_PKS5_SA_S6_PS5_21rocsparse_index_base_b.has_dyn_sized_stack, 0
	.set _ZN9rocsparseL19gebsrmvn_2xn_kernelILj128ELj10ELj16E21rocsparse_complex_numIfEEEvi20rocsparse_direction_NS_24const_host_device_scalarIT2_EEPKiS8_PKS5_SA_S6_PS5_21rocsparse_index_base_b.has_recursion, 0
	.set _ZN9rocsparseL19gebsrmvn_2xn_kernelILj128ELj10ELj16E21rocsparse_complex_numIfEEEvi20rocsparse_direction_NS_24const_host_device_scalarIT2_EEPKiS8_PKS5_SA_S6_PS5_21rocsparse_index_base_b.has_indirect_call, 0
	.section	.AMDGPU.csdata,"",@progbits
; Kernel info:
; codeLenInByte = 2980
; TotalNumSgprs: 20
; NumVgprs: 51
; ScratchSize: 0
; MemoryBound: 0
; FloatMode: 240
; IeeeMode: 1
; LDSByteSize: 0 bytes/workgroup (compile time only)
; SGPRBlocks: 2
; VGPRBlocks: 12
; NumSGPRsForWavesPerEU: 20
; NumVGPRsForWavesPerEU: 51
; Occupancy: 4
; WaveLimiterHint : 1
; COMPUTE_PGM_RSRC2:SCRATCH_EN: 0
; COMPUTE_PGM_RSRC2:USER_SGPR: 6
; COMPUTE_PGM_RSRC2:TRAP_HANDLER: 0
; COMPUTE_PGM_RSRC2:TGID_X_EN: 1
; COMPUTE_PGM_RSRC2:TGID_Y_EN: 0
; COMPUTE_PGM_RSRC2:TGID_Z_EN: 0
; COMPUTE_PGM_RSRC2:TIDIG_COMP_CNT: 0
	.section	.text._ZN9rocsparseL19gebsrmvn_2xn_kernelILj128ELj10ELj32E21rocsparse_complex_numIfEEEvi20rocsparse_direction_NS_24const_host_device_scalarIT2_EEPKiS8_PKS5_SA_S6_PS5_21rocsparse_index_base_b,"axG",@progbits,_ZN9rocsparseL19gebsrmvn_2xn_kernelILj128ELj10ELj32E21rocsparse_complex_numIfEEEvi20rocsparse_direction_NS_24const_host_device_scalarIT2_EEPKiS8_PKS5_SA_S6_PS5_21rocsparse_index_base_b,comdat
	.globl	_ZN9rocsparseL19gebsrmvn_2xn_kernelILj128ELj10ELj32E21rocsparse_complex_numIfEEEvi20rocsparse_direction_NS_24const_host_device_scalarIT2_EEPKiS8_PKS5_SA_S6_PS5_21rocsparse_index_base_b ; -- Begin function _ZN9rocsparseL19gebsrmvn_2xn_kernelILj128ELj10ELj32E21rocsparse_complex_numIfEEEvi20rocsparse_direction_NS_24const_host_device_scalarIT2_EEPKiS8_PKS5_SA_S6_PS5_21rocsparse_index_base_b
	.p2align	8
	.type	_ZN9rocsparseL19gebsrmvn_2xn_kernelILj128ELj10ELj32E21rocsparse_complex_numIfEEEvi20rocsparse_direction_NS_24const_host_device_scalarIT2_EEPKiS8_PKS5_SA_S6_PS5_21rocsparse_index_base_b,@function
_ZN9rocsparseL19gebsrmvn_2xn_kernelILj128ELj10ELj32E21rocsparse_complex_numIfEEEvi20rocsparse_direction_NS_24const_host_device_scalarIT2_EEPKiS8_PKS5_SA_S6_PS5_21rocsparse_index_base_b: ; @_ZN9rocsparseL19gebsrmvn_2xn_kernelILj128ELj10ELj32E21rocsparse_complex_numIfEEEvi20rocsparse_direction_NS_24const_host_device_scalarIT2_EEPKiS8_PKS5_SA_S6_PS5_21rocsparse_index_base_b
; %bb.0:
	s_load_dwordx2 s[0:1], s[4:5], 0x8
	s_load_dwordx2 s[8:9], s[4:5], 0x30
	;; [unrolled: 1-line block ×3, first 2 shown]
	s_add_u32 s7, s4, 8
	s_addc_u32 s10, s5, 0
	s_add_u32 s11, s4, 48
	s_addc_u32 s12, s5, 0
	s_waitcnt lgkmcnt(0)
	s_bitcmp1_b32 s3, 0
	s_cselect_b32 s1, s10, s1
	s_cselect_b32 s0, s7, s0
	v_mov_b32_e32 v1, s0
	v_mov_b32_e32 v2, s1
	flat_load_dwordx2 v[1:2], v[1:2]
	s_cselect_b32 s0, s12, s9
	s_cselect_b32 s1, s11, s8
	v_mov_b32_e32 v3, s1
	v_mov_b32_e32 v4, s0
	flat_load_dwordx2 v[3:4], v[3:4]
	s_waitcnt vmcnt(0) lgkmcnt(0)
	v_cmp_eq_f32_e32 vcc, 0, v1
	v_cmp_eq_f32_e64 s[0:1], 0, v2
	s_and_b64 s[10:11], vcc, s[0:1]
	s_mov_b64 s[0:1], -1
	s_and_saveexec_b64 s[8:9], s[10:11]
; %bb.1:
	v_cmp_neq_f32_e32 vcc, 1.0, v3
	v_cmp_neq_f32_e64 s[0:1], 0, v4
	s_or_b64 s[0:1], vcc, s[0:1]
	s_orn2_b64 s[0:1], s[0:1], exec
; %bb.2:
	s_or_b64 exec, exec, s[8:9]
	s_and_saveexec_b64 s[8:9], s[0:1]
	s_cbranch_execz .LBB195_21
; %bb.3:
	s_load_dwordx2 s[0:1], s[4:5], 0x0
	v_lshrrev_b32_e32 v5, 5, v0
	v_lshl_or_b32 v5, s6, 2, v5
	s_waitcnt lgkmcnt(0)
	v_cmp_gt_i32_e32 vcc, s0, v5
	s_and_b64 exec, exec, vcc
	s_cbranch_execz .LBB195_21
; %bb.4:
	s_load_dwordx8 s[8:15], s[4:5], 0x10
	v_ashrrev_i32_e32 v6, 31, v5
	v_lshlrev_b64 v[6:7], 2, v[5:6]
	v_and_b32_e32 v0, 31, v0
	s_cmp_lg_u32 s1, 0
	s_waitcnt lgkmcnt(0)
	v_mov_b32_e32 v8, s9
	v_add_co_u32_e32 v6, vcc, s8, v6
	v_addc_co_u32_e32 v7, vcc, v8, v7, vcc
	global_load_dwordx2 v[6:7], v[6:7], off
	s_waitcnt vmcnt(0)
	v_subrev_u32_e32 v6, s2, v6
	v_subrev_u32_e32 v16, s2, v7
	v_add_u32_e32 v6, v6, v0
	v_cmp_lt_i32_e64 s[0:1], v6, v16
	s_cbranch_scc0 .LBB195_10
; %bb.5:
	v_mov_b32_e32 v15, 0
	v_mov_b32_e32 v18, 0
	;; [unrolled: 1-line block ×4, first 2 shown]
	s_and_saveexec_b64 s[6:7], s[0:1]
	s_cbranch_execz .LBB195_9
; %bb.6:
	v_mad_u64_u32 v[7:8], s[8:9], v6, 20, 18
	v_mov_b32_e32 v10, 0
	s_mov_b64 s[8:9], 0
	v_mov_b32_e32 v13, s11
	v_mov_b32_e32 v19, s13
	;; [unrolled: 1-line block ×8, first 2 shown]
.LBB195_7:                              ; =>This Inner Loop Header: Depth=1
	v_ashrrev_i32_e32 v12, 31, v11
	v_lshlrev_b64 v[21:22], 2, v[11:12]
	v_subrev_u32_e32 v9, 18, v7
	v_lshlrev_b64 v[23:24], 3, v[9:10]
	v_add_co_u32_e32 v29, vcc, s10, v21
	v_mov_b32_e32 v8, v10
	v_addc_co_u32_e32 v30, vcc, v13, v22, vcc
	v_lshlrev_b64 v[25:26], 3, v[7:8]
	v_add_co_u32_e32 v31, vcc, s12, v23
	v_addc_co_u32_e32 v32, vcc, v19, v24, vcc
	v_add_co_u32_e32 v49, vcc, s12, v25
	v_addc_co_u32_e32 v50, vcc, v19, v26, vcc
	global_load_dword v12, v[29:30], off
	global_load_dwordx4 v[21:24], v[31:32], off
	global_load_dwordx4 v[25:28], v[31:32], off offset:16
	v_add_u32_e32 v9, -14, v7
	v_lshlrev_b64 v[8:9], 3, v[9:10]
	v_mov_b32_e32 v42, v10
	v_add_co_u32_e32 v8, vcc, s12, v8
	v_addc_co_u32_e32 v9, vcc, v19, v9, vcc
	global_load_dwordx4 v[29:32], v[8:9], off
	v_add_u32_e32 v11, 32, v11
	s_waitcnt vmcnt(3)
	v_subrev_u32_e32 v8, s2, v12
	v_mul_lo_u32 v41, v8, 10
	v_lshlrev_b64 v[33:34], 3, v[41:42]
	v_add_u32_e32 v9, 2, v41
	v_add_co_u32_e32 v33, vcc, s14, v33
	v_addc_co_u32_e32 v34, vcc, v20, v34, vcc
	global_load_dwordx4 v[33:36], v[33:34], off
	v_lshlrev_b64 v[37:38], 3, v[9:10]
	v_add_u32_e32 v9, -12, v7
	v_add_co_u32_e32 v37, vcc, s14, v37
	v_addc_co_u32_e32 v38, vcc, v20, v38, vcc
	global_load_dwordx4 v[37:40], v[37:38], off
	v_lshlrev_b64 v[42:43], 3, v[9:10]
	v_add_u32_e32 v9, -10, v7
	v_add_co_u32_e32 v42, vcc, s12, v42
	v_addc_co_u32_e32 v43, vcc, v19, v43, vcc
	v_lshlrev_b64 v[44:45], 3, v[9:10]
	v_add_u32_e32 v9, 4, v41
	v_lshlrev_b64 v[46:47], 3, v[9:10]
	v_add_u32_e32 v9, -8, v7
	s_waitcnt vmcnt(1)
	v_fmac_f32_e32 v18, v21, v33
	v_fmac_f32_e32 v15, v22, v33
	;; [unrolled: 1-line block ×4, first 2 shown]
	v_fma_f32 v8, -v22, v34, v18
	v_fmac_f32_e32 v15, v21, v34
	v_fma_f32 v12, -v24, v34, v17
	v_fmac_f32_e32 v14, v23, v34
	global_load_dwordx4 v[21:24], v[42:43], off
	v_add_co_u32_e32 v17, vcc, s12, v44
	v_addc_co_u32_e32 v18, vcc, v19, v45, vcc
	v_fmac_f32_e32 v8, v25, v35
	v_fmac_f32_e32 v15, v26, v35
	;; [unrolled: 1-line block ×4, first 2 shown]
	v_lshlrev_b64 v[42:43], 3, v[9:10]
	v_fma_f32 v8, -v26, v36, v8
	v_fmac_f32_e32 v15, v25, v36
	v_fma_f32 v12, -v28, v36, v12
	v_fmac_f32_e32 v14, v27, v36
	global_load_dwordx4 v[25:28], v[17:18], off
	v_add_co_u32_e32 v17, vcc, s14, v46
	v_addc_co_u32_e32 v18, vcc, v20, v47, vcc
	global_load_dwordx4 v[33:36], v[17:18], off
	v_add_co_u32_e32 v17, vcc, s12, v42
	v_addc_co_u32_e32 v18, vcc, v19, v43, vcc
	s_waitcnt vmcnt(3)
	v_fmac_f32_e32 v8, v29, v37
	v_fmac_f32_e32 v15, v30, v37
	;; [unrolled: 1-line block ×4, first 2 shown]
	v_fma_f32 v8, -v30, v38, v8
	v_fmac_f32_e32 v15, v29, v38
	v_fma_f32 v12, -v32, v38, v12
	v_fmac_f32_e32 v14, v31, v38
	global_load_dwordx4 v[29:32], v[17:18], off
	v_add_u32_e32 v9, -6, v7
	v_lshlrev_b64 v[44:45], 3, v[9:10]
	v_add_u32_e32 v9, 6, v41
	v_lshlrev_b64 v[42:43], 3, v[9:10]
	v_add_co_u32_e32 v17, vcc, s12, v44
	v_add_u32_e32 v9, -4, v7
	v_addc_co_u32_e32 v18, vcc, v19, v45, vcc
	v_lshlrev_b64 v[44:45], 3, v[9:10]
	v_add_u32_e32 v9, -2, v7
	v_add_u32_e32 v7, 0x280, v7
	s_waitcnt vmcnt(3)
	v_fmac_f32_e32 v8, v21, v39
	v_fmac_f32_e32 v15, v22, v39
	;; [unrolled: 1-line block ×4, first 2 shown]
	v_fma_f32 v47, -v22, v40, v8
	v_fmac_f32_e32 v15, v21, v40
	v_fma_f32 v12, -v24, v40, v12
	v_fmac_f32_e32 v14, v23, v40
	global_load_dwordx4 v[21:24], v[17:18], off
	v_add_co_u32_e32 v17, vcc, s14, v42
	v_addc_co_u32_e32 v18, vcc, v20, v43, vcc
	v_lshlrev_b64 v[42:43], 3, v[9:10]
	global_load_dwordx4 v[37:40], v[17:18], off
	v_add_co_u32_e32 v17, vcc, s12, v44
	v_add_u32_e32 v9, 8, v41
	v_addc_co_u32_e32 v18, vcc, v19, v45, vcc
	v_lshlrev_b64 v[8:9], 3, v[9:10]
	v_add_co_u32_e32 v45, vcc, s12, v42
	v_addc_co_u32_e32 v46, vcc, v19, v43, vcc
	global_load_dwordx4 v[41:44], v[17:18], off
	v_add_co_u32_e32 v8, vcc, s14, v8
	s_waitcnt vmcnt(4)
	v_fmac_f32_e32 v47, v25, v33
	v_fmac_f32_e32 v15, v26, v33
	;; [unrolled: 1-line block ×4, first 2 shown]
	v_addc_co_u32_e32 v9, vcc, v20, v9, vcc
	v_fma_f32 v17, -v26, v34, v47
	v_fmac_f32_e32 v15, v25, v34
	v_fma_f32 v12, -v28, v34, v12
	v_fmac_f32_e32 v14, v27, v34
	global_load_dwordx4 v[25:28], v[45:46], off
	s_waitcnt vmcnt(4)
	v_fmac_f32_e32 v17, v29, v35
	global_load_dwordx4 v[45:48], v[8:9], off
	v_fmac_f32_e32 v15, v30, v35
	v_fmac_f32_e32 v12, v31, v35
	;; [unrolled: 1-line block ×3, first 2 shown]
	v_fma_f32 v8, -v30, v36, v17
	v_fmac_f32_e32 v15, v29, v36
	v_fma_f32 v9, -v32, v36, v12
	v_fmac_f32_e32 v14, v31, v36
	global_load_dwordx4 v[29:32], v[49:50], off
	v_cmp_ge_i32_e32 vcc, v11, v16
	s_or_b64 s[8:9], vcc, s[8:9]
	s_waitcnt vmcnt(4)
	v_fmac_f32_e32 v8, v21, v37
	v_fmac_f32_e32 v15, v22, v37
	v_fmac_f32_e32 v9, v23, v37
	v_fmac_f32_e32 v14, v24, v37
	v_fma_f32 v8, -v22, v38, v8
	v_fmac_f32_e32 v15, v21, v38
	v_fma_f32 v9, -v24, v38, v9
	v_fmac_f32_e32 v14, v23, v38
	s_waitcnt vmcnt(3)
	v_fmac_f32_e32 v8, v41, v39
	v_fmac_f32_e32 v15, v42, v39
	v_fmac_f32_e32 v9, v43, v39
	v_fmac_f32_e32 v14, v44, v39
	v_fma_f32 v8, -v42, v40, v8
	v_fmac_f32_e32 v15, v41, v40
	v_fma_f32 v9, -v44, v40, v9
	v_fmac_f32_e32 v14, v43, v40
	s_waitcnt vmcnt(1)
	v_fmac_f32_e32 v8, v25, v45
	v_fmac_f32_e32 v15, v26, v45
	v_fmac_f32_e32 v9, v27, v45
	v_fmac_f32_e32 v14, v28, v45
	v_fma_f32 v8, -v26, v46, v8
	v_fmac_f32_e32 v15, v25, v46
	v_fma_f32 v9, -v28, v46, v9
	v_fmac_f32_e32 v14, v27, v46
	s_waitcnt vmcnt(0)
	v_fmac_f32_e32 v8, v29, v47
	v_fmac_f32_e32 v15, v30, v47
	v_fmac_f32_e32 v9, v31, v47
	v_fmac_f32_e32 v14, v32, v47
	v_fma_f32 v18, -v30, v48, v8
	v_fmac_f32_e32 v15, v29, v48
	v_fma_f32 v17, -v32, v48, v9
	v_fmac_f32_e32 v14, v31, v48
	s_andn2_b64 exec, exec, s[8:9]
	s_cbranch_execnz .LBB195_7
; %bb.8:
	s_or_b64 exec, exec, s[8:9]
.LBB195_9:
	s_or_b64 exec, exec, s[6:7]
	s_cbranch_execz .LBB195_11
	s_branch .LBB195_16
.LBB195_10:
                                        ; implicit-def: $vgpr15
                                        ; implicit-def: $vgpr18
                                        ; implicit-def: $vgpr17
                                        ; implicit-def: $vgpr14
.LBB195_11:
	v_mov_b32_e32 v15, 0
	v_mov_b32_e32 v18, 0
	;; [unrolled: 1-line block ×4, first 2 shown]
	s_and_saveexec_b64 s[6:7], s[0:1]
	s_cbranch_execz .LBB195_15
; %bb.12:
	v_mad_u64_u32 v[8:9], s[0:1], v6, 20, 19
	v_mov_b32_e32 v11, 0
	s_mov_b64 s[0:1], 0
	v_mov_b32_e32 v19, s11
	v_mov_b32_e32 v20, s13
	;; [unrolled: 1-line block ×7, first 2 shown]
.LBB195_13:                             ; =>This Inner Loop Header: Depth=1
	v_ashrrev_i32_e32 v7, 31, v6
	v_lshlrev_b64 v[24:25], 2, v[6:7]
	v_subrev_u32_e32 v10, 19, v8
	v_lshlrev_b64 v[26:27], 3, v[10:11]
	v_add_co_u32_e32 v30, vcc, s10, v24
	v_addc_co_u32_e32 v31, vcc, v19, v25, vcc
	v_add_u32_e32 v22, -9, v8
	v_mov_b32_e32 v23, v11
	v_add_co_u32_e32 v32, vcc, s12, v26
	v_lshlrev_b64 v[34:35], 3, v[22:23]
	v_addc_co_u32_e32 v33, vcc, v20, v27, vcc
	global_load_dword v7, v[30:31], off
	global_load_dwordx4 v[22:25], v[32:33], off
	global_load_dwordx4 v[26:29], v[32:33], off offset:16
	v_mov_b32_e32 v13, v11
	v_mov_b32_e32 v9, v11
	v_lshlrev_b64 v[36:37], 3, v[8:9]
	v_add_u32_e32 v10, -8, v8
	v_lshlrev_b64 v[9:10], 3, v[10:11]
	v_add_u32_e32 v6, 32, v6
	s_waitcnt vmcnt(2)
	v_subrev_u32_e32 v7, s2, v7
	v_mul_lo_u32 v12, v7, 10
	v_lshlrev_b64 v[30:31], 3, v[12:13]
	v_add_co_u32_e32 v30, vcc, s14, v30
	v_addc_co_u32_e32 v31, vcc, v21, v31, vcc
	global_load_dwordx4 v[30:33], v[30:31], off
	s_waitcnt vmcnt(0)
	v_fmac_f32_e32 v15, v23, v30
	v_fmac_f32_e32 v18, v22, v30
	;; [unrolled: 1-line block ×3, first 2 shown]
	v_add_co_u32_e32 v22, vcc, s12, v34
	v_fma_f32 v7, -v23, v31, v18
	v_addc_co_u32_e32 v23, vcc, v20, v35, vcc
	v_add_co_u32_e32 v34, vcc, s12, v36
	v_fmac_f32_e32 v15, v25, v32
	v_addc_co_u32_e32 v35, vcc, v20, v37, vcc
	v_fmac_f32_e32 v7, v24, v32
	v_fmac_f32_e32 v15, v24, v33
	v_add_co_u32_e32 v24, vcc, s12, v9
	v_fma_f32 v7, -v25, v33, v7
	v_addc_co_u32_e32 v25, vcc, v20, v10, vcc
	global_load_dwordx2 v[38:39], v[22:23], off
	global_load_dwordx2 v[40:41], v[24:25], off
	v_add_u32_e32 v10, 2, v12
	v_lshlrev_b64 v[9:10], 3, v[10:11]
	v_add_co_u32_e32 v36, vcc, s14, v9
	v_addc_co_u32_e32 v37, vcc, v21, v10, vcc
	global_load_dwordx4 v[22:25], v[36:37], off
	v_add_u32_e32 v10, -7, v8
	s_waitcnt vmcnt(2)
	v_fmac_f32_e32 v17, v38, v30
	v_fma_f32 v9, -v39, v31, v17
	v_lshlrev_b64 v[17:18], 3, v[10:11]
	v_fmac_f32_e32 v14, v39, v30
	v_add_u32_e32 v10, -6, v8
	v_fmac_f32_e32 v14, v38, v31
	v_lshlrev_b64 v[30:31], 3, v[10:11]
	v_add_co_u32_e32 v17, vcc, s12, v17
	v_addc_co_u32_e32 v18, vcc, v20, v18, vcc
	v_add_co_u32_e32 v30, vcc, s12, v30
	v_addc_co_u32_e32 v31, vcc, v20, v31, vcc
	global_load_dwordx2 v[36:37], v[17:18], off
	global_load_dwordx2 v[38:39], v[30:31], off
	s_waitcnt vmcnt(3)
	v_fmac_f32_e32 v9, v40, v32
	v_fmac_f32_e32 v14, v41, v32
	v_add_u32_e32 v10, -15, v8
	s_waitcnt vmcnt(2)
	v_fmac_f32_e32 v15, v27, v22
	v_fma_f32 v13, -v41, v33, v9
	v_fmac_f32_e32 v14, v40, v33
	v_lshlrev_b64 v[32:33], 3, v[10:11]
	v_fmac_f32_e32 v7, v26, v22
	v_fmac_f32_e32 v15, v26, v23
	v_add_u32_e32 v10, 4, v12
	v_fma_f32 v7, -v27, v23, v7
	v_fmac_f32_e32 v15, v29, v24
	v_fmac_f32_e32 v7, v28, v24
	;; [unrolled: 1-line block ×3, first 2 shown]
	v_lshlrev_b64 v[26:27], 3, v[10:11]
	v_add_co_u32_e32 v28, vcc, s12, v32
	v_fma_f32 v7, -v29, v25, v7
	v_add_u32_e32 v10, -5, v8
	v_addc_co_u32_e32 v29, vcc, v20, v33, vcc
	v_add_co_u32_e32 v26, vcc, s14, v26
	v_lshlrev_b64 v[9:10], 3, v[10:11]
	v_addc_co_u32_e32 v27, vcc, v21, v27, vcc
	v_add_co_u32_e32 v32, vcc, s12, v9
	v_addc_co_u32_e32 v33, vcc, v20, v10, vcc
	v_add_u32_e32 v10, -14, v8
	global_load_dwordx2 v[17:18], v[28:29], off
	s_waitcnt vmcnt(2)
	v_fmac_f32_e32 v13, v36, v22
	v_fmac_f32_e32 v14, v37, v22
	v_fma_f32 v9, -v37, v23, v13
	v_fmac_f32_e32 v14, v36, v23
	v_lshlrev_b64 v[22:23], 3, v[10:11]
	v_add_u32_e32 v10, -4, v8
	s_waitcnt vmcnt(1)
	v_fmac_f32_e32 v9, v38, v24
	v_fmac_f32_e32 v14, v39, v24
	v_fma_f32 v13, -v39, v25, v9
	v_fmac_f32_e32 v14, v38, v25
	v_lshlrev_b64 v[24:25], 3, v[10:11]
	v_add_co_u32_e32 v28, vcc, s12, v22
	v_add_u32_e32 v10, -13, v8
	v_addc_co_u32_e32 v29, vcc, v20, v23, vcc
	v_lshlrev_b64 v[22:23], 3, v[10:11]
	v_add_co_u32_e32 v30, vcc, s12, v24
	v_addc_co_u32_e32 v31, vcc, v20, v25, vcc
	v_add_co_u32_e32 v36, vcc, s12, v22
	v_addc_co_u32_e32 v37, vcc, v20, v23, vcc
	global_load_dwordx4 v[22:25], v[26:27], off
	v_add_u32_e32 v10, 6, v12
	v_lshlrev_b64 v[9:10], 3, v[10:11]
	v_add_co_u32_e32 v38, vcc, s14, v9
	v_addc_co_u32_e32 v39, vcc, v21, v10, vcc
	v_add_u32_e32 v10, -3, v8
	v_lshlrev_b64 v[9:10], 3, v[10:11]
	v_add_co_u32_e32 v40, vcc, s12, v9
	v_addc_co_u32_e32 v41, vcc, v20, v10, vcc
	s_waitcnt vmcnt(0)
	v_fmac_f32_e32 v7, v17, v22
	v_fmac_f32_e32 v15, v18, v22
	v_fma_f32 v7, -v18, v23, v7
	v_fmac_f32_e32 v15, v17, v23
	global_load_dwordx2 v[9:10], v[32:33], off
	global_load_dwordx2 v[17:18], v[28:29], off
	;; [unrolled: 1-line block ×4, first 2 shown]
	s_waitcnt vmcnt(3)
	v_fmac_f32_e32 v13, v9, v22
	v_fmac_f32_e32 v14, v10, v22
	v_fma_f32 v13, -v10, v23, v13
	v_add_u32_e32 v10, -12, v8
	s_waitcnt vmcnt(2)
	v_fmac_f32_e32 v7, v17, v24
	v_fmac_f32_e32 v15, v18, v24
	v_fma_f32 v7, -v18, v25, v7
	v_fmac_f32_e32 v15, v17, v25
	v_lshlrev_b64 v[17:18], 3, v[10:11]
	v_add_u32_e32 v10, -2, v8
	v_fmac_f32_e32 v14, v9, v23
	v_lshlrev_b64 v[22:23], 3, v[10:11]
	v_add_co_u32_e32 v17, vcc, s12, v17
	s_waitcnt vmcnt(1)
	v_fmac_f32_e32 v13, v26, v24
	v_fmac_f32_e32 v14, v27, v24
	v_add_u32_e32 v10, -11, v8
	v_addc_co_u32_e32 v18, vcc, v20, v18, vcc
	v_fma_f32 v44, -v27, v25, v13
	v_fmac_f32_e32 v14, v26, v25
	v_lshlrev_b64 v[24:25], 3, v[10:11]
	v_add_u32_e32 v10, 8, v12
	v_add_co_u32_e32 v12, vcc, s12, v22
	v_addc_co_u32_e32 v13, vcc, v20, v23, vcc
	v_lshlrev_b64 v[22:23], 3, v[10:11]
	v_add_co_u32_e32 v26, vcc, s12, v24
	v_addc_co_u32_e32 v27, vcc, v20, v25, vcc
	v_add_co_u32_e32 v30, vcc, s14, v22
	v_addc_co_u32_e32 v31, vcc, v21, v23, vcc
	global_load_dwordx4 v[22:25], v[38:39], off
	v_add_u32_e32 v10, -1, v8
	v_lshlrev_b64 v[9:10], 3, v[10:11]
	v_add_co_u32_e32 v32, vcc, s12, v9
	v_addc_co_u32_e32 v33, vcc, v20, v10, vcc
	v_add_u32_e32 v10, -10, v8
	v_lshlrev_b64 v[9:10], 3, v[10:11]
	v_add_u32_e32 v8, 0x280, v8
	v_add_co_u32_e32 v9, vcc, s12, v9
	v_addc_co_u32_e32 v10, vcc, v20, v10, vcc
	v_cmp_ge_i32_e32 vcc, v6, v16
	s_or_b64 s[0:1], vcc, s[0:1]
	s_waitcnt vmcnt(0)
	v_fmac_f32_e32 v7, v42, v22
	v_fmac_f32_e32 v15, v43, v22
	v_fma_f32 v7, -v43, v23, v7
	v_fmac_f32_e32 v15, v42, v23
	global_load_dwordx2 v[28:29], v[40:41], off
	global_load_dwordx2 v[36:37], v[17:18], off
	;; [unrolled: 1-line block ×4, first 2 shown]
	s_waitcnt vmcnt(3)
	v_fmac_f32_e32 v44, v28, v22
	v_fmac_f32_e32 v14, v29, v22
	v_fma_f32 v40, -v29, v23, v44
	v_fmac_f32_e32 v14, v28, v23
	global_load_dwordx4 v[26:29], v[30:31], off
	global_load_dwordx2 v[12:13], v[32:33], off
	global_load_dwordx2 v[17:18], v[9:10], off
	;; [unrolled: 1-line block ×3, first 2 shown]
	s_waitcnt vmcnt(6)
	v_fmac_f32_e32 v7, v36, v24
	v_fmac_f32_e32 v15, v37, v24
	s_waitcnt vmcnt(5)
	v_fmac_f32_e32 v40, v38, v24
	v_fmac_f32_e32 v14, v39, v24
	v_fma_f32 v7, -v37, v25, v7
	v_fmac_f32_e32 v15, v36, v25
	v_fma_f32 v9, -v39, v25, v40
	v_fmac_f32_e32 v14, v38, v25
	s_waitcnt vmcnt(3)
	v_fmac_f32_e32 v7, v42, v26
	v_fmac_f32_e32 v15, v43, v26
	s_waitcnt vmcnt(2)
	v_fmac_f32_e32 v9, v12, v26
	v_fmac_f32_e32 v14, v13, v26
	v_fma_f32 v7, -v43, v27, v7
	v_fmac_f32_e32 v15, v42, v27
	v_fma_f32 v9, -v13, v27, v9
	v_fmac_f32_e32 v14, v12, v27
	;; [unrolled: 10-line block ×3, first 2 shown]
	s_andn2_b64 exec, exec, s[0:1]
	s_cbranch_execnz .LBB195_13
; %bb.14:
	s_or_b64 exec, exec, s[0:1]
.LBB195_15:
	s_or_b64 exec, exec, s[6:7]
.LBB195_16:
	v_mov_b32_dpp v6, v18 row_shr:1 row_mask:0xf bank_mask:0xf
	v_mov_b32_dpp v8, v15 row_shr:1 row_mask:0xf bank_mask:0xf
	v_mov_b32_dpp v10, v17 row_shr:1 row_mask:0xf bank_mask:0xf
	v_mov_b32_dpp v12, v14 row_shr:1 row_mask:0xf bank_mask:0xf
	v_add_f32_e32 v6, v18, v6
	v_add_f32_e32 v8, v15, v8
	v_add_f32_e32 v10, v17, v10
	v_add_f32_e32 v12, v14, v12
	v_mov_b32_dpp v7, v6 row_shr:2 row_mask:0xf bank_mask:0xf
	v_mov_b32_dpp v9, v8 row_shr:2 row_mask:0xf bank_mask:0xf
	v_mov_b32_dpp v11, v10 row_shr:2 row_mask:0xf bank_mask:0xf
	v_mov_b32_dpp v13, v12 row_shr:2 row_mask:0xf bank_mask:0xf
	v_add_f32_e32 v6, v6, v7
	v_add_f32_e32 v8, v8, v9
	v_add_f32_e32 v10, v10, v11
	v_add_f32_e32 v12, v12, v13
	;; [unrolled: 8-line block ×4, first 2 shown]
	v_mov_b32_dpp v7, v6 row_bcast:15 row_mask:0xa bank_mask:0xf
	v_mov_b32_dpp v9, v8 row_bcast:15 row_mask:0xa bank_mask:0xf
	;; [unrolled: 1-line block ×4, first 2 shown]
	v_cmp_eq_u32_e32 vcc, 31, v0
	s_and_b64 exec, exec, vcc
	s_cbranch_execz .LBB195_21
; %bb.17:
	s_load_dwordx2 s[2:3], s[4:5], 0x38
	v_cmp_eq_f32_e32 vcc, 0, v3
	v_cmp_eq_f32_e64 s[0:1], 0, v4
	v_add_f32_e32 v7, v6, v7
	v_add_f32_e32 v8, v8, v9
	;; [unrolled: 1-line block ×4, first 2 shown]
	s_and_b64 s[0:1], vcc, s[0:1]
	s_and_saveexec_b64 s[4:5], s[0:1]
	s_xor_b64 s[0:1], exec, s[4:5]
	s_cbranch_execz .LBB195_19
; %bb.18:
	v_mul_f32_e64 v3, v8, -v2
	v_mul_f32_e32 v4, v1, v8
	v_fmac_f32_e32 v3, v1, v7
	v_fmac_f32_e32 v4, v2, v7
	v_lshlrev_b32_e32 v7, 1, v5
	v_ashrrev_i32_e32 v8, 31, v7
	v_lshlrev_b64 v[7:8], 3, v[7:8]
	s_waitcnt lgkmcnt(0)
	v_mov_b32_e32 v5, s3
	v_add_co_u32_e32 v7, vcc, s2, v7
	v_addc_co_u32_e32 v8, vcc, v5, v8, vcc
	v_mul_f32_e64 v5, v6, -v2
	v_mul_f32_e32 v6, v1, v6
	v_fmac_f32_e32 v5, v1, v0
	v_fmac_f32_e32 v6, v2, v0
	global_store_dwordx4 v[7:8], v[3:6], off
                                        ; implicit-def: $vgpr5
                                        ; implicit-def: $vgpr1_vgpr2
                                        ; implicit-def: $vgpr8
                                        ; implicit-def: $vgpr7
                                        ; implicit-def: $vgpr3_vgpr4
                                        ; implicit-def: $vgpr6
                                        ; implicit-def: $vgpr0
.LBB195_19:
	s_andn2_saveexec_b64 s[0:1], s[0:1]
	s_cbranch_execz .LBB195_21
; %bb.20:
	v_lshlrev_b32_e32 v9, 1, v5
	v_ashrrev_i32_e32 v10, 31, v9
	v_lshlrev_b64 v[9:10], 3, v[9:10]
	s_waitcnt lgkmcnt(0)
	v_mov_b32_e32 v5, s3
	v_add_co_u32_e32 v17, vcc, s2, v9
	v_addc_co_u32_e32 v18, vcc, v5, v10, vcc
	global_load_dwordx4 v[9:12], v[17:18], off
	v_mul_f32_e64 v5, v8, -v2
	v_mul_f32_e32 v14, v1, v8
	v_mul_f32_e64 v8, v6, -v2
	v_mul_f32_e32 v16, v1, v6
	v_fmac_f32_e32 v5, v1, v7
	v_fmac_f32_e32 v14, v2, v7
	;; [unrolled: 1-line block ×4, first 2 shown]
	s_waitcnt vmcnt(0)
	v_fmac_f32_e32 v5, v3, v9
	v_fmac_f32_e32 v14, v4, v9
	;; [unrolled: 1-line block ×4, first 2 shown]
	v_fma_f32 v13, -v4, v10, v5
	v_fmac_f32_e32 v14, v3, v10
	v_fma_f32 v15, -v4, v12, v8
	v_fmac_f32_e32 v16, v3, v12
	global_store_dwordx4 v[17:18], v[13:16], off
.LBB195_21:
	s_endpgm
	.section	.rodata,"a",@progbits
	.p2align	6, 0x0
	.amdhsa_kernel _ZN9rocsparseL19gebsrmvn_2xn_kernelILj128ELj10ELj32E21rocsparse_complex_numIfEEEvi20rocsparse_direction_NS_24const_host_device_scalarIT2_EEPKiS8_PKS5_SA_S6_PS5_21rocsparse_index_base_b
		.amdhsa_group_segment_fixed_size 0
		.amdhsa_private_segment_fixed_size 0
		.amdhsa_kernarg_size 72
		.amdhsa_user_sgpr_count 6
		.amdhsa_user_sgpr_private_segment_buffer 1
		.amdhsa_user_sgpr_dispatch_ptr 0
		.amdhsa_user_sgpr_queue_ptr 0
		.amdhsa_user_sgpr_kernarg_segment_ptr 1
		.amdhsa_user_sgpr_dispatch_id 0
		.amdhsa_user_sgpr_flat_scratch_init 0
		.amdhsa_user_sgpr_private_segment_size 0
		.amdhsa_uses_dynamic_stack 0
		.amdhsa_system_sgpr_private_segment_wavefront_offset 0
		.amdhsa_system_sgpr_workgroup_id_x 1
		.amdhsa_system_sgpr_workgroup_id_y 0
		.amdhsa_system_sgpr_workgroup_id_z 0
		.amdhsa_system_sgpr_workgroup_info 0
		.amdhsa_system_vgpr_workitem_id 0
		.amdhsa_next_free_vgpr 51
		.amdhsa_next_free_sgpr 16
		.amdhsa_reserve_vcc 1
		.amdhsa_reserve_flat_scratch 0
		.amdhsa_float_round_mode_32 0
		.amdhsa_float_round_mode_16_64 0
		.amdhsa_float_denorm_mode_32 3
		.amdhsa_float_denorm_mode_16_64 3
		.amdhsa_dx10_clamp 1
		.amdhsa_ieee_mode 1
		.amdhsa_fp16_overflow 0
		.amdhsa_exception_fp_ieee_invalid_op 0
		.amdhsa_exception_fp_denorm_src 0
		.amdhsa_exception_fp_ieee_div_zero 0
		.amdhsa_exception_fp_ieee_overflow 0
		.amdhsa_exception_fp_ieee_underflow 0
		.amdhsa_exception_fp_ieee_inexact 0
		.amdhsa_exception_int_div_zero 0
	.end_amdhsa_kernel
	.section	.text._ZN9rocsparseL19gebsrmvn_2xn_kernelILj128ELj10ELj32E21rocsparse_complex_numIfEEEvi20rocsparse_direction_NS_24const_host_device_scalarIT2_EEPKiS8_PKS5_SA_S6_PS5_21rocsparse_index_base_b,"axG",@progbits,_ZN9rocsparseL19gebsrmvn_2xn_kernelILj128ELj10ELj32E21rocsparse_complex_numIfEEEvi20rocsparse_direction_NS_24const_host_device_scalarIT2_EEPKiS8_PKS5_SA_S6_PS5_21rocsparse_index_base_b,comdat
.Lfunc_end195:
	.size	_ZN9rocsparseL19gebsrmvn_2xn_kernelILj128ELj10ELj32E21rocsparse_complex_numIfEEEvi20rocsparse_direction_NS_24const_host_device_scalarIT2_EEPKiS8_PKS5_SA_S6_PS5_21rocsparse_index_base_b, .Lfunc_end195-_ZN9rocsparseL19gebsrmvn_2xn_kernelILj128ELj10ELj32E21rocsparse_complex_numIfEEEvi20rocsparse_direction_NS_24const_host_device_scalarIT2_EEPKiS8_PKS5_SA_S6_PS5_21rocsparse_index_base_b
                                        ; -- End function
	.set _ZN9rocsparseL19gebsrmvn_2xn_kernelILj128ELj10ELj32E21rocsparse_complex_numIfEEEvi20rocsparse_direction_NS_24const_host_device_scalarIT2_EEPKiS8_PKS5_SA_S6_PS5_21rocsparse_index_base_b.num_vgpr, 51
	.set _ZN9rocsparseL19gebsrmvn_2xn_kernelILj128ELj10ELj32E21rocsparse_complex_numIfEEEvi20rocsparse_direction_NS_24const_host_device_scalarIT2_EEPKiS8_PKS5_SA_S6_PS5_21rocsparse_index_base_b.num_agpr, 0
	.set _ZN9rocsparseL19gebsrmvn_2xn_kernelILj128ELj10ELj32E21rocsparse_complex_numIfEEEvi20rocsparse_direction_NS_24const_host_device_scalarIT2_EEPKiS8_PKS5_SA_S6_PS5_21rocsparse_index_base_b.numbered_sgpr, 16
	.set _ZN9rocsparseL19gebsrmvn_2xn_kernelILj128ELj10ELj32E21rocsparse_complex_numIfEEEvi20rocsparse_direction_NS_24const_host_device_scalarIT2_EEPKiS8_PKS5_SA_S6_PS5_21rocsparse_index_base_b.num_named_barrier, 0
	.set _ZN9rocsparseL19gebsrmvn_2xn_kernelILj128ELj10ELj32E21rocsparse_complex_numIfEEEvi20rocsparse_direction_NS_24const_host_device_scalarIT2_EEPKiS8_PKS5_SA_S6_PS5_21rocsparse_index_base_b.private_seg_size, 0
	.set _ZN9rocsparseL19gebsrmvn_2xn_kernelILj128ELj10ELj32E21rocsparse_complex_numIfEEEvi20rocsparse_direction_NS_24const_host_device_scalarIT2_EEPKiS8_PKS5_SA_S6_PS5_21rocsparse_index_base_b.uses_vcc, 1
	.set _ZN9rocsparseL19gebsrmvn_2xn_kernelILj128ELj10ELj32E21rocsparse_complex_numIfEEEvi20rocsparse_direction_NS_24const_host_device_scalarIT2_EEPKiS8_PKS5_SA_S6_PS5_21rocsparse_index_base_b.uses_flat_scratch, 0
	.set _ZN9rocsparseL19gebsrmvn_2xn_kernelILj128ELj10ELj32E21rocsparse_complex_numIfEEEvi20rocsparse_direction_NS_24const_host_device_scalarIT2_EEPKiS8_PKS5_SA_S6_PS5_21rocsparse_index_base_b.has_dyn_sized_stack, 0
	.set _ZN9rocsparseL19gebsrmvn_2xn_kernelILj128ELj10ELj32E21rocsparse_complex_numIfEEEvi20rocsparse_direction_NS_24const_host_device_scalarIT2_EEPKiS8_PKS5_SA_S6_PS5_21rocsparse_index_base_b.has_recursion, 0
	.set _ZN9rocsparseL19gebsrmvn_2xn_kernelILj128ELj10ELj32E21rocsparse_complex_numIfEEEvi20rocsparse_direction_NS_24const_host_device_scalarIT2_EEPKiS8_PKS5_SA_S6_PS5_21rocsparse_index_base_b.has_indirect_call, 0
	.section	.AMDGPU.csdata,"",@progbits
; Kernel info:
; codeLenInByte = 3028
; TotalNumSgprs: 20
; NumVgprs: 51
; ScratchSize: 0
; MemoryBound: 0
; FloatMode: 240
; IeeeMode: 1
; LDSByteSize: 0 bytes/workgroup (compile time only)
; SGPRBlocks: 2
; VGPRBlocks: 12
; NumSGPRsForWavesPerEU: 20
; NumVGPRsForWavesPerEU: 51
; Occupancy: 4
; WaveLimiterHint : 1
; COMPUTE_PGM_RSRC2:SCRATCH_EN: 0
; COMPUTE_PGM_RSRC2:USER_SGPR: 6
; COMPUTE_PGM_RSRC2:TRAP_HANDLER: 0
; COMPUTE_PGM_RSRC2:TGID_X_EN: 1
; COMPUTE_PGM_RSRC2:TGID_Y_EN: 0
; COMPUTE_PGM_RSRC2:TGID_Z_EN: 0
; COMPUTE_PGM_RSRC2:TIDIG_COMP_CNT: 0
	.section	.text._ZN9rocsparseL19gebsrmvn_2xn_kernelILj128ELj10ELj64E21rocsparse_complex_numIfEEEvi20rocsparse_direction_NS_24const_host_device_scalarIT2_EEPKiS8_PKS5_SA_S6_PS5_21rocsparse_index_base_b,"axG",@progbits,_ZN9rocsparseL19gebsrmvn_2xn_kernelILj128ELj10ELj64E21rocsparse_complex_numIfEEEvi20rocsparse_direction_NS_24const_host_device_scalarIT2_EEPKiS8_PKS5_SA_S6_PS5_21rocsparse_index_base_b,comdat
	.globl	_ZN9rocsparseL19gebsrmvn_2xn_kernelILj128ELj10ELj64E21rocsparse_complex_numIfEEEvi20rocsparse_direction_NS_24const_host_device_scalarIT2_EEPKiS8_PKS5_SA_S6_PS5_21rocsparse_index_base_b ; -- Begin function _ZN9rocsparseL19gebsrmvn_2xn_kernelILj128ELj10ELj64E21rocsparse_complex_numIfEEEvi20rocsparse_direction_NS_24const_host_device_scalarIT2_EEPKiS8_PKS5_SA_S6_PS5_21rocsparse_index_base_b
	.p2align	8
	.type	_ZN9rocsparseL19gebsrmvn_2xn_kernelILj128ELj10ELj64E21rocsparse_complex_numIfEEEvi20rocsparse_direction_NS_24const_host_device_scalarIT2_EEPKiS8_PKS5_SA_S6_PS5_21rocsparse_index_base_b,@function
_ZN9rocsparseL19gebsrmvn_2xn_kernelILj128ELj10ELj64E21rocsparse_complex_numIfEEEvi20rocsparse_direction_NS_24const_host_device_scalarIT2_EEPKiS8_PKS5_SA_S6_PS5_21rocsparse_index_base_b: ; @_ZN9rocsparseL19gebsrmvn_2xn_kernelILj128ELj10ELj64E21rocsparse_complex_numIfEEEvi20rocsparse_direction_NS_24const_host_device_scalarIT2_EEPKiS8_PKS5_SA_S6_PS5_21rocsparse_index_base_b
; %bb.0:
	s_load_dwordx2 s[0:1], s[4:5], 0x8
	s_load_dwordx2 s[8:9], s[4:5], 0x30
	;; [unrolled: 1-line block ×3, first 2 shown]
	s_add_u32 s7, s4, 8
	s_addc_u32 s10, s5, 0
	s_add_u32 s11, s4, 48
	s_addc_u32 s12, s5, 0
	s_waitcnt lgkmcnt(0)
	s_bitcmp1_b32 s3, 0
	s_cselect_b32 s1, s10, s1
	s_cselect_b32 s0, s7, s0
	v_mov_b32_e32 v1, s0
	v_mov_b32_e32 v2, s1
	flat_load_dwordx2 v[1:2], v[1:2]
	s_cselect_b32 s0, s12, s9
	s_cselect_b32 s1, s11, s8
	v_mov_b32_e32 v3, s1
	v_mov_b32_e32 v4, s0
	flat_load_dwordx2 v[3:4], v[3:4]
	s_waitcnt vmcnt(0) lgkmcnt(0)
	v_cmp_eq_f32_e32 vcc, 0, v1
	v_cmp_eq_f32_e64 s[0:1], 0, v2
	s_and_b64 s[10:11], vcc, s[0:1]
	s_mov_b64 s[0:1], -1
	s_and_saveexec_b64 s[8:9], s[10:11]
; %bb.1:
	v_cmp_neq_f32_e32 vcc, 1.0, v3
	v_cmp_neq_f32_e64 s[0:1], 0, v4
	s_or_b64 s[0:1], vcc, s[0:1]
	s_orn2_b64 s[0:1], s[0:1], exec
; %bb.2:
	s_or_b64 exec, exec, s[8:9]
	s_and_saveexec_b64 s[8:9], s[0:1]
	s_cbranch_execz .LBB196_21
; %bb.3:
	s_load_dwordx2 s[0:1], s[4:5], 0x0
	v_lshrrev_b32_e32 v5, 6, v0
	v_lshl_or_b32 v5, s6, 1, v5
	s_waitcnt lgkmcnt(0)
	v_cmp_gt_i32_e32 vcc, s0, v5
	s_and_b64 exec, exec, vcc
	s_cbranch_execz .LBB196_21
; %bb.4:
	s_load_dwordx8 s[8:15], s[4:5], 0x10
	v_ashrrev_i32_e32 v6, 31, v5
	v_lshlrev_b64 v[6:7], 2, v[5:6]
	v_and_b32_e32 v0, 63, v0
	s_cmp_lg_u32 s1, 0
	s_waitcnt lgkmcnt(0)
	v_mov_b32_e32 v8, s9
	v_add_co_u32_e32 v6, vcc, s8, v6
	v_addc_co_u32_e32 v7, vcc, v8, v7, vcc
	global_load_dwordx2 v[6:7], v[6:7], off
	s_waitcnt vmcnt(0)
	v_subrev_u32_e32 v6, s2, v6
	v_subrev_u32_e32 v16, s2, v7
	v_add_u32_e32 v6, v6, v0
	v_cmp_lt_i32_e64 s[0:1], v6, v16
	s_cbranch_scc0 .LBB196_10
; %bb.5:
	v_mov_b32_e32 v15, 0
	v_mov_b32_e32 v18, 0
	;; [unrolled: 1-line block ×4, first 2 shown]
	s_and_saveexec_b64 s[6:7], s[0:1]
	s_cbranch_execz .LBB196_9
; %bb.6:
	v_mad_u64_u32 v[7:8], s[8:9], v6, 20, 18
	v_mov_b32_e32 v10, 0
	s_mov_b64 s[8:9], 0
	v_mov_b32_e32 v13, s11
	v_mov_b32_e32 v19, s13
	;; [unrolled: 1-line block ×8, first 2 shown]
.LBB196_7:                              ; =>This Inner Loop Header: Depth=1
	v_ashrrev_i32_e32 v12, 31, v11
	v_lshlrev_b64 v[21:22], 2, v[11:12]
	v_subrev_u32_e32 v9, 18, v7
	v_lshlrev_b64 v[23:24], 3, v[9:10]
	v_add_co_u32_e32 v29, vcc, s10, v21
	v_mov_b32_e32 v8, v10
	v_addc_co_u32_e32 v30, vcc, v13, v22, vcc
	v_lshlrev_b64 v[25:26], 3, v[7:8]
	v_add_co_u32_e32 v31, vcc, s12, v23
	v_addc_co_u32_e32 v32, vcc, v19, v24, vcc
	v_add_co_u32_e32 v49, vcc, s12, v25
	v_addc_co_u32_e32 v50, vcc, v19, v26, vcc
	global_load_dword v12, v[29:30], off
	global_load_dwordx4 v[21:24], v[31:32], off
	global_load_dwordx4 v[25:28], v[31:32], off offset:16
	v_add_u32_e32 v9, -14, v7
	v_lshlrev_b64 v[8:9], 3, v[9:10]
	v_mov_b32_e32 v42, v10
	v_add_co_u32_e32 v8, vcc, s12, v8
	v_addc_co_u32_e32 v9, vcc, v19, v9, vcc
	global_load_dwordx4 v[29:32], v[8:9], off
	v_add_u32_e32 v11, 64, v11
	s_waitcnt vmcnt(3)
	v_subrev_u32_e32 v8, s2, v12
	v_mul_lo_u32 v41, v8, 10
	v_lshlrev_b64 v[33:34], 3, v[41:42]
	v_add_u32_e32 v9, 2, v41
	v_add_co_u32_e32 v33, vcc, s14, v33
	v_addc_co_u32_e32 v34, vcc, v20, v34, vcc
	global_load_dwordx4 v[33:36], v[33:34], off
	v_lshlrev_b64 v[37:38], 3, v[9:10]
	v_add_u32_e32 v9, -12, v7
	v_add_co_u32_e32 v37, vcc, s14, v37
	v_addc_co_u32_e32 v38, vcc, v20, v38, vcc
	global_load_dwordx4 v[37:40], v[37:38], off
	v_lshlrev_b64 v[42:43], 3, v[9:10]
	v_add_u32_e32 v9, -10, v7
	v_add_co_u32_e32 v42, vcc, s12, v42
	v_addc_co_u32_e32 v43, vcc, v19, v43, vcc
	v_lshlrev_b64 v[44:45], 3, v[9:10]
	v_add_u32_e32 v9, 4, v41
	v_lshlrev_b64 v[46:47], 3, v[9:10]
	v_add_u32_e32 v9, -8, v7
	s_waitcnt vmcnt(1)
	v_fmac_f32_e32 v18, v21, v33
	v_fmac_f32_e32 v15, v22, v33
	v_fmac_f32_e32 v17, v23, v33
	v_fmac_f32_e32 v14, v24, v33
	v_fma_f32 v8, -v22, v34, v18
	v_fmac_f32_e32 v15, v21, v34
	v_fma_f32 v12, -v24, v34, v17
	v_fmac_f32_e32 v14, v23, v34
	global_load_dwordx4 v[21:24], v[42:43], off
	v_add_co_u32_e32 v17, vcc, s12, v44
	v_addc_co_u32_e32 v18, vcc, v19, v45, vcc
	v_fmac_f32_e32 v8, v25, v35
	v_fmac_f32_e32 v15, v26, v35
	;; [unrolled: 1-line block ×4, first 2 shown]
	v_lshlrev_b64 v[42:43], 3, v[9:10]
	v_fma_f32 v8, -v26, v36, v8
	v_fmac_f32_e32 v15, v25, v36
	v_fma_f32 v12, -v28, v36, v12
	v_fmac_f32_e32 v14, v27, v36
	global_load_dwordx4 v[25:28], v[17:18], off
	v_add_co_u32_e32 v17, vcc, s14, v46
	v_addc_co_u32_e32 v18, vcc, v20, v47, vcc
	global_load_dwordx4 v[33:36], v[17:18], off
	v_add_co_u32_e32 v17, vcc, s12, v42
	v_addc_co_u32_e32 v18, vcc, v19, v43, vcc
	s_waitcnt vmcnt(3)
	v_fmac_f32_e32 v8, v29, v37
	v_fmac_f32_e32 v15, v30, v37
	;; [unrolled: 1-line block ×4, first 2 shown]
	v_fma_f32 v8, -v30, v38, v8
	v_fmac_f32_e32 v15, v29, v38
	v_fma_f32 v12, -v32, v38, v12
	v_fmac_f32_e32 v14, v31, v38
	global_load_dwordx4 v[29:32], v[17:18], off
	v_add_u32_e32 v9, -6, v7
	v_lshlrev_b64 v[44:45], 3, v[9:10]
	v_add_u32_e32 v9, 6, v41
	v_lshlrev_b64 v[42:43], 3, v[9:10]
	v_add_co_u32_e32 v17, vcc, s12, v44
	v_add_u32_e32 v9, -4, v7
	v_addc_co_u32_e32 v18, vcc, v19, v45, vcc
	v_lshlrev_b64 v[44:45], 3, v[9:10]
	v_add_u32_e32 v9, -2, v7
	v_add_u32_e32 v7, 0x500, v7
	s_waitcnt vmcnt(3)
	v_fmac_f32_e32 v8, v21, v39
	v_fmac_f32_e32 v15, v22, v39
	;; [unrolled: 1-line block ×4, first 2 shown]
	v_fma_f32 v47, -v22, v40, v8
	v_fmac_f32_e32 v15, v21, v40
	v_fma_f32 v12, -v24, v40, v12
	v_fmac_f32_e32 v14, v23, v40
	global_load_dwordx4 v[21:24], v[17:18], off
	v_add_co_u32_e32 v17, vcc, s14, v42
	v_addc_co_u32_e32 v18, vcc, v20, v43, vcc
	v_lshlrev_b64 v[42:43], 3, v[9:10]
	global_load_dwordx4 v[37:40], v[17:18], off
	v_add_co_u32_e32 v17, vcc, s12, v44
	v_add_u32_e32 v9, 8, v41
	v_addc_co_u32_e32 v18, vcc, v19, v45, vcc
	v_lshlrev_b64 v[8:9], 3, v[9:10]
	v_add_co_u32_e32 v45, vcc, s12, v42
	v_addc_co_u32_e32 v46, vcc, v19, v43, vcc
	global_load_dwordx4 v[41:44], v[17:18], off
	v_add_co_u32_e32 v8, vcc, s14, v8
	s_waitcnt vmcnt(4)
	v_fmac_f32_e32 v47, v25, v33
	v_fmac_f32_e32 v15, v26, v33
	;; [unrolled: 1-line block ×4, first 2 shown]
	v_addc_co_u32_e32 v9, vcc, v20, v9, vcc
	v_fma_f32 v17, -v26, v34, v47
	v_fmac_f32_e32 v15, v25, v34
	v_fma_f32 v12, -v28, v34, v12
	v_fmac_f32_e32 v14, v27, v34
	global_load_dwordx4 v[25:28], v[45:46], off
	s_waitcnt vmcnt(4)
	v_fmac_f32_e32 v17, v29, v35
	global_load_dwordx4 v[45:48], v[8:9], off
	v_fmac_f32_e32 v15, v30, v35
	v_fmac_f32_e32 v12, v31, v35
	;; [unrolled: 1-line block ×3, first 2 shown]
	v_fma_f32 v8, -v30, v36, v17
	v_fmac_f32_e32 v15, v29, v36
	v_fma_f32 v9, -v32, v36, v12
	v_fmac_f32_e32 v14, v31, v36
	global_load_dwordx4 v[29:32], v[49:50], off
	v_cmp_ge_i32_e32 vcc, v11, v16
	s_or_b64 s[8:9], vcc, s[8:9]
	s_waitcnt vmcnt(4)
	v_fmac_f32_e32 v8, v21, v37
	v_fmac_f32_e32 v15, v22, v37
	v_fmac_f32_e32 v9, v23, v37
	v_fmac_f32_e32 v14, v24, v37
	v_fma_f32 v8, -v22, v38, v8
	v_fmac_f32_e32 v15, v21, v38
	v_fma_f32 v9, -v24, v38, v9
	v_fmac_f32_e32 v14, v23, v38
	s_waitcnt vmcnt(3)
	v_fmac_f32_e32 v8, v41, v39
	v_fmac_f32_e32 v15, v42, v39
	v_fmac_f32_e32 v9, v43, v39
	v_fmac_f32_e32 v14, v44, v39
	v_fma_f32 v8, -v42, v40, v8
	v_fmac_f32_e32 v15, v41, v40
	v_fma_f32 v9, -v44, v40, v9
	v_fmac_f32_e32 v14, v43, v40
	;; [unrolled: 9-line block ×4, first 2 shown]
	s_andn2_b64 exec, exec, s[8:9]
	s_cbranch_execnz .LBB196_7
; %bb.8:
	s_or_b64 exec, exec, s[8:9]
.LBB196_9:
	s_or_b64 exec, exec, s[6:7]
	s_cbranch_execz .LBB196_11
	s_branch .LBB196_16
.LBB196_10:
                                        ; implicit-def: $vgpr15
                                        ; implicit-def: $vgpr18
                                        ; implicit-def: $vgpr17
                                        ; implicit-def: $vgpr14
.LBB196_11:
	v_mov_b32_e32 v15, 0
	v_mov_b32_e32 v18, 0
	;; [unrolled: 1-line block ×4, first 2 shown]
	s_and_saveexec_b64 s[6:7], s[0:1]
	s_cbranch_execz .LBB196_15
; %bb.12:
	v_mad_u64_u32 v[8:9], s[0:1], v6, 20, 19
	v_mov_b32_e32 v11, 0
	s_mov_b64 s[0:1], 0
	v_mov_b32_e32 v19, s11
	v_mov_b32_e32 v20, s13
	;; [unrolled: 1-line block ×7, first 2 shown]
.LBB196_13:                             ; =>This Inner Loop Header: Depth=1
	v_ashrrev_i32_e32 v7, 31, v6
	v_lshlrev_b64 v[24:25], 2, v[6:7]
	v_subrev_u32_e32 v10, 19, v8
	v_lshlrev_b64 v[26:27], 3, v[10:11]
	v_add_co_u32_e32 v30, vcc, s10, v24
	v_addc_co_u32_e32 v31, vcc, v19, v25, vcc
	v_add_u32_e32 v22, -9, v8
	v_mov_b32_e32 v23, v11
	v_add_co_u32_e32 v32, vcc, s12, v26
	v_lshlrev_b64 v[34:35], 3, v[22:23]
	v_addc_co_u32_e32 v33, vcc, v20, v27, vcc
	global_load_dword v7, v[30:31], off
	global_load_dwordx4 v[22:25], v[32:33], off
	global_load_dwordx4 v[26:29], v[32:33], off offset:16
	v_mov_b32_e32 v13, v11
	v_mov_b32_e32 v9, v11
	v_lshlrev_b64 v[36:37], 3, v[8:9]
	v_add_u32_e32 v10, -8, v8
	v_lshlrev_b64 v[9:10], 3, v[10:11]
	v_add_u32_e32 v6, 64, v6
	s_waitcnt vmcnt(2)
	v_subrev_u32_e32 v7, s2, v7
	v_mul_lo_u32 v12, v7, 10
	v_lshlrev_b64 v[30:31], 3, v[12:13]
	v_add_co_u32_e32 v30, vcc, s14, v30
	v_addc_co_u32_e32 v31, vcc, v21, v31, vcc
	global_load_dwordx4 v[30:33], v[30:31], off
	s_waitcnt vmcnt(0)
	v_fmac_f32_e32 v15, v23, v30
	v_fmac_f32_e32 v18, v22, v30
	;; [unrolled: 1-line block ×3, first 2 shown]
	v_add_co_u32_e32 v22, vcc, s12, v34
	v_fma_f32 v7, -v23, v31, v18
	v_addc_co_u32_e32 v23, vcc, v20, v35, vcc
	v_add_co_u32_e32 v34, vcc, s12, v36
	v_fmac_f32_e32 v15, v25, v32
	v_addc_co_u32_e32 v35, vcc, v20, v37, vcc
	v_fmac_f32_e32 v7, v24, v32
	v_fmac_f32_e32 v15, v24, v33
	v_add_co_u32_e32 v24, vcc, s12, v9
	v_fma_f32 v7, -v25, v33, v7
	v_addc_co_u32_e32 v25, vcc, v20, v10, vcc
	global_load_dwordx2 v[38:39], v[22:23], off
	global_load_dwordx2 v[40:41], v[24:25], off
	v_add_u32_e32 v10, 2, v12
	v_lshlrev_b64 v[9:10], 3, v[10:11]
	v_add_co_u32_e32 v36, vcc, s14, v9
	v_addc_co_u32_e32 v37, vcc, v21, v10, vcc
	global_load_dwordx4 v[22:25], v[36:37], off
	v_add_u32_e32 v10, -7, v8
	s_waitcnt vmcnt(2)
	v_fmac_f32_e32 v17, v38, v30
	v_fma_f32 v9, -v39, v31, v17
	v_lshlrev_b64 v[17:18], 3, v[10:11]
	v_fmac_f32_e32 v14, v39, v30
	v_add_u32_e32 v10, -6, v8
	v_fmac_f32_e32 v14, v38, v31
	v_lshlrev_b64 v[30:31], 3, v[10:11]
	v_add_co_u32_e32 v17, vcc, s12, v17
	v_addc_co_u32_e32 v18, vcc, v20, v18, vcc
	v_add_co_u32_e32 v30, vcc, s12, v30
	v_addc_co_u32_e32 v31, vcc, v20, v31, vcc
	global_load_dwordx2 v[36:37], v[17:18], off
	global_load_dwordx2 v[38:39], v[30:31], off
	s_waitcnt vmcnt(3)
	v_fmac_f32_e32 v9, v40, v32
	v_fmac_f32_e32 v14, v41, v32
	v_add_u32_e32 v10, -15, v8
	s_waitcnt vmcnt(2)
	v_fmac_f32_e32 v15, v27, v22
	v_fma_f32 v13, -v41, v33, v9
	v_fmac_f32_e32 v14, v40, v33
	v_lshlrev_b64 v[32:33], 3, v[10:11]
	v_fmac_f32_e32 v7, v26, v22
	v_fmac_f32_e32 v15, v26, v23
	v_add_u32_e32 v10, 4, v12
	v_fma_f32 v7, -v27, v23, v7
	v_fmac_f32_e32 v15, v29, v24
	v_fmac_f32_e32 v7, v28, v24
	;; [unrolled: 1-line block ×3, first 2 shown]
	v_lshlrev_b64 v[26:27], 3, v[10:11]
	v_add_co_u32_e32 v28, vcc, s12, v32
	v_fma_f32 v7, -v29, v25, v7
	v_add_u32_e32 v10, -5, v8
	v_addc_co_u32_e32 v29, vcc, v20, v33, vcc
	v_add_co_u32_e32 v26, vcc, s14, v26
	v_lshlrev_b64 v[9:10], 3, v[10:11]
	v_addc_co_u32_e32 v27, vcc, v21, v27, vcc
	v_add_co_u32_e32 v32, vcc, s12, v9
	v_addc_co_u32_e32 v33, vcc, v20, v10, vcc
	v_add_u32_e32 v10, -14, v8
	global_load_dwordx2 v[17:18], v[28:29], off
	s_waitcnt vmcnt(2)
	v_fmac_f32_e32 v13, v36, v22
	v_fmac_f32_e32 v14, v37, v22
	v_fma_f32 v9, -v37, v23, v13
	v_fmac_f32_e32 v14, v36, v23
	v_lshlrev_b64 v[22:23], 3, v[10:11]
	v_add_u32_e32 v10, -4, v8
	s_waitcnt vmcnt(1)
	v_fmac_f32_e32 v9, v38, v24
	v_fmac_f32_e32 v14, v39, v24
	v_fma_f32 v13, -v39, v25, v9
	v_fmac_f32_e32 v14, v38, v25
	v_lshlrev_b64 v[24:25], 3, v[10:11]
	v_add_co_u32_e32 v28, vcc, s12, v22
	v_add_u32_e32 v10, -13, v8
	v_addc_co_u32_e32 v29, vcc, v20, v23, vcc
	v_lshlrev_b64 v[22:23], 3, v[10:11]
	v_add_co_u32_e32 v30, vcc, s12, v24
	v_addc_co_u32_e32 v31, vcc, v20, v25, vcc
	v_add_co_u32_e32 v36, vcc, s12, v22
	v_addc_co_u32_e32 v37, vcc, v20, v23, vcc
	global_load_dwordx4 v[22:25], v[26:27], off
	v_add_u32_e32 v10, 6, v12
	v_lshlrev_b64 v[9:10], 3, v[10:11]
	v_add_co_u32_e32 v38, vcc, s14, v9
	v_addc_co_u32_e32 v39, vcc, v21, v10, vcc
	v_add_u32_e32 v10, -3, v8
	v_lshlrev_b64 v[9:10], 3, v[10:11]
	v_add_co_u32_e32 v40, vcc, s12, v9
	v_addc_co_u32_e32 v41, vcc, v20, v10, vcc
	s_waitcnt vmcnt(0)
	v_fmac_f32_e32 v7, v17, v22
	v_fmac_f32_e32 v15, v18, v22
	v_fma_f32 v7, -v18, v23, v7
	v_fmac_f32_e32 v15, v17, v23
	global_load_dwordx2 v[9:10], v[32:33], off
	global_load_dwordx2 v[17:18], v[28:29], off
	global_load_dwordx2 v[26:27], v[30:31], off
	global_load_dwordx2 v[42:43], v[36:37], off
	s_waitcnt vmcnt(3)
	v_fmac_f32_e32 v13, v9, v22
	v_fmac_f32_e32 v14, v10, v22
	v_fma_f32 v13, -v10, v23, v13
	v_add_u32_e32 v10, -12, v8
	s_waitcnt vmcnt(2)
	v_fmac_f32_e32 v7, v17, v24
	v_fmac_f32_e32 v15, v18, v24
	v_fma_f32 v7, -v18, v25, v7
	v_fmac_f32_e32 v15, v17, v25
	v_lshlrev_b64 v[17:18], 3, v[10:11]
	v_add_u32_e32 v10, -2, v8
	v_fmac_f32_e32 v14, v9, v23
	v_lshlrev_b64 v[22:23], 3, v[10:11]
	v_add_co_u32_e32 v17, vcc, s12, v17
	s_waitcnt vmcnt(1)
	v_fmac_f32_e32 v13, v26, v24
	v_fmac_f32_e32 v14, v27, v24
	v_add_u32_e32 v10, -11, v8
	v_addc_co_u32_e32 v18, vcc, v20, v18, vcc
	v_fma_f32 v44, -v27, v25, v13
	v_fmac_f32_e32 v14, v26, v25
	v_lshlrev_b64 v[24:25], 3, v[10:11]
	v_add_u32_e32 v10, 8, v12
	v_add_co_u32_e32 v12, vcc, s12, v22
	v_addc_co_u32_e32 v13, vcc, v20, v23, vcc
	v_lshlrev_b64 v[22:23], 3, v[10:11]
	v_add_co_u32_e32 v26, vcc, s12, v24
	v_addc_co_u32_e32 v27, vcc, v20, v25, vcc
	v_add_co_u32_e32 v30, vcc, s14, v22
	v_addc_co_u32_e32 v31, vcc, v21, v23, vcc
	global_load_dwordx4 v[22:25], v[38:39], off
	v_add_u32_e32 v10, -1, v8
	v_lshlrev_b64 v[9:10], 3, v[10:11]
	v_add_co_u32_e32 v32, vcc, s12, v9
	v_addc_co_u32_e32 v33, vcc, v20, v10, vcc
	v_add_u32_e32 v10, -10, v8
	v_lshlrev_b64 v[9:10], 3, v[10:11]
	v_add_u32_e32 v8, 0x500, v8
	v_add_co_u32_e32 v9, vcc, s12, v9
	v_addc_co_u32_e32 v10, vcc, v20, v10, vcc
	v_cmp_ge_i32_e32 vcc, v6, v16
	s_or_b64 s[0:1], vcc, s[0:1]
	s_waitcnt vmcnt(0)
	v_fmac_f32_e32 v7, v42, v22
	v_fmac_f32_e32 v15, v43, v22
	v_fma_f32 v7, -v43, v23, v7
	v_fmac_f32_e32 v15, v42, v23
	global_load_dwordx2 v[28:29], v[40:41], off
	global_load_dwordx2 v[36:37], v[17:18], off
	;; [unrolled: 1-line block ×4, first 2 shown]
	s_waitcnt vmcnt(3)
	v_fmac_f32_e32 v44, v28, v22
	v_fmac_f32_e32 v14, v29, v22
	v_fma_f32 v40, -v29, v23, v44
	v_fmac_f32_e32 v14, v28, v23
	global_load_dwordx4 v[26:29], v[30:31], off
	global_load_dwordx2 v[12:13], v[32:33], off
	global_load_dwordx2 v[17:18], v[9:10], off
	;; [unrolled: 1-line block ×3, first 2 shown]
	s_waitcnt vmcnt(6)
	v_fmac_f32_e32 v7, v36, v24
	v_fmac_f32_e32 v15, v37, v24
	s_waitcnt vmcnt(5)
	v_fmac_f32_e32 v40, v38, v24
	v_fmac_f32_e32 v14, v39, v24
	v_fma_f32 v7, -v37, v25, v7
	v_fmac_f32_e32 v15, v36, v25
	v_fma_f32 v9, -v39, v25, v40
	v_fmac_f32_e32 v14, v38, v25
	s_waitcnt vmcnt(3)
	v_fmac_f32_e32 v7, v42, v26
	v_fmac_f32_e32 v15, v43, v26
	s_waitcnt vmcnt(2)
	v_fmac_f32_e32 v9, v12, v26
	v_fmac_f32_e32 v14, v13, v26
	v_fma_f32 v7, -v43, v27, v7
	v_fmac_f32_e32 v15, v42, v27
	v_fma_f32 v9, -v13, v27, v9
	v_fmac_f32_e32 v14, v12, v27
	;; [unrolled: 10-line block ×3, first 2 shown]
	s_andn2_b64 exec, exec, s[0:1]
	s_cbranch_execnz .LBB196_13
; %bb.14:
	s_or_b64 exec, exec, s[0:1]
.LBB196_15:
	s_or_b64 exec, exec, s[6:7]
.LBB196_16:
	v_mov_b32_dpp v6, v18 row_shr:1 row_mask:0xf bank_mask:0xf
	v_mov_b32_dpp v8, v15 row_shr:1 row_mask:0xf bank_mask:0xf
	v_mov_b32_dpp v10, v17 row_shr:1 row_mask:0xf bank_mask:0xf
	v_mov_b32_dpp v12, v14 row_shr:1 row_mask:0xf bank_mask:0xf
	v_add_f32_e32 v6, v18, v6
	v_add_f32_e32 v8, v15, v8
	v_add_f32_e32 v10, v17, v10
	v_add_f32_e32 v12, v14, v12
	v_mov_b32_dpp v7, v6 row_shr:2 row_mask:0xf bank_mask:0xf
	v_mov_b32_dpp v9, v8 row_shr:2 row_mask:0xf bank_mask:0xf
	v_mov_b32_dpp v11, v10 row_shr:2 row_mask:0xf bank_mask:0xf
	v_mov_b32_dpp v13, v12 row_shr:2 row_mask:0xf bank_mask:0xf
	v_add_f32_e32 v6, v6, v7
	v_add_f32_e32 v8, v8, v9
	v_add_f32_e32 v10, v10, v11
	v_add_f32_e32 v12, v12, v13
	v_mov_b32_dpp v7, v6 row_shr:4 row_mask:0xf bank_mask:0xe
	v_mov_b32_dpp v9, v8 row_shr:4 row_mask:0xf bank_mask:0xe
	v_mov_b32_dpp v11, v10 row_shr:4 row_mask:0xf bank_mask:0xe
	v_mov_b32_dpp v13, v12 row_shr:4 row_mask:0xf bank_mask:0xe
	v_add_f32_e32 v6, v6, v7
	v_add_f32_e32 v8, v8, v9
	v_add_f32_e32 v10, v10, v11
	v_add_f32_e32 v12, v12, v13
	v_mov_b32_dpp v7, v6 row_shr:8 row_mask:0xf bank_mask:0xc
	v_mov_b32_dpp v9, v8 row_shr:8 row_mask:0xf bank_mask:0xc
	v_mov_b32_dpp v11, v10 row_shr:8 row_mask:0xf bank_mask:0xc
	v_mov_b32_dpp v13, v12 row_shr:8 row_mask:0xf bank_mask:0xc
	v_add_f32_e32 v6, v6, v7
	v_add_f32_e32 v8, v8, v9
	v_add_f32_e32 v10, v10, v11
	v_add_f32_e32 v12, v12, v13
	v_mov_b32_dpp v7, v6 row_bcast:15 row_mask:0xa bank_mask:0xf
	v_mov_b32_dpp v9, v8 row_bcast:15 row_mask:0xa bank_mask:0xf
	v_mov_b32_dpp v11, v10 row_bcast:15 row_mask:0xa bank_mask:0xf
	v_mov_b32_dpp v13, v12 row_bcast:15 row_mask:0xa bank_mask:0xf
	v_add_f32_e32 v6, v6, v7
	v_add_f32_e32 v8, v8, v9
	;; [unrolled: 1-line block ×4, first 2 shown]
	v_mov_b32_dpp v7, v6 row_bcast:31 row_mask:0xc bank_mask:0xf
	v_mov_b32_dpp v9, v8 row_bcast:31 row_mask:0xc bank_mask:0xf
	;; [unrolled: 1-line block ×4, first 2 shown]
	v_cmp_eq_u32_e32 vcc, 63, v0
	s_and_b64 exec, exec, vcc
	s_cbranch_execz .LBB196_21
; %bb.17:
	s_load_dwordx2 s[2:3], s[4:5], 0x38
	v_cmp_eq_f32_e32 vcc, 0, v3
	v_cmp_eq_f32_e64 s[0:1], 0, v4
	v_add_f32_e32 v7, v6, v7
	v_add_f32_e32 v8, v8, v9
	;; [unrolled: 1-line block ×4, first 2 shown]
	s_and_b64 s[0:1], vcc, s[0:1]
	s_and_saveexec_b64 s[4:5], s[0:1]
	s_xor_b64 s[0:1], exec, s[4:5]
	s_cbranch_execz .LBB196_19
; %bb.18:
	v_mul_f32_e64 v3, v8, -v2
	v_mul_f32_e32 v4, v1, v8
	v_fmac_f32_e32 v3, v1, v7
	v_fmac_f32_e32 v4, v2, v7
	v_lshlrev_b32_e32 v7, 1, v5
	v_ashrrev_i32_e32 v8, 31, v7
	v_lshlrev_b64 v[7:8], 3, v[7:8]
	s_waitcnt lgkmcnt(0)
	v_mov_b32_e32 v5, s3
	v_add_co_u32_e32 v7, vcc, s2, v7
	v_addc_co_u32_e32 v8, vcc, v5, v8, vcc
	v_mul_f32_e64 v5, v6, -v2
	v_mul_f32_e32 v6, v1, v6
	v_fmac_f32_e32 v5, v1, v0
	v_fmac_f32_e32 v6, v2, v0
	global_store_dwordx4 v[7:8], v[3:6], off
                                        ; implicit-def: $vgpr5
                                        ; implicit-def: $vgpr1_vgpr2
                                        ; implicit-def: $vgpr8
                                        ; implicit-def: $vgpr7
                                        ; implicit-def: $vgpr3_vgpr4
                                        ; implicit-def: $vgpr6
                                        ; implicit-def: $vgpr0
.LBB196_19:
	s_andn2_saveexec_b64 s[0:1], s[0:1]
	s_cbranch_execz .LBB196_21
; %bb.20:
	v_lshlrev_b32_e32 v9, 1, v5
	v_ashrrev_i32_e32 v10, 31, v9
	v_lshlrev_b64 v[9:10], 3, v[9:10]
	s_waitcnt lgkmcnt(0)
	v_mov_b32_e32 v5, s3
	v_add_co_u32_e32 v17, vcc, s2, v9
	v_addc_co_u32_e32 v18, vcc, v5, v10, vcc
	global_load_dwordx4 v[9:12], v[17:18], off
	v_mul_f32_e64 v5, v8, -v2
	v_mul_f32_e32 v14, v1, v8
	v_mul_f32_e64 v8, v6, -v2
	v_mul_f32_e32 v16, v1, v6
	v_fmac_f32_e32 v5, v1, v7
	v_fmac_f32_e32 v14, v2, v7
	;; [unrolled: 1-line block ×4, first 2 shown]
	s_waitcnt vmcnt(0)
	v_fmac_f32_e32 v5, v3, v9
	v_fmac_f32_e32 v14, v4, v9
	;; [unrolled: 1-line block ×4, first 2 shown]
	v_fma_f32 v13, -v4, v10, v5
	v_fmac_f32_e32 v14, v3, v10
	v_fma_f32 v15, -v4, v12, v8
	v_fmac_f32_e32 v16, v3, v12
	global_store_dwordx4 v[17:18], v[13:16], off
.LBB196_21:
	s_endpgm
	.section	.rodata,"a",@progbits
	.p2align	6, 0x0
	.amdhsa_kernel _ZN9rocsparseL19gebsrmvn_2xn_kernelILj128ELj10ELj64E21rocsparse_complex_numIfEEEvi20rocsparse_direction_NS_24const_host_device_scalarIT2_EEPKiS8_PKS5_SA_S6_PS5_21rocsparse_index_base_b
		.amdhsa_group_segment_fixed_size 0
		.amdhsa_private_segment_fixed_size 0
		.amdhsa_kernarg_size 72
		.amdhsa_user_sgpr_count 6
		.amdhsa_user_sgpr_private_segment_buffer 1
		.amdhsa_user_sgpr_dispatch_ptr 0
		.amdhsa_user_sgpr_queue_ptr 0
		.amdhsa_user_sgpr_kernarg_segment_ptr 1
		.amdhsa_user_sgpr_dispatch_id 0
		.amdhsa_user_sgpr_flat_scratch_init 0
		.amdhsa_user_sgpr_private_segment_size 0
		.amdhsa_uses_dynamic_stack 0
		.amdhsa_system_sgpr_private_segment_wavefront_offset 0
		.amdhsa_system_sgpr_workgroup_id_x 1
		.amdhsa_system_sgpr_workgroup_id_y 0
		.amdhsa_system_sgpr_workgroup_id_z 0
		.amdhsa_system_sgpr_workgroup_info 0
		.amdhsa_system_vgpr_workitem_id 0
		.amdhsa_next_free_vgpr 51
		.amdhsa_next_free_sgpr 16
		.amdhsa_reserve_vcc 1
		.amdhsa_reserve_flat_scratch 0
		.amdhsa_float_round_mode_32 0
		.amdhsa_float_round_mode_16_64 0
		.amdhsa_float_denorm_mode_32 3
		.amdhsa_float_denorm_mode_16_64 3
		.amdhsa_dx10_clamp 1
		.amdhsa_ieee_mode 1
		.amdhsa_fp16_overflow 0
		.amdhsa_exception_fp_ieee_invalid_op 0
		.amdhsa_exception_fp_denorm_src 0
		.amdhsa_exception_fp_ieee_div_zero 0
		.amdhsa_exception_fp_ieee_overflow 0
		.amdhsa_exception_fp_ieee_underflow 0
		.amdhsa_exception_fp_ieee_inexact 0
		.amdhsa_exception_int_div_zero 0
	.end_amdhsa_kernel
	.section	.text._ZN9rocsparseL19gebsrmvn_2xn_kernelILj128ELj10ELj64E21rocsparse_complex_numIfEEEvi20rocsparse_direction_NS_24const_host_device_scalarIT2_EEPKiS8_PKS5_SA_S6_PS5_21rocsparse_index_base_b,"axG",@progbits,_ZN9rocsparseL19gebsrmvn_2xn_kernelILj128ELj10ELj64E21rocsparse_complex_numIfEEEvi20rocsparse_direction_NS_24const_host_device_scalarIT2_EEPKiS8_PKS5_SA_S6_PS5_21rocsparse_index_base_b,comdat
.Lfunc_end196:
	.size	_ZN9rocsparseL19gebsrmvn_2xn_kernelILj128ELj10ELj64E21rocsparse_complex_numIfEEEvi20rocsparse_direction_NS_24const_host_device_scalarIT2_EEPKiS8_PKS5_SA_S6_PS5_21rocsparse_index_base_b, .Lfunc_end196-_ZN9rocsparseL19gebsrmvn_2xn_kernelILj128ELj10ELj64E21rocsparse_complex_numIfEEEvi20rocsparse_direction_NS_24const_host_device_scalarIT2_EEPKiS8_PKS5_SA_S6_PS5_21rocsparse_index_base_b
                                        ; -- End function
	.set _ZN9rocsparseL19gebsrmvn_2xn_kernelILj128ELj10ELj64E21rocsparse_complex_numIfEEEvi20rocsparse_direction_NS_24const_host_device_scalarIT2_EEPKiS8_PKS5_SA_S6_PS5_21rocsparse_index_base_b.num_vgpr, 51
	.set _ZN9rocsparseL19gebsrmvn_2xn_kernelILj128ELj10ELj64E21rocsparse_complex_numIfEEEvi20rocsparse_direction_NS_24const_host_device_scalarIT2_EEPKiS8_PKS5_SA_S6_PS5_21rocsparse_index_base_b.num_agpr, 0
	.set _ZN9rocsparseL19gebsrmvn_2xn_kernelILj128ELj10ELj64E21rocsparse_complex_numIfEEEvi20rocsparse_direction_NS_24const_host_device_scalarIT2_EEPKiS8_PKS5_SA_S6_PS5_21rocsparse_index_base_b.numbered_sgpr, 16
	.set _ZN9rocsparseL19gebsrmvn_2xn_kernelILj128ELj10ELj64E21rocsparse_complex_numIfEEEvi20rocsparse_direction_NS_24const_host_device_scalarIT2_EEPKiS8_PKS5_SA_S6_PS5_21rocsparse_index_base_b.num_named_barrier, 0
	.set _ZN9rocsparseL19gebsrmvn_2xn_kernelILj128ELj10ELj64E21rocsparse_complex_numIfEEEvi20rocsparse_direction_NS_24const_host_device_scalarIT2_EEPKiS8_PKS5_SA_S6_PS5_21rocsparse_index_base_b.private_seg_size, 0
	.set _ZN9rocsparseL19gebsrmvn_2xn_kernelILj128ELj10ELj64E21rocsparse_complex_numIfEEEvi20rocsparse_direction_NS_24const_host_device_scalarIT2_EEPKiS8_PKS5_SA_S6_PS5_21rocsparse_index_base_b.uses_vcc, 1
	.set _ZN9rocsparseL19gebsrmvn_2xn_kernelILj128ELj10ELj64E21rocsparse_complex_numIfEEEvi20rocsparse_direction_NS_24const_host_device_scalarIT2_EEPKiS8_PKS5_SA_S6_PS5_21rocsparse_index_base_b.uses_flat_scratch, 0
	.set _ZN9rocsparseL19gebsrmvn_2xn_kernelILj128ELj10ELj64E21rocsparse_complex_numIfEEEvi20rocsparse_direction_NS_24const_host_device_scalarIT2_EEPKiS8_PKS5_SA_S6_PS5_21rocsparse_index_base_b.has_dyn_sized_stack, 0
	.set _ZN9rocsparseL19gebsrmvn_2xn_kernelILj128ELj10ELj64E21rocsparse_complex_numIfEEEvi20rocsparse_direction_NS_24const_host_device_scalarIT2_EEPKiS8_PKS5_SA_S6_PS5_21rocsparse_index_base_b.has_recursion, 0
	.set _ZN9rocsparseL19gebsrmvn_2xn_kernelILj128ELj10ELj64E21rocsparse_complex_numIfEEEvi20rocsparse_direction_NS_24const_host_device_scalarIT2_EEPKiS8_PKS5_SA_S6_PS5_21rocsparse_index_base_b.has_indirect_call, 0
	.section	.AMDGPU.csdata,"",@progbits
; Kernel info:
; codeLenInByte = 3076
; TotalNumSgprs: 20
; NumVgprs: 51
; ScratchSize: 0
; MemoryBound: 0
; FloatMode: 240
; IeeeMode: 1
; LDSByteSize: 0 bytes/workgroup (compile time only)
; SGPRBlocks: 2
; VGPRBlocks: 12
; NumSGPRsForWavesPerEU: 20
; NumVGPRsForWavesPerEU: 51
; Occupancy: 4
; WaveLimiterHint : 1
; COMPUTE_PGM_RSRC2:SCRATCH_EN: 0
; COMPUTE_PGM_RSRC2:USER_SGPR: 6
; COMPUTE_PGM_RSRC2:TRAP_HANDLER: 0
; COMPUTE_PGM_RSRC2:TGID_X_EN: 1
; COMPUTE_PGM_RSRC2:TGID_Y_EN: 0
; COMPUTE_PGM_RSRC2:TGID_Z_EN: 0
; COMPUTE_PGM_RSRC2:TIDIG_COMP_CNT: 0
	.section	.text._ZN9rocsparseL19gebsrmvn_2xn_kernelILj128ELj11ELj4E21rocsparse_complex_numIfEEEvi20rocsparse_direction_NS_24const_host_device_scalarIT2_EEPKiS8_PKS5_SA_S6_PS5_21rocsparse_index_base_b,"axG",@progbits,_ZN9rocsparseL19gebsrmvn_2xn_kernelILj128ELj11ELj4E21rocsparse_complex_numIfEEEvi20rocsparse_direction_NS_24const_host_device_scalarIT2_EEPKiS8_PKS5_SA_S6_PS5_21rocsparse_index_base_b,comdat
	.globl	_ZN9rocsparseL19gebsrmvn_2xn_kernelILj128ELj11ELj4E21rocsparse_complex_numIfEEEvi20rocsparse_direction_NS_24const_host_device_scalarIT2_EEPKiS8_PKS5_SA_S6_PS5_21rocsparse_index_base_b ; -- Begin function _ZN9rocsparseL19gebsrmvn_2xn_kernelILj128ELj11ELj4E21rocsparse_complex_numIfEEEvi20rocsparse_direction_NS_24const_host_device_scalarIT2_EEPKiS8_PKS5_SA_S6_PS5_21rocsparse_index_base_b
	.p2align	8
	.type	_ZN9rocsparseL19gebsrmvn_2xn_kernelILj128ELj11ELj4E21rocsparse_complex_numIfEEEvi20rocsparse_direction_NS_24const_host_device_scalarIT2_EEPKiS8_PKS5_SA_S6_PS5_21rocsparse_index_base_b,@function
_ZN9rocsparseL19gebsrmvn_2xn_kernelILj128ELj11ELj4E21rocsparse_complex_numIfEEEvi20rocsparse_direction_NS_24const_host_device_scalarIT2_EEPKiS8_PKS5_SA_S6_PS5_21rocsparse_index_base_b: ; @_ZN9rocsparseL19gebsrmvn_2xn_kernelILj128ELj11ELj4E21rocsparse_complex_numIfEEEvi20rocsparse_direction_NS_24const_host_device_scalarIT2_EEPKiS8_PKS5_SA_S6_PS5_21rocsparse_index_base_b
; %bb.0:
	s_load_dwordx2 s[0:1], s[4:5], 0x8
	s_load_dwordx2 s[8:9], s[4:5], 0x30
	;; [unrolled: 1-line block ×3, first 2 shown]
	s_add_u32 s7, s4, 8
	s_addc_u32 s10, s5, 0
	s_add_u32 s11, s4, 48
	s_addc_u32 s12, s5, 0
	s_waitcnt lgkmcnt(0)
	s_bitcmp1_b32 s3, 0
	s_cselect_b32 s1, s10, s1
	s_cselect_b32 s0, s7, s0
	v_mov_b32_e32 v1, s0
	v_mov_b32_e32 v2, s1
	flat_load_dwordx2 v[1:2], v[1:2]
	s_cselect_b32 s0, s12, s9
	s_cselect_b32 s1, s11, s8
	v_mov_b32_e32 v3, s1
	v_mov_b32_e32 v4, s0
	flat_load_dwordx2 v[3:4], v[3:4]
	s_waitcnt vmcnt(0) lgkmcnt(0)
	v_cmp_eq_f32_e32 vcc, 0, v1
	v_cmp_eq_f32_e64 s[0:1], 0, v2
	s_and_b64 s[10:11], vcc, s[0:1]
	s_mov_b64 s[0:1], -1
	s_and_saveexec_b64 s[8:9], s[10:11]
; %bb.1:
	v_cmp_neq_f32_e32 vcc, 1.0, v3
	v_cmp_neq_f32_e64 s[0:1], 0, v4
	s_or_b64 s[0:1], vcc, s[0:1]
	s_orn2_b64 s[0:1], s[0:1], exec
; %bb.2:
	s_or_b64 exec, exec, s[8:9]
	s_and_saveexec_b64 s[8:9], s[0:1]
	s_cbranch_execz .LBB197_21
; %bb.3:
	s_load_dwordx2 s[0:1], s[4:5], 0x0
	v_lshrrev_b32_e32 v5, 2, v0
	v_lshl_or_b32 v5, s6, 5, v5
	s_waitcnt lgkmcnt(0)
	v_cmp_gt_i32_e32 vcc, s0, v5
	s_and_b64 exec, exec, vcc
	s_cbranch_execz .LBB197_21
; %bb.4:
	s_load_dwordx8 s[8:15], s[4:5], 0x10
	v_ashrrev_i32_e32 v6, 31, v5
	v_lshlrev_b64 v[6:7], 2, v[5:6]
	v_and_b32_e32 v0, 3, v0
	s_cmp_lg_u32 s1, 0
	s_waitcnt lgkmcnt(0)
	v_mov_b32_e32 v8, s9
	v_add_co_u32_e32 v6, vcc, s8, v6
	v_addc_co_u32_e32 v7, vcc, v8, v7, vcc
	global_load_dwordx2 v[6:7], v[6:7], off
	s_waitcnt vmcnt(0)
	v_subrev_u32_e32 v6, s2, v6
	v_subrev_u32_e32 v14, s2, v7
	v_add_u32_e32 v6, v6, v0
	v_cmp_lt_i32_e64 s[0:1], v6, v14
	s_cbranch_scc0 .LBB197_10
; %bb.5:
	v_mov_b32_e32 v15, 0
	v_mov_b32_e32 v17, 0
	;; [unrolled: 1-line block ×4, first 2 shown]
	s_and_saveexec_b64 s[6:7], s[0:1]
	s_cbranch_execz .LBB197_9
; %bb.6:
	v_mad_u64_u32 v[7:8], s[8:9], v6, 22, 20
	v_mov_b32_e32 v10, 0
	s_mov_b64 s[8:9], 0
	v_mov_b32_e32 v13, s11
	v_mov_b32_e32 v19, s13
	;; [unrolled: 1-line block ×8, first 2 shown]
.LBB197_7:                              ; =>This Inner Loop Header: Depth=1
	v_ashrrev_i32_e32 v12, 31, v11
	v_lshlrev_b64 v[21:22], 2, v[11:12]
	v_subrev_u32_e32 v9, 20, v7
	v_lshlrev_b64 v[23:24], 3, v[9:10]
	v_add_co_u32_e32 v27, vcc, s10, v21
	v_addc_co_u32_e32 v28, vcc, v13, v22, vcc
	v_add_co_u32_e32 v31, vcc, s12, v23
	v_addc_co_u32_e32 v32, vcc, v19, v24, vcc
	global_load_dword v12, v[27:28], off
	global_load_dwordx4 v[21:24], v[31:32], off
	v_mov_b32_e32 v8, v10
	v_lshlrev_b64 v[25:26], 3, v[7:8]
	v_subrev_u32_e32 v9, 18, v7
	v_lshlrev_b64 v[8:9], 3, v[9:10]
	v_add_co_u32_e32 v33, vcc, s12, v25
	v_mov_b32_e32 v30, v10
	v_addc_co_u32_e32 v34, vcc, v19, v26, vcc
	v_add_co_u32_e32 v8, vcc, s12, v8
	v_addc_co_u32_e32 v9, vcc, v19, v9, vcc
	v_add_u32_e32 v11, 4, v11
	s_waitcnt vmcnt(1)
	v_subrev_u32_e32 v12, s2, v12
	v_mul_lo_u32 v29, v12, 11
	v_lshlrev_b64 v[25:26], 3, v[29:30]
	v_add_co_u32_e32 v30, vcc, s14, v25
	v_addc_co_u32_e32 v31, vcc, v20, v26, vcc
	global_load_dwordx4 v[25:28], v[33:34], off
	global_load_dwordx2 v[35:36], v[30:31], off
	s_waitcnt vmcnt(0)
	v_fmac_f32_e32 v17, v21, v35
	v_fmac_f32_e32 v15, v22, v35
	;; [unrolled: 1-line block ×4, first 2 shown]
	v_fma_f32 v12, -v22, v36, v17
	v_fmac_f32_e32 v15, v21, v36
	v_fma_f32 v32, -v24, v36, v18
	v_fmac_f32_e32 v16, v23, v36
	global_load_dwordx4 v[21:24], v[8:9], off
	v_add_u32_e32 v9, 1, v29
	v_lshlrev_b64 v[17:18], 3, v[9:10]
	v_add_u32_e32 v9, -16, v7
	v_add_co_u32_e32 v17, vcc, s14, v17
	v_addc_co_u32_e32 v18, vcc, v20, v18, vcc
	global_load_dwordx2 v[17:18], v[17:18], off
	v_lshlrev_b64 v[30:31], 3, v[9:10]
	v_add_u32_e32 v9, 2, v29
	v_add_co_u32_e32 v30, vcc, s12, v30
	v_addc_co_u32_e32 v31, vcc, v19, v31, vcc
	s_waitcnt vmcnt(0)
	v_fmac_f32_e32 v12, v21, v17
	v_fmac_f32_e32 v15, v22, v17
	;; [unrolled: 1-line block ×4, first 2 shown]
	v_fma_f32 v8, -v22, v18, v12
	v_fmac_f32_e32 v15, v21, v18
	v_fma_f32 v12, -v24, v18, v32
	v_fmac_f32_e32 v16, v23, v18
	v_lshlrev_b64 v[17:18], 3, v[9:10]
	v_add_u32_e32 v9, -14, v7
	v_add_co_u32_e32 v17, vcc, s14, v17
	v_addc_co_u32_e32 v18, vcc, v20, v18, vcc
	global_load_dwordx4 v[21:24], v[30:31], off
	global_load_dwordx2 v[34:35], v[17:18], off
	v_lshlrev_b64 v[32:33], 3, v[9:10]
	v_add_u32_e32 v9, 3, v29
	v_lshlrev_b64 v[17:18], 3, v[9:10]
	v_add_co_u32_e32 v30, vcc, s12, v32
	v_addc_co_u32_e32 v31, vcc, v19, v33, vcc
	v_add_co_u32_e32 v17, vcc, s14, v17
	v_addc_co_u32_e32 v18, vcc, v20, v18, vcc
	v_add_u32_e32 v9, -12, v7
	v_lshlrev_b64 v[32:33], 3, v[9:10]
	v_add_u32_e32 v9, 4, v29
	s_waitcnt vmcnt(0)
	v_fmac_f32_e32 v8, v21, v34
	v_fmac_f32_e32 v15, v22, v34
	v_fmac_f32_e32 v12, v23, v34
	v_fmac_f32_e32 v16, v24, v34
	v_fma_f32 v8, -v22, v35, v8
	v_fmac_f32_e32 v15, v21, v35
	v_fma_f32 v12, -v24, v35, v12
	v_fmac_f32_e32 v16, v23, v35
	global_load_dwordx4 v[21:24], v[30:31], off
	global_load_dwordx2 v[34:35], v[17:18], off
	v_lshlrev_b64 v[17:18], 3, v[9:10]
	v_add_co_u32_e32 v30, vcc, s12, v32
	v_addc_co_u32_e32 v31, vcc, v19, v33, vcc
	v_add_co_u32_e32 v17, vcc, s14, v17
	v_addc_co_u32_e32 v18, vcc, v20, v18, vcc
	v_add_u32_e32 v9, -10, v7
	v_lshlrev_b64 v[32:33], 3, v[9:10]
	v_add_u32_e32 v9, 5, v29
	s_waitcnt vmcnt(0)
	v_fmac_f32_e32 v8, v21, v34
	v_fmac_f32_e32 v15, v22, v34
	v_fmac_f32_e32 v12, v23, v34
	v_fmac_f32_e32 v16, v24, v34
	v_fma_f32 v8, -v22, v35, v8
	v_fmac_f32_e32 v15, v21, v35
	v_fma_f32 v12, -v24, v35, v12
	v_fmac_f32_e32 v16, v23, v35
	global_load_dwordx4 v[21:24], v[30:31], off
	global_load_dwordx2 v[34:35], v[17:18], off
	;; [unrolled: 19-line block ×5, first 2 shown]
	v_lshlrev_b64 v[17:18], 3, v[9:10]
	v_add_co_u32_e32 v30, vcc, s12, v32
	v_add_u32_e32 v9, -2, v7
	v_addc_co_u32_e32 v31, vcc, v19, v33, vcc
	v_add_co_u32_e32 v17, vcc, s14, v17
	v_addc_co_u32_e32 v18, vcc, v20, v18, vcc
	v_add_u32_e32 v7, 0x58, v7
	s_waitcnt vmcnt(0)
	v_fmac_f32_e32 v8, v21, v34
	v_fmac_f32_e32 v15, v22, v34
	v_fma_f32 v8, -v22, v35, v8
	v_fmac_f32_e32 v15, v21, v35
	v_lshlrev_b64 v[21:22], 3, v[9:10]
	v_fmac_f32_e32 v12, v23, v34
	v_fmac_f32_e32 v16, v24, v34
	v_add_co_u32_e32 v34, vcc, s12, v21
	v_fma_f32 v12, -v24, v35, v12
	v_fmac_f32_e32 v16, v23, v35
	v_addc_co_u32_e32 v35, vcc, v19, v22, vcc
	global_load_dwordx4 v[21:24], v[30:31], off
	global_load_dwordx2 v[36:37], v[17:18], off
	v_add_u32_e32 v9, 9, v29
	v_lshlrev_b64 v[32:33], 3, v[9:10]
	v_add_u32_e32 v9, 10, v29
	v_add_co_u32_e32 v17, vcc, s14, v32
	v_addc_co_u32_e32 v18, vcc, v20, v33, vcc
	s_waitcnt vmcnt(0)
	v_fmac_f32_e32 v8, v21, v36
	v_fma_f32 v31, -v22, v37, v8
	v_lshlrev_b64 v[8:9], 3, v[9:10]
	v_fmac_f32_e32 v15, v22, v36
	v_fmac_f32_e32 v12, v23, v36
	;; [unrolled: 1-line block ×4, first 2 shown]
	v_fma_f32 v12, -v24, v37, v12
	v_fmac_f32_e32 v16, v23, v37
	global_load_dwordx4 v[21:24], v[34:35], off
	global_load_dwordx2 v[29:30], v[17:18], off
	v_add_co_u32_e32 v8, vcc, s14, v8
	v_addc_co_u32_e32 v9, vcc, v20, v9, vcc
	global_load_dwordx2 v[8:9], v[8:9], off
	v_cmp_ge_i32_e32 vcc, v11, v14
	s_or_b64 s[8:9], vcc, s[8:9]
	s_waitcnt vmcnt(1)
	v_fmac_f32_e32 v31, v21, v29
	v_fmac_f32_e32 v15, v22, v29
	;; [unrolled: 1-line block ×4, first 2 shown]
	v_fma_f32 v17, -v22, v30, v31
	v_fmac_f32_e32 v15, v21, v30
	v_fma_f32 v12, -v24, v30, v12
	v_fmac_f32_e32 v16, v23, v30
	s_waitcnt vmcnt(0)
	v_fmac_f32_e32 v17, v25, v8
	v_fmac_f32_e32 v15, v26, v8
	;; [unrolled: 1-line block ×4, first 2 shown]
	v_fma_f32 v17, -v26, v9, v17
	v_fmac_f32_e32 v15, v25, v9
	v_fma_f32 v18, -v28, v9, v12
	v_fmac_f32_e32 v16, v27, v9
	s_andn2_b64 exec, exec, s[8:9]
	s_cbranch_execnz .LBB197_7
; %bb.8:
	s_or_b64 exec, exec, s[8:9]
.LBB197_9:
	s_or_b64 exec, exec, s[6:7]
	s_cbranch_execz .LBB197_11
	s_branch .LBB197_16
.LBB197_10:
                                        ; implicit-def: $vgpr15
                                        ; implicit-def: $vgpr17
                                        ; implicit-def: $vgpr18
                                        ; implicit-def: $vgpr16
.LBB197_11:
	v_mov_b32_e32 v15, 0
	v_mov_b32_e32 v17, 0
	;; [unrolled: 1-line block ×4, first 2 shown]
	s_and_saveexec_b64 s[6:7], s[0:1]
	s_cbranch_execz .LBB197_15
; %bb.12:
	v_mad_u64_u32 v[8:9], s[0:1], v6, 22, 21
	v_mov_b32_e32 v11, 0
	s_mov_b64 s[0:1], 0
	v_mov_b32_e32 v19, s11
	v_mov_b32_e32 v20, s13
	;; [unrolled: 1-line block ×7, first 2 shown]
.LBB197_13:                             ; =>This Inner Loop Header: Depth=1
	v_ashrrev_i32_e32 v7, 31, v6
	v_lshlrev_b64 v[22:23], 2, v[6:7]
	v_subrev_u32_e32 v10, 21, v8
	v_add_co_u32_e32 v22, vcc, s10, v22
	v_addc_co_u32_e32 v23, vcc, v19, v23, vcc
	global_load_dword v7, v[22:23], off
	v_lshlrev_b64 v[24:25], 3, v[10:11]
	v_add_u32_e32 v12, -10, v8
	v_mov_b32_e32 v13, v11
	v_lshlrev_b64 v[12:13], 3, v[12:13]
	v_add_co_u32_e32 v24, vcc, s12, v24
	v_mov_b32_e32 v9, v11
	v_addc_co_u32_e32 v25, vcc, v20, v25, vcc
	v_lshlrev_b64 v[9:10], 3, v[8:9]
	v_add_co_u32_e32 v12, vcc, s12, v12
	v_addc_co_u32_e32 v13, vcc, v20, v13, vcc
	v_add_co_u32_e32 v26, vcc, s12, v9
	v_addc_co_u32_e32 v27, vcc, v20, v10, vcc
	v_mov_b32_e32 v10, v11
	v_add_u32_e32 v6, 4, v6
	s_waitcnt vmcnt(0)
	v_subrev_u32_e32 v7, s2, v7
	v_mul_lo_u32 v9, v7, 11
	v_lshlrev_b64 v[22:23], 3, v[9:10]
	v_add_u32_e32 v10, 1, v9
	v_add_co_u32_e32 v22, vcc, s14, v22
	v_lshlrev_b64 v[28:29], 3, v[10:11]
	v_addc_co_u32_e32 v23, vcc, v21, v23, vcc
	v_add_co_u32_e32 v28, vcc, s14, v28
	global_load_dwordx2 v[30:31], v[12:13], off
	global_load_dwordx2 v[32:33], v[22:23], off
	v_addc_co_u32_e32 v29, vcc, v21, v29, vcc
	global_load_dwordx4 v[22:25], v[24:25], off
	v_add_u32_e32 v10, -9, v8
	global_load_dwordx2 v[12:13], v[28:29], off
	s_waitcnt vmcnt(2)
	v_fmac_f32_e32 v18, v30, v32
	v_fmac_f32_e32 v16, v31, v32
	v_fma_f32 v7, -v31, v33, v18
	s_waitcnt vmcnt(1)
	v_fmac_f32_e32 v17, v22, v32
	v_fma_f32 v17, -v23, v33, v17
	s_waitcnt vmcnt(0)
	v_fmac_f32_e32 v17, v24, v12
	v_fmac_f32_e32 v16, v30, v33
	v_fma_f32 v30, -v25, v13, v17
	v_lshlrev_b64 v[17:18], 3, v[10:11]
	v_fmac_f32_e32 v15, v23, v32
	v_subrev_u32_e32 v10, 19, v8
	v_fmac_f32_e32 v15, v22, v33
	v_add_co_u32_e32 v17, vcc, s12, v17
	v_lshlrev_b64 v[22:23], 3, v[10:11]
	v_addc_co_u32_e32 v18, vcc, v20, v18, vcc
	v_fmac_f32_e32 v15, v25, v12
	v_add_co_u32_e32 v22, vcc, s12, v22
	v_fmac_f32_e32 v15, v24, v13
	v_addc_co_u32_e32 v23, vcc, v20, v23, vcc
	global_load_dwordx2 v[24:25], v[17:18], off
	global_load_dwordx2 v[28:29], v[22:23], off
	v_add_u32_e32 v10, 2, v9
	s_waitcnt vmcnt(1)
	v_fmac_f32_e32 v7, v24, v12
	v_fmac_f32_e32 v16, v25, v12
	v_fma_f32 v7, -v25, v13, v7
	v_fmac_f32_e32 v16, v24, v13
	v_lshlrev_b64 v[12:13], 3, v[10:11]
	v_add_u32_e32 v10, -8, v8
	v_add_co_u32_e32 v12, vcc, s14, v12
	v_addc_co_u32_e32 v13, vcc, v21, v13, vcc
	global_load_dwordx2 v[12:13], v[12:13], off
	v_lshlrev_b64 v[17:18], 3, v[10:11]
	v_subrev_u32_e32 v10, 18, v8
	v_add_co_u32_e32 v17, vcc, s12, v17
	v_lshlrev_b64 v[22:23], 3, v[10:11]
	v_addc_co_u32_e32 v18, vcc, v20, v18, vcc
	v_add_co_u32_e32 v22, vcc, s12, v22
	v_addc_co_u32_e32 v23, vcc, v20, v23, vcc
	v_add_u32_e32 v10, 3, v9
	s_waitcnt vmcnt(0)
	v_fmac_f32_e32 v30, v28, v12
	v_fmac_f32_e32 v15, v29, v12
	v_fma_f32 v30, -v29, v13, v30
	v_fmac_f32_e32 v15, v28, v13
	global_load_dwordx2 v[24:25], v[17:18], off
	global_load_dwordx2 v[28:29], v[22:23], off
	s_waitcnt vmcnt(1)
	v_fmac_f32_e32 v7, v24, v12
	v_fmac_f32_e32 v16, v25, v12
	v_fma_f32 v7, -v25, v13, v7
	v_fmac_f32_e32 v16, v24, v13
	v_lshlrev_b64 v[12:13], 3, v[10:11]
	v_add_u32_e32 v10, -7, v8
	v_add_co_u32_e32 v12, vcc, s14, v12
	v_addc_co_u32_e32 v13, vcc, v21, v13, vcc
	global_load_dwordx2 v[12:13], v[12:13], off
	v_lshlrev_b64 v[17:18], 3, v[10:11]
	v_subrev_u32_e32 v10, 17, v8
	v_add_co_u32_e32 v17, vcc, s12, v17
	v_lshlrev_b64 v[22:23], 3, v[10:11]
	v_addc_co_u32_e32 v18, vcc, v20, v18, vcc
	v_add_co_u32_e32 v22, vcc, s12, v22
	v_addc_co_u32_e32 v23, vcc, v20, v23, vcc
	v_add_u32_e32 v10, 4, v9
	s_waitcnt vmcnt(0)
	v_fmac_f32_e32 v30, v28, v12
	v_fmac_f32_e32 v15, v29, v12
	v_fma_f32 v30, -v29, v13, v30
	v_fmac_f32_e32 v15, v28, v13
	global_load_dwordx2 v[24:25], v[17:18], off
	global_load_dwordx2 v[28:29], v[22:23], off
	s_waitcnt vmcnt(1)
	v_fmac_f32_e32 v7, v24, v12
	v_fmac_f32_e32 v16, v25, v12
	v_fma_f32 v7, -v25, v13, v7
	v_fmac_f32_e32 v16, v24, v13
	v_lshlrev_b64 v[12:13], 3, v[10:11]
	v_add_u32_e32 v10, -6, v8
	v_add_co_u32_e32 v12, vcc, s14, v12
	v_addc_co_u32_e32 v13, vcc, v21, v13, vcc
	global_load_dwordx2 v[12:13], v[12:13], off
	v_lshlrev_b64 v[17:18], 3, v[10:11]
	v_add_u32_e32 v10, -16, v8
	v_add_co_u32_e32 v17, vcc, s12, v17
	v_lshlrev_b64 v[22:23], 3, v[10:11]
	v_addc_co_u32_e32 v18, vcc, v20, v18, vcc
	v_add_co_u32_e32 v22, vcc, s12, v22
	v_addc_co_u32_e32 v23, vcc, v20, v23, vcc
	v_add_u32_e32 v10, 5, v9
	s_waitcnt vmcnt(0)
	v_fmac_f32_e32 v30, v28, v12
	v_fmac_f32_e32 v15, v29, v12
	v_fma_f32 v30, -v29, v13, v30
	v_fmac_f32_e32 v15, v28, v13
	global_load_dwordx2 v[24:25], v[17:18], off
	global_load_dwordx2 v[28:29], v[22:23], off
	s_waitcnt vmcnt(1)
	v_fmac_f32_e32 v7, v24, v12
	v_fmac_f32_e32 v16, v25, v12
	v_fma_f32 v7, -v25, v13, v7
	v_fmac_f32_e32 v16, v24, v13
	v_lshlrev_b64 v[12:13], 3, v[10:11]
	v_add_u32_e32 v10, -5, v8
	v_add_co_u32_e32 v12, vcc, s14, v12
	v_addc_co_u32_e32 v13, vcc, v21, v13, vcc
	global_load_dwordx2 v[12:13], v[12:13], off
	v_lshlrev_b64 v[17:18], 3, v[10:11]
	v_add_u32_e32 v10, -15, v8
	;; [unrolled: 25-line block ×6, first 2 shown]
	v_lshlrev_b64 v[22:23], 3, v[10:11]
	v_add_co_u32_e32 v17, vcc, s12, v17
	v_add_u32_e32 v10, 10, v9
	v_addc_co_u32_e32 v18, vcc, v20, v18, vcc
	v_add_co_u32_e32 v22, vcc, s12, v22
	v_lshlrev_b64 v[9:10], 3, v[10:11]
	v_addc_co_u32_e32 v23, vcc, v20, v23, vcc
	v_add_co_u32_e32 v9, vcc, s14, v9
	v_addc_co_u32_e32 v10, vcc, v21, v10, vcc
	v_cmp_ge_i32_e32 vcc, v6, v14
	s_or_b64 s[0:1], vcc, s[0:1]
	v_add_u32_e32 v8, 0x58, v8
	s_waitcnt vmcnt(0)
	v_fmac_f32_e32 v30, v28, v12
	v_fmac_f32_e32 v15, v29, v12
	v_fma_f32 v34, -v29, v13, v30
	v_fmac_f32_e32 v15, v28, v13
	global_load_dwordx2 v[24:25], v[26:27], off
	global_load_dwordx2 v[28:29], v[17:18], off
	;; [unrolled: 1-line block ×4, first 2 shown]
	s_waitcnt vmcnt(2)
	v_fmac_f32_e32 v7, v28, v12
	v_fmac_f32_e32 v16, v29, v12
	v_fma_f32 v7, -v29, v13, v7
	v_fmac_f32_e32 v16, v28, v13
	s_waitcnt vmcnt(0)
	v_fmac_f32_e32 v34, v30, v32
	v_fmac_f32_e32 v15, v31, v32
	;; [unrolled: 1-line block ×4, first 2 shown]
	v_fma_f32 v17, -v31, v33, v34
	v_fmac_f32_e32 v15, v30, v33
	v_fma_f32 v18, -v25, v33, v7
	v_fmac_f32_e32 v16, v24, v33
	s_andn2_b64 exec, exec, s[0:1]
	s_cbranch_execnz .LBB197_13
; %bb.14:
	s_or_b64 exec, exec, s[0:1]
.LBB197_15:
	s_or_b64 exec, exec, s[6:7]
.LBB197_16:
	v_mov_b32_dpp v6, v17 row_shr:1 row_mask:0xf bank_mask:0xf
	v_mov_b32_dpp v8, v15 row_shr:1 row_mask:0xf bank_mask:0xf
	;; [unrolled: 1-line block ×4, first 2 shown]
	v_add_f32_e32 v6, v17, v6
	v_add_f32_e32 v8, v15, v8
	;; [unrolled: 1-line block ×4, first 2 shown]
	v_mov_b32_dpp v7, v6 row_shr:2 row_mask:0xf bank_mask:0xf
	v_mov_b32_dpp v9, v8 row_shr:2 row_mask:0xf bank_mask:0xf
	;; [unrolled: 1-line block ×4, first 2 shown]
	v_cmp_eq_u32_e32 vcc, 3, v0
	s_and_b64 exec, exec, vcc
	s_cbranch_execz .LBB197_21
; %bb.17:
	s_load_dwordx2 s[2:3], s[4:5], 0x38
	v_cmp_eq_f32_e32 vcc, 0, v3
	v_cmp_eq_f32_e64 s[0:1], 0, v4
	v_add_f32_e32 v7, v6, v7
	v_add_f32_e32 v8, v8, v9
	;; [unrolled: 1-line block ×4, first 2 shown]
	s_and_b64 s[0:1], vcc, s[0:1]
	s_and_saveexec_b64 s[4:5], s[0:1]
	s_xor_b64 s[0:1], exec, s[4:5]
	s_cbranch_execz .LBB197_19
; %bb.18:
	v_mul_f32_e64 v3, v8, -v2
	v_mul_f32_e32 v4, v1, v8
	v_fmac_f32_e32 v3, v1, v7
	v_fmac_f32_e32 v4, v2, v7
	v_lshlrev_b32_e32 v7, 1, v5
	v_ashrrev_i32_e32 v8, 31, v7
	v_lshlrev_b64 v[7:8], 3, v[7:8]
	s_waitcnt lgkmcnt(0)
	v_mov_b32_e32 v5, s3
	v_add_co_u32_e32 v7, vcc, s2, v7
	v_addc_co_u32_e32 v8, vcc, v5, v8, vcc
	v_mul_f32_e64 v5, v6, -v2
	v_mul_f32_e32 v6, v1, v6
	v_fmac_f32_e32 v5, v1, v0
	v_fmac_f32_e32 v6, v2, v0
	global_store_dwordx4 v[7:8], v[3:6], off
                                        ; implicit-def: $vgpr5
                                        ; implicit-def: $vgpr1_vgpr2
                                        ; implicit-def: $vgpr8
                                        ; implicit-def: $vgpr7
                                        ; implicit-def: $vgpr3_vgpr4
                                        ; implicit-def: $vgpr6
                                        ; implicit-def: $vgpr0
.LBB197_19:
	s_andn2_saveexec_b64 s[0:1], s[0:1]
	s_cbranch_execz .LBB197_21
; %bb.20:
	v_lshlrev_b32_e32 v9, 1, v5
	v_ashrrev_i32_e32 v10, 31, v9
	v_lshlrev_b64 v[9:10], 3, v[9:10]
	s_waitcnt lgkmcnt(0)
	v_mov_b32_e32 v5, s3
	v_add_co_u32_e32 v17, vcc, s2, v9
	v_addc_co_u32_e32 v18, vcc, v5, v10, vcc
	global_load_dwordx4 v[9:12], v[17:18], off
	v_mul_f32_e64 v5, v8, -v2
	v_mul_f32_e32 v14, v1, v8
	v_mul_f32_e64 v8, v6, -v2
	v_mul_f32_e32 v16, v1, v6
	v_fmac_f32_e32 v5, v1, v7
	v_fmac_f32_e32 v14, v2, v7
	;; [unrolled: 1-line block ×4, first 2 shown]
	s_waitcnt vmcnt(0)
	v_fmac_f32_e32 v5, v3, v9
	v_fmac_f32_e32 v14, v4, v9
	;; [unrolled: 1-line block ×4, first 2 shown]
	v_fma_f32 v13, -v4, v10, v5
	v_fmac_f32_e32 v14, v3, v10
	v_fma_f32 v15, -v4, v12, v8
	v_fmac_f32_e32 v16, v3, v12
	global_store_dwordx4 v[17:18], v[13:16], off
.LBB197_21:
	s_endpgm
	.section	.rodata,"a",@progbits
	.p2align	6, 0x0
	.amdhsa_kernel _ZN9rocsparseL19gebsrmvn_2xn_kernelILj128ELj11ELj4E21rocsparse_complex_numIfEEEvi20rocsparse_direction_NS_24const_host_device_scalarIT2_EEPKiS8_PKS5_SA_S6_PS5_21rocsparse_index_base_b
		.amdhsa_group_segment_fixed_size 0
		.amdhsa_private_segment_fixed_size 0
		.amdhsa_kernarg_size 72
		.amdhsa_user_sgpr_count 6
		.amdhsa_user_sgpr_private_segment_buffer 1
		.amdhsa_user_sgpr_dispatch_ptr 0
		.amdhsa_user_sgpr_queue_ptr 0
		.amdhsa_user_sgpr_kernarg_segment_ptr 1
		.amdhsa_user_sgpr_dispatch_id 0
		.amdhsa_user_sgpr_flat_scratch_init 0
		.amdhsa_user_sgpr_private_segment_size 0
		.amdhsa_uses_dynamic_stack 0
		.amdhsa_system_sgpr_private_segment_wavefront_offset 0
		.amdhsa_system_sgpr_workgroup_id_x 1
		.amdhsa_system_sgpr_workgroup_id_y 0
		.amdhsa_system_sgpr_workgroup_id_z 0
		.amdhsa_system_sgpr_workgroup_info 0
		.amdhsa_system_vgpr_workitem_id 0
		.amdhsa_next_free_vgpr 38
		.amdhsa_next_free_sgpr 16
		.amdhsa_reserve_vcc 1
		.amdhsa_reserve_flat_scratch 0
		.amdhsa_float_round_mode_32 0
		.amdhsa_float_round_mode_16_64 0
		.amdhsa_float_denorm_mode_32 3
		.amdhsa_float_denorm_mode_16_64 3
		.amdhsa_dx10_clamp 1
		.amdhsa_ieee_mode 1
		.amdhsa_fp16_overflow 0
		.amdhsa_exception_fp_ieee_invalid_op 0
		.amdhsa_exception_fp_denorm_src 0
		.amdhsa_exception_fp_ieee_div_zero 0
		.amdhsa_exception_fp_ieee_overflow 0
		.amdhsa_exception_fp_ieee_underflow 0
		.amdhsa_exception_fp_ieee_inexact 0
		.amdhsa_exception_int_div_zero 0
	.end_amdhsa_kernel
	.section	.text._ZN9rocsparseL19gebsrmvn_2xn_kernelILj128ELj11ELj4E21rocsparse_complex_numIfEEEvi20rocsparse_direction_NS_24const_host_device_scalarIT2_EEPKiS8_PKS5_SA_S6_PS5_21rocsparse_index_base_b,"axG",@progbits,_ZN9rocsparseL19gebsrmvn_2xn_kernelILj128ELj11ELj4E21rocsparse_complex_numIfEEEvi20rocsparse_direction_NS_24const_host_device_scalarIT2_EEPKiS8_PKS5_SA_S6_PS5_21rocsparse_index_base_b,comdat
.Lfunc_end197:
	.size	_ZN9rocsparseL19gebsrmvn_2xn_kernelILj128ELj11ELj4E21rocsparse_complex_numIfEEEvi20rocsparse_direction_NS_24const_host_device_scalarIT2_EEPKiS8_PKS5_SA_S6_PS5_21rocsparse_index_base_b, .Lfunc_end197-_ZN9rocsparseL19gebsrmvn_2xn_kernelILj128ELj11ELj4E21rocsparse_complex_numIfEEEvi20rocsparse_direction_NS_24const_host_device_scalarIT2_EEPKiS8_PKS5_SA_S6_PS5_21rocsparse_index_base_b
                                        ; -- End function
	.set _ZN9rocsparseL19gebsrmvn_2xn_kernelILj128ELj11ELj4E21rocsparse_complex_numIfEEEvi20rocsparse_direction_NS_24const_host_device_scalarIT2_EEPKiS8_PKS5_SA_S6_PS5_21rocsparse_index_base_b.num_vgpr, 38
	.set _ZN9rocsparseL19gebsrmvn_2xn_kernelILj128ELj11ELj4E21rocsparse_complex_numIfEEEvi20rocsparse_direction_NS_24const_host_device_scalarIT2_EEPKiS8_PKS5_SA_S6_PS5_21rocsparse_index_base_b.num_agpr, 0
	.set _ZN9rocsparseL19gebsrmvn_2xn_kernelILj128ELj11ELj4E21rocsparse_complex_numIfEEEvi20rocsparse_direction_NS_24const_host_device_scalarIT2_EEPKiS8_PKS5_SA_S6_PS5_21rocsparse_index_base_b.numbered_sgpr, 16
	.set _ZN9rocsparseL19gebsrmvn_2xn_kernelILj128ELj11ELj4E21rocsparse_complex_numIfEEEvi20rocsparse_direction_NS_24const_host_device_scalarIT2_EEPKiS8_PKS5_SA_S6_PS5_21rocsparse_index_base_b.num_named_barrier, 0
	.set _ZN9rocsparseL19gebsrmvn_2xn_kernelILj128ELj11ELj4E21rocsparse_complex_numIfEEEvi20rocsparse_direction_NS_24const_host_device_scalarIT2_EEPKiS8_PKS5_SA_S6_PS5_21rocsparse_index_base_b.private_seg_size, 0
	.set _ZN9rocsparseL19gebsrmvn_2xn_kernelILj128ELj11ELj4E21rocsparse_complex_numIfEEEvi20rocsparse_direction_NS_24const_host_device_scalarIT2_EEPKiS8_PKS5_SA_S6_PS5_21rocsparse_index_base_b.uses_vcc, 1
	.set _ZN9rocsparseL19gebsrmvn_2xn_kernelILj128ELj11ELj4E21rocsparse_complex_numIfEEEvi20rocsparse_direction_NS_24const_host_device_scalarIT2_EEPKiS8_PKS5_SA_S6_PS5_21rocsparse_index_base_b.uses_flat_scratch, 0
	.set _ZN9rocsparseL19gebsrmvn_2xn_kernelILj128ELj11ELj4E21rocsparse_complex_numIfEEEvi20rocsparse_direction_NS_24const_host_device_scalarIT2_EEPKiS8_PKS5_SA_S6_PS5_21rocsparse_index_base_b.has_dyn_sized_stack, 0
	.set _ZN9rocsparseL19gebsrmvn_2xn_kernelILj128ELj11ELj4E21rocsparse_complex_numIfEEEvi20rocsparse_direction_NS_24const_host_device_scalarIT2_EEPKiS8_PKS5_SA_S6_PS5_21rocsparse_index_base_b.has_recursion, 0
	.set _ZN9rocsparseL19gebsrmvn_2xn_kernelILj128ELj11ELj4E21rocsparse_complex_numIfEEEvi20rocsparse_direction_NS_24const_host_device_scalarIT2_EEPKiS8_PKS5_SA_S6_PS5_21rocsparse_index_base_b.has_indirect_call, 0
	.section	.AMDGPU.csdata,"",@progbits
; Kernel info:
; codeLenInByte = 3472
; TotalNumSgprs: 20
; NumVgprs: 38
; ScratchSize: 0
; MemoryBound: 0
; FloatMode: 240
; IeeeMode: 1
; LDSByteSize: 0 bytes/workgroup (compile time only)
; SGPRBlocks: 2
; VGPRBlocks: 9
; NumSGPRsForWavesPerEU: 20
; NumVGPRsForWavesPerEU: 38
; Occupancy: 6
; WaveLimiterHint : 1
; COMPUTE_PGM_RSRC2:SCRATCH_EN: 0
; COMPUTE_PGM_RSRC2:USER_SGPR: 6
; COMPUTE_PGM_RSRC2:TRAP_HANDLER: 0
; COMPUTE_PGM_RSRC2:TGID_X_EN: 1
; COMPUTE_PGM_RSRC2:TGID_Y_EN: 0
; COMPUTE_PGM_RSRC2:TGID_Z_EN: 0
; COMPUTE_PGM_RSRC2:TIDIG_COMP_CNT: 0
	.section	.text._ZN9rocsparseL19gebsrmvn_2xn_kernelILj128ELj11ELj8E21rocsparse_complex_numIfEEEvi20rocsparse_direction_NS_24const_host_device_scalarIT2_EEPKiS8_PKS5_SA_S6_PS5_21rocsparse_index_base_b,"axG",@progbits,_ZN9rocsparseL19gebsrmvn_2xn_kernelILj128ELj11ELj8E21rocsparse_complex_numIfEEEvi20rocsparse_direction_NS_24const_host_device_scalarIT2_EEPKiS8_PKS5_SA_S6_PS5_21rocsparse_index_base_b,comdat
	.globl	_ZN9rocsparseL19gebsrmvn_2xn_kernelILj128ELj11ELj8E21rocsparse_complex_numIfEEEvi20rocsparse_direction_NS_24const_host_device_scalarIT2_EEPKiS8_PKS5_SA_S6_PS5_21rocsparse_index_base_b ; -- Begin function _ZN9rocsparseL19gebsrmvn_2xn_kernelILj128ELj11ELj8E21rocsparse_complex_numIfEEEvi20rocsparse_direction_NS_24const_host_device_scalarIT2_EEPKiS8_PKS5_SA_S6_PS5_21rocsparse_index_base_b
	.p2align	8
	.type	_ZN9rocsparseL19gebsrmvn_2xn_kernelILj128ELj11ELj8E21rocsparse_complex_numIfEEEvi20rocsparse_direction_NS_24const_host_device_scalarIT2_EEPKiS8_PKS5_SA_S6_PS5_21rocsparse_index_base_b,@function
_ZN9rocsparseL19gebsrmvn_2xn_kernelILj128ELj11ELj8E21rocsparse_complex_numIfEEEvi20rocsparse_direction_NS_24const_host_device_scalarIT2_EEPKiS8_PKS5_SA_S6_PS5_21rocsparse_index_base_b: ; @_ZN9rocsparseL19gebsrmvn_2xn_kernelILj128ELj11ELj8E21rocsparse_complex_numIfEEEvi20rocsparse_direction_NS_24const_host_device_scalarIT2_EEPKiS8_PKS5_SA_S6_PS5_21rocsparse_index_base_b
; %bb.0:
	s_load_dwordx2 s[0:1], s[4:5], 0x8
	s_load_dwordx2 s[8:9], s[4:5], 0x30
	;; [unrolled: 1-line block ×3, first 2 shown]
	s_add_u32 s7, s4, 8
	s_addc_u32 s10, s5, 0
	s_add_u32 s11, s4, 48
	s_addc_u32 s12, s5, 0
	s_waitcnt lgkmcnt(0)
	s_bitcmp1_b32 s3, 0
	s_cselect_b32 s1, s10, s1
	s_cselect_b32 s0, s7, s0
	v_mov_b32_e32 v1, s0
	v_mov_b32_e32 v2, s1
	flat_load_dwordx2 v[1:2], v[1:2]
	s_cselect_b32 s0, s12, s9
	s_cselect_b32 s1, s11, s8
	v_mov_b32_e32 v3, s1
	v_mov_b32_e32 v4, s0
	flat_load_dwordx2 v[3:4], v[3:4]
	s_waitcnt vmcnt(0) lgkmcnt(0)
	v_cmp_eq_f32_e32 vcc, 0, v1
	v_cmp_eq_f32_e64 s[0:1], 0, v2
	s_and_b64 s[10:11], vcc, s[0:1]
	s_mov_b64 s[0:1], -1
	s_and_saveexec_b64 s[8:9], s[10:11]
; %bb.1:
	v_cmp_neq_f32_e32 vcc, 1.0, v3
	v_cmp_neq_f32_e64 s[0:1], 0, v4
	s_or_b64 s[0:1], vcc, s[0:1]
	s_orn2_b64 s[0:1], s[0:1], exec
; %bb.2:
	s_or_b64 exec, exec, s[8:9]
	s_and_saveexec_b64 s[8:9], s[0:1]
	s_cbranch_execz .LBB198_21
; %bb.3:
	s_load_dwordx2 s[0:1], s[4:5], 0x0
	v_lshrrev_b32_e32 v5, 3, v0
	v_lshl_or_b32 v5, s6, 4, v5
	s_waitcnt lgkmcnt(0)
	v_cmp_gt_i32_e32 vcc, s0, v5
	s_and_b64 exec, exec, vcc
	s_cbranch_execz .LBB198_21
; %bb.4:
	s_load_dwordx8 s[8:15], s[4:5], 0x10
	v_ashrrev_i32_e32 v6, 31, v5
	v_lshlrev_b64 v[6:7], 2, v[5:6]
	v_and_b32_e32 v0, 7, v0
	s_cmp_lg_u32 s1, 0
	s_waitcnt lgkmcnt(0)
	v_mov_b32_e32 v8, s9
	v_add_co_u32_e32 v6, vcc, s8, v6
	v_addc_co_u32_e32 v7, vcc, v8, v7, vcc
	global_load_dwordx2 v[6:7], v[6:7], off
	s_waitcnt vmcnt(0)
	v_subrev_u32_e32 v6, s2, v6
	v_subrev_u32_e32 v14, s2, v7
	v_add_u32_e32 v6, v6, v0
	v_cmp_lt_i32_e64 s[0:1], v6, v14
	s_cbranch_scc0 .LBB198_10
; %bb.5:
	v_mov_b32_e32 v15, 0
	v_mov_b32_e32 v17, 0
	;; [unrolled: 1-line block ×4, first 2 shown]
	s_and_saveexec_b64 s[6:7], s[0:1]
	s_cbranch_execz .LBB198_9
; %bb.6:
	v_mad_u64_u32 v[7:8], s[8:9], v6, 22, 20
	v_mov_b32_e32 v10, 0
	s_mov_b64 s[8:9], 0
	v_mov_b32_e32 v13, s11
	v_mov_b32_e32 v19, s13
	;; [unrolled: 1-line block ×8, first 2 shown]
.LBB198_7:                              ; =>This Inner Loop Header: Depth=1
	v_ashrrev_i32_e32 v12, 31, v11
	v_lshlrev_b64 v[21:22], 2, v[11:12]
	v_subrev_u32_e32 v9, 20, v7
	v_lshlrev_b64 v[23:24], 3, v[9:10]
	v_add_co_u32_e32 v27, vcc, s10, v21
	v_addc_co_u32_e32 v28, vcc, v13, v22, vcc
	v_add_co_u32_e32 v31, vcc, s12, v23
	v_addc_co_u32_e32 v32, vcc, v19, v24, vcc
	global_load_dword v12, v[27:28], off
	global_load_dwordx4 v[21:24], v[31:32], off
	v_mov_b32_e32 v8, v10
	v_lshlrev_b64 v[25:26], 3, v[7:8]
	v_subrev_u32_e32 v9, 18, v7
	v_lshlrev_b64 v[8:9], 3, v[9:10]
	v_add_co_u32_e32 v33, vcc, s12, v25
	v_mov_b32_e32 v30, v10
	v_addc_co_u32_e32 v34, vcc, v19, v26, vcc
	v_add_co_u32_e32 v8, vcc, s12, v8
	v_addc_co_u32_e32 v9, vcc, v19, v9, vcc
	v_add_u32_e32 v11, 8, v11
	s_waitcnt vmcnt(1)
	v_subrev_u32_e32 v12, s2, v12
	v_mul_lo_u32 v29, v12, 11
	v_lshlrev_b64 v[25:26], 3, v[29:30]
	v_add_co_u32_e32 v30, vcc, s14, v25
	v_addc_co_u32_e32 v31, vcc, v20, v26, vcc
	global_load_dwordx4 v[25:28], v[33:34], off
	global_load_dwordx2 v[35:36], v[30:31], off
	s_waitcnt vmcnt(0)
	v_fmac_f32_e32 v17, v21, v35
	v_fmac_f32_e32 v15, v22, v35
	;; [unrolled: 1-line block ×4, first 2 shown]
	v_fma_f32 v12, -v22, v36, v17
	v_fmac_f32_e32 v15, v21, v36
	v_fma_f32 v32, -v24, v36, v18
	v_fmac_f32_e32 v16, v23, v36
	global_load_dwordx4 v[21:24], v[8:9], off
	v_add_u32_e32 v9, 1, v29
	v_lshlrev_b64 v[17:18], 3, v[9:10]
	v_add_u32_e32 v9, -16, v7
	v_add_co_u32_e32 v17, vcc, s14, v17
	v_addc_co_u32_e32 v18, vcc, v20, v18, vcc
	global_load_dwordx2 v[17:18], v[17:18], off
	v_lshlrev_b64 v[30:31], 3, v[9:10]
	v_add_u32_e32 v9, 2, v29
	v_add_co_u32_e32 v30, vcc, s12, v30
	v_addc_co_u32_e32 v31, vcc, v19, v31, vcc
	s_waitcnt vmcnt(0)
	v_fmac_f32_e32 v12, v21, v17
	v_fmac_f32_e32 v15, v22, v17
	;; [unrolled: 1-line block ×4, first 2 shown]
	v_fma_f32 v8, -v22, v18, v12
	v_fmac_f32_e32 v15, v21, v18
	v_fma_f32 v12, -v24, v18, v32
	v_fmac_f32_e32 v16, v23, v18
	v_lshlrev_b64 v[17:18], 3, v[9:10]
	v_add_u32_e32 v9, -14, v7
	v_add_co_u32_e32 v17, vcc, s14, v17
	v_addc_co_u32_e32 v18, vcc, v20, v18, vcc
	global_load_dwordx4 v[21:24], v[30:31], off
	global_load_dwordx2 v[34:35], v[17:18], off
	v_lshlrev_b64 v[32:33], 3, v[9:10]
	v_add_u32_e32 v9, 3, v29
	v_lshlrev_b64 v[17:18], 3, v[9:10]
	v_add_co_u32_e32 v30, vcc, s12, v32
	v_addc_co_u32_e32 v31, vcc, v19, v33, vcc
	v_add_co_u32_e32 v17, vcc, s14, v17
	v_addc_co_u32_e32 v18, vcc, v20, v18, vcc
	v_add_u32_e32 v9, -12, v7
	v_lshlrev_b64 v[32:33], 3, v[9:10]
	v_add_u32_e32 v9, 4, v29
	s_waitcnt vmcnt(0)
	v_fmac_f32_e32 v8, v21, v34
	v_fmac_f32_e32 v15, v22, v34
	v_fmac_f32_e32 v12, v23, v34
	v_fmac_f32_e32 v16, v24, v34
	v_fma_f32 v8, -v22, v35, v8
	v_fmac_f32_e32 v15, v21, v35
	v_fma_f32 v12, -v24, v35, v12
	v_fmac_f32_e32 v16, v23, v35
	global_load_dwordx4 v[21:24], v[30:31], off
	global_load_dwordx2 v[34:35], v[17:18], off
	v_lshlrev_b64 v[17:18], 3, v[9:10]
	v_add_co_u32_e32 v30, vcc, s12, v32
	v_addc_co_u32_e32 v31, vcc, v19, v33, vcc
	v_add_co_u32_e32 v17, vcc, s14, v17
	v_addc_co_u32_e32 v18, vcc, v20, v18, vcc
	v_add_u32_e32 v9, -10, v7
	v_lshlrev_b64 v[32:33], 3, v[9:10]
	v_add_u32_e32 v9, 5, v29
	s_waitcnt vmcnt(0)
	v_fmac_f32_e32 v8, v21, v34
	v_fmac_f32_e32 v15, v22, v34
	v_fmac_f32_e32 v12, v23, v34
	v_fmac_f32_e32 v16, v24, v34
	v_fma_f32 v8, -v22, v35, v8
	v_fmac_f32_e32 v15, v21, v35
	v_fma_f32 v12, -v24, v35, v12
	v_fmac_f32_e32 v16, v23, v35
	global_load_dwordx4 v[21:24], v[30:31], off
	global_load_dwordx2 v[34:35], v[17:18], off
	;; [unrolled: 19-line block ×5, first 2 shown]
	v_lshlrev_b64 v[17:18], 3, v[9:10]
	v_add_co_u32_e32 v30, vcc, s12, v32
	v_add_u32_e32 v9, -2, v7
	v_addc_co_u32_e32 v31, vcc, v19, v33, vcc
	v_add_co_u32_e32 v17, vcc, s14, v17
	v_addc_co_u32_e32 v18, vcc, v20, v18, vcc
	v_add_u32_e32 v7, 0xb0, v7
	s_waitcnt vmcnt(0)
	v_fmac_f32_e32 v8, v21, v34
	v_fmac_f32_e32 v15, v22, v34
	v_fma_f32 v8, -v22, v35, v8
	v_fmac_f32_e32 v15, v21, v35
	v_lshlrev_b64 v[21:22], 3, v[9:10]
	v_fmac_f32_e32 v12, v23, v34
	v_fmac_f32_e32 v16, v24, v34
	v_add_co_u32_e32 v34, vcc, s12, v21
	v_fma_f32 v12, -v24, v35, v12
	v_fmac_f32_e32 v16, v23, v35
	v_addc_co_u32_e32 v35, vcc, v19, v22, vcc
	global_load_dwordx4 v[21:24], v[30:31], off
	global_load_dwordx2 v[36:37], v[17:18], off
	v_add_u32_e32 v9, 9, v29
	v_lshlrev_b64 v[32:33], 3, v[9:10]
	v_add_u32_e32 v9, 10, v29
	v_add_co_u32_e32 v17, vcc, s14, v32
	v_addc_co_u32_e32 v18, vcc, v20, v33, vcc
	s_waitcnt vmcnt(0)
	v_fmac_f32_e32 v8, v21, v36
	v_fma_f32 v31, -v22, v37, v8
	v_lshlrev_b64 v[8:9], 3, v[9:10]
	v_fmac_f32_e32 v15, v22, v36
	v_fmac_f32_e32 v12, v23, v36
	;; [unrolled: 1-line block ×4, first 2 shown]
	v_fma_f32 v12, -v24, v37, v12
	v_fmac_f32_e32 v16, v23, v37
	global_load_dwordx4 v[21:24], v[34:35], off
	global_load_dwordx2 v[29:30], v[17:18], off
	v_add_co_u32_e32 v8, vcc, s14, v8
	v_addc_co_u32_e32 v9, vcc, v20, v9, vcc
	global_load_dwordx2 v[8:9], v[8:9], off
	v_cmp_ge_i32_e32 vcc, v11, v14
	s_or_b64 s[8:9], vcc, s[8:9]
	s_waitcnt vmcnt(1)
	v_fmac_f32_e32 v31, v21, v29
	v_fmac_f32_e32 v15, v22, v29
	;; [unrolled: 1-line block ×4, first 2 shown]
	v_fma_f32 v17, -v22, v30, v31
	v_fmac_f32_e32 v15, v21, v30
	v_fma_f32 v12, -v24, v30, v12
	v_fmac_f32_e32 v16, v23, v30
	s_waitcnt vmcnt(0)
	v_fmac_f32_e32 v17, v25, v8
	v_fmac_f32_e32 v15, v26, v8
	;; [unrolled: 1-line block ×4, first 2 shown]
	v_fma_f32 v17, -v26, v9, v17
	v_fmac_f32_e32 v15, v25, v9
	v_fma_f32 v18, -v28, v9, v12
	v_fmac_f32_e32 v16, v27, v9
	s_andn2_b64 exec, exec, s[8:9]
	s_cbranch_execnz .LBB198_7
; %bb.8:
	s_or_b64 exec, exec, s[8:9]
.LBB198_9:
	s_or_b64 exec, exec, s[6:7]
	s_cbranch_execz .LBB198_11
	s_branch .LBB198_16
.LBB198_10:
                                        ; implicit-def: $vgpr15
                                        ; implicit-def: $vgpr17
                                        ; implicit-def: $vgpr18
                                        ; implicit-def: $vgpr16
.LBB198_11:
	v_mov_b32_e32 v15, 0
	v_mov_b32_e32 v17, 0
	;; [unrolled: 1-line block ×4, first 2 shown]
	s_and_saveexec_b64 s[6:7], s[0:1]
	s_cbranch_execz .LBB198_15
; %bb.12:
	v_mad_u64_u32 v[8:9], s[0:1], v6, 22, 21
	v_mov_b32_e32 v11, 0
	s_mov_b64 s[0:1], 0
	v_mov_b32_e32 v19, s11
	v_mov_b32_e32 v20, s13
	;; [unrolled: 1-line block ×7, first 2 shown]
.LBB198_13:                             ; =>This Inner Loop Header: Depth=1
	v_ashrrev_i32_e32 v7, 31, v6
	v_lshlrev_b64 v[22:23], 2, v[6:7]
	v_subrev_u32_e32 v10, 21, v8
	v_add_co_u32_e32 v22, vcc, s10, v22
	v_addc_co_u32_e32 v23, vcc, v19, v23, vcc
	global_load_dword v7, v[22:23], off
	v_lshlrev_b64 v[24:25], 3, v[10:11]
	v_add_u32_e32 v12, -10, v8
	v_mov_b32_e32 v13, v11
	v_lshlrev_b64 v[12:13], 3, v[12:13]
	v_add_co_u32_e32 v24, vcc, s12, v24
	v_mov_b32_e32 v9, v11
	v_addc_co_u32_e32 v25, vcc, v20, v25, vcc
	v_lshlrev_b64 v[9:10], 3, v[8:9]
	v_add_co_u32_e32 v12, vcc, s12, v12
	v_addc_co_u32_e32 v13, vcc, v20, v13, vcc
	v_add_co_u32_e32 v26, vcc, s12, v9
	v_addc_co_u32_e32 v27, vcc, v20, v10, vcc
	v_mov_b32_e32 v10, v11
	v_add_u32_e32 v6, 8, v6
	s_waitcnt vmcnt(0)
	v_subrev_u32_e32 v7, s2, v7
	v_mul_lo_u32 v9, v7, 11
	v_lshlrev_b64 v[22:23], 3, v[9:10]
	v_add_u32_e32 v10, 1, v9
	v_add_co_u32_e32 v22, vcc, s14, v22
	v_lshlrev_b64 v[28:29], 3, v[10:11]
	v_addc_co_u32_e32 v23, vcc, v21, v23, vcc
	v_add_co_u32_e32 v28, vcc, s14, v28
	global_load_dwordx2 v[30:31], v[12:13], off
	global_load_dwordx2 v[32:33], v[22:23], off
	v_addc_co_u32_e32 v29, vcc, v21, v29, vcc
	global_load_dwordx4 v[22:25], v[24:25], off
	v_add_u32_e32 v10, -9, v8
	global_load_dwordx2 v[12:13], v[28:29], off
	s_waitcnt vmcnt(2)
	v_fmac_f32_e32 v18, v30, v32
	v_fmac_f32_e32 v16, v31, v32
	v_fma_f32 v7, -v31, v33, v18
	s_waitcnt vmcnt(1)
	v_fmac_f32_e32 v17, v22, v32
	v_fma_f32 v17, -v23, v33, v17
	s_waitcnt vmcnt(0)
	v_fmac_f32_e32 v17, v24, v12
	v_fmac_f32_e32 v16, v30, v33
	v_fma_f32 v30, -v25, v13, v17
	v_lshlrev_b64 v[17:18], 3, v[10:11]
	v_fmac_f32_e32 v15, v23, v32
	v_subrev_u32_e32 v10, 19, v8
	v_fmac_f32_e32 v15, v22, v33
	v_add_co_u32_e32 v17, vcc, s12, v17
	v_lshlrev_b64 v[22:23], 3, v[10:11]
	v_addc_co_u32_e32 v18, vcc, v20, v18, vcc
	v_fmac_f32_e32 v15, v25, v12
	v_add_co_u32_e32 v22, vcc, s12, v22
	v_fmac_f32_e32 v15, v24, v13
	v_addc_co_u32_e32 v23, vcc, v20, v23, vcc
	global_load_dwordx2 v[24:25], v[17:18], off
	global_load_dwordx2 v[28:29], v[22:23], off
	v_add_u32_e32 v10, 2, v9
	s_waitcnt vmcnt(1)
	v_fmac_f32_e32 v7, v24, v12
	v_fmac_f32_e32 v16, v25, v12
	v_fma_f32 v7, -v25, v13, v7
	v_fmac_f32_e32 v16, v24, v13
	v_lshlrev_b64 v[12:13], 3, v[10:11]
	v_add_u32_e32 v10, -8, v8
	v_add_co_u32_e32 v12, vcc, s14, v12
	v_addc_co_u32_e32 v13, vcc, v21, v13, vcc
	global_load_dwordx2 v[12:13], v[12:13], off
	v_lshlrev_b64 v[17:18], 3, v[10:11]
	v_subrev_u32_e32 v10, 18, v8
	v_add_co_u32_e32 v17, vcc, s12, v17
	v_lshlrev_b64 v[22:23], 3, v[10:11]
	v_addc_co_u32_e32 v18, vcc, v20, v18, vcc
	v_add_co_u32_e32 v22, vcc, s12, v22
	v_addc_co_u32_e32 v23, vcc, v20, v23, vcc
	v_add_u32_e32 v10, 3, v9
	s_waitcnt vmcnt(0)
	v_fmac_f32_e32 v30, v28, v12
	v_fmac_f32_e32 v15, v29, v12
	v_fma_f32 v30, -v29, v13, v30
	v_fmac_f32_e32 v15, v28, v13
	global_load_dwordx2 v[24:25], v[17:18], off
	global_load_dwordx2 v[28:29], v[22:23], off
	s_waitcnt vmcnt(1)
	v_fmac_f32_e32 v7, v24, v12
	v_fmac_f32_e32 v16, v25, v12
	v_fma_f32 v7, -v25, v13, v7
	v_fmac_f32_e32 v16, v24, v13
	v_lshlrev_b64 v[12:13], 3, v[10:11]
	v_add_u32_e32 v10, -7, v8
	v_add_co_u32_e32 v12, vcc, s14, v12
	v_addc_co_u32_e32 v13, vcc, v21, v13, vcc
	global_load_dwordx2 v[12:13], v[12:13], off
	v_lshlrev_b64 v[17:18], 3, v[10:11]
	v_subrev_u32_e32 v10, 17, v8
	v_add_co_u32_e32 v17, vcc, s12, v17
	v_lshlrev_b64 v[22:23], 3, v[10:11]
	v_addc_co_u32_e32 v18, vcc, v20, v18, vcc
	v_add_co_u32_e32 v22, vcc, s12, v22
	v_addc_co_u32_e32 v23, vcc, v20, v23, vcc
	v_add_u32_e32 v10, 4, v9
	s_waitcnt vmcnt(0)
	v_fmac_f32_e32 v30, v28, v12
	v_fmac_f32_e32 v15, v29, v12
	v_fma_f32 v30, -v29, v13, v30
	v_fmac_f32_e32 v15, v28, v13
	global_load_dwordx2 v[24:25], v[17:18], off
	global_load_dwordx2 v[28:29], v[22:23], off
	s_waitcnt vmcnt(1)
	v_fmac_f32_e32 v7, v24, v12
	v_fmac_f32_e32 v16, v25, v12
	v_fma_f32 v7, -v25, v13, v7
	v_fmac_f32_e32 v16, v24, v13
	v_lshlrev_b64 v[12:13], 3, v[10:11]
	v_add_u32_e32 v10, -6, v8
	v_add_co_u32_e32 v12, vcc, s14, v12
	v_addc_co_u32_e32 v13, vcc, v21, v13, vcc
	global_load_dwordx2 v[12:13], v[12:13], off
	v_lshlrev_b64 v[17:18], 3, v[10:11]
	v_add_u32_e32 v10, -16, v8
	v_add_co_u32_e32 v17, vcc, s12, v17
	v_lshlrev_b64 v[22:23], 3, v[10:11]
	v_addc_co_u32_e32 v18, vcc, v20, v18, vcc
	v_add_co_u32_e32 v22, vcc, s12, v22
	v_addc_co_u32_e32 v23, vcc, v20, v23, vcc
	v_add_u32_e32 v10, 5, v9
	s_waitcnt vmcnt(0)
	v_fmac_f32_e32 v30, v28, v12
	v_fmac_f32_e32 v15, v29, v12
	v_fma_f32 v30, -v29, v13, v30
	v_fmac_f32_e32 v15, v28, v13
	global_load_dwordx2 v[24:25], v[17:18], off
	global_load_dwordx2 v[28:29], v[22:23], off
	s_waitcnt vmcnt(1)
	v_fmac_f32_e32 v7, v24, v12
	v_fmac_f32_e32 v16, v25, v12
	v_fma_f32 v7, -v25, v13, v7
	v_fmac_f32_e32 v16, v24, v13
	v_lshlrev_b64 v[12:13], 3, v[10:11]
	v_add_u32_e32 v10, -5, v8
	v_add_co_u32_e32 v12, vcc, s14, v12
	v_addc_co_u32_e32 v13, vcc, v21, v13, vcc
	global_load_dwordx2 v[12:13], v[12:13], off
	v_lshlrev_b64 v[17:18], 3, v[10:11]
	v_add_u32_e32 v10, -15, v8
	;; [unrolled: 25-line block ×6, first 2 shown]
	v_lshlrev_b64 v[22:23], 3, v[10:11]
	v_add_co_u32_e32 v17, vcc, s12, v17
	v_add_u32_e32 v10, 10, v9
	v_addc_co_u32_e32 v18, vcc, v20, v18, vcc
	v_add_co_u32_e32 v22, vcc, s12, v22
	v_lshlrev_b64 v[9:10], 3, v[10:11]
	v_addc_co_u32_e32 v23, vcc, v20, v23, vcc
	v_add_co_u32_e32 v9, vcc, s14, v9
	v_addc_co_u32_e32 v10, vcc, v21, v10, vcc
	v_cmp_ge_i32_e32 vcc, v6, v14
	s_or_b64 s[0:1], vcc, s[0:1]
	v_add_u32_e32 v8, 0xb0, v8
	s_waitcnt vmcnt(0)
	v_fmac_f32_e32 v30, v28, v12
	v_fmac_f32_e32 v15, v29, v12
	v_fma_f32 v34, -v29, v13, v30
	v_fmac_f32_e32 v15, v28, v13
	global_load_dwordx2 v[24:25], v[26:27], off
	global_load_dwordx2 v[28:29], v[17:18], off
	;; [unrolled: 1-line block ×4, first 2 shown]
	s_waitcnt vmcnt(2)
	v_fmac_f32_e32 v7, v28, v12
	v_fmac_f32_e32 v16, v29, v12
	v_fma_f32 v7, -v29, v13, v7
	v_fmac_f32_e32 v16, v28, v13
	s_waitcnt vmcnt(0)
	v_fmac_f32_e32 v34, v30, v32
	v_fmac_f32_e32 v15, v31, v32
	;; [unrolled: 1-line block ×4, first 2 shown]
	v_fma_f32 v17, -v31, v33, v34
	v_fmac_f32_e32 v15, v30, v33
	v_fma_f32 v18, -v25, v33, v7
	v_fmac_f32_e32 v16, v24, v33
	s_andn2_b64 exec, exec, s[0:1]
	s_cbranch_execnz .LBB198_13
; %bb.14:
	s_or_b64 exec, exec, s[0:1]
.LBB198_15:
	s_or_b64 exec, exec, s[6:7]
.LBB198_16:
	v_mov_b32_dpp v6, v17 row_shr:1 row_mask:0xf bank_mask:0xf
	v_mov_b32_dpp v8, v15 row_shr:1 row_mask:0xf bank_mask:0xf
	;; [unrolled: 1-line block ×4, first 2 shown]
	v_add_f32_e32 v6, v17, v6
	v_add_f32_e32 v8, v15, v8
	;; [unrolled: 1-line block ×4, first 2 shown]
	v_mov_b32_dpp v7, v6 row_shr:2 row_mask:0xf bank_mask:0xf
	v_mov_b32_dpp v9, v8 row_shr:2 row_mask:0xf bank_mask:0xf
	v_mov_b32_dpp v11, v10 row_shr:2 row_mask:0xf bank_mask:0xf
	v_mov_b32_dpp v13, v12 row_shr:2 row_mask:0xf bank_mask:0xf
	v_add_f32_e32 v6, v6, v7
	v_add_f32_e32 v8, v8, v9
	v_add_f32_e32 v10, v10, v11
	v_add_f32_e32 v12, v12, v13
	v_mov_b32_dpp v7, v6 row_shr:4 row_mask:0xf bank_mask:0xe
	v_mov_b32_dpp v9, v8 row_shr:4 row_mask:0xf bank_mask:0xe
	;; [unrolled: 1-line block ×4, first 2 shown]
	v_cmp_eq_u32_e32 vcc, 7, v0
	s_and_b64 exec, exec, vcc
	s_cbranch_execz .LBB198_21
; %bb.17:
	s_load_dwordx2 s[2:3], s[4:5], 0x38
	v_cmp_eq_f32_e32 vcc, 0, v3
	v_cmp_eq_f32_e64 s[0:1], 0, v4
	v_add_f32_e32 v7, v6, v7
	v_add_f32_e32 v8, v8, v9
	;; [unrolled: 1-line block ×4, first 2 shown]
	s_and_b64 s[0:1], vcc, s[0:1]
	s_and_saveexec_b64 s[4:5], s[0:1]
	s_xor_b64 s[0:1], exec, s[4:5]
	s_cbranch_execz .LBB198_19
; %bb.18:
	v_mul_f32_e64 v3, v8, -v2
	v_mul_f32_e32 v4, v1, v8
	v_fmac_f32_e32 v3, v1, v7
	v_fmac_f32_e32 v4, v2, v7
	v_lshlrev_b32_e32 v7, 1, v5
	v_ashrrev_i32_e32 v8, 31, v7
	v_lshlrev_b64 v[7:8], 3, v[7:8]
	s_waitcnt lgkmcnt(0)
	v_mov_b32_e32 v5, s3
	v_add_co_u32_e32 v7, vcc, s2, v7
	v_addc_co_u32_e32 v8, vcc, v5, v8, vcc
	v_mul_f32_e64 v5, v6, -v2
	v_mul_f32_e32 v6, v1, v6
	v_fmac_f32_e32 v5, v1, v0
	v_fmac_f32_e32 v6, v2, v0
	global_store_dwordx4 v[7:8], v[3:6], off
                                        ; implicit-def: $vgpr5
                                        ; implicit-def: $vgpr1_vgpr2
                                        ; implicit-def: $vgpr8
                                        ; implicit-def: $vgpr7
                                        ; implicit-def: $vgpr3_vgpr4
                                        ; implicit-def: $vgpr6
                                        ; implicit-def: $vgpr0
.LBB198_19:
	s_andn2_saveexec_b64 s[0:1], s[0:1]
	s_cbranch_execz .LBB198_21
; %bb.20:
	v_lshlrev_b32_e32 v9, 1, v5
	v_ashrrev_i32_e32 v10, 31, v9
	v_lshlrev_b64 v[9:10], 3, v[9:10]
	s_waitcnt lgkmcnt(0)
	v_mov_b32_e32 v5, s3
	v_add_co_u32_e32 v17, vcc, s2, v9
	v_addc_co_u32_e32 v18, vcc, v5, v10, vcc
	global_load_dwordx4 v[9:12], v[17:18], off
	v_mul_f32_e64 v5, v8, -v2
	v_mul_f32_e32 v14, v1, v8
	v_mul_f32_e64 v8, v6, -v2
	v_mul_f32_e32 v16, v1, v6
	v_fmac_f32_e32 v5, v1, v7
	v_fmac_f32_e32 v14, v2, v7
	;; [unrolled: 1-line block ×4, first 2 shown]
	s_waitcnt vmcnt(0)
	v_fmac_f32_e32 v5, v3, v9
	v_fmac_f32_e32 v14, v4, v9
	;; [unrolled: 1-line block ×4, first 2 shown]
	v_fma_f32 v13, -v4, v10, v5
	v_fmac_f32_e32 v14, v3, v10
	v_fma_f32 v15, -v4, v12, v8
	v_fmac_f32_e32 v16, v3, v12
	global_store_dwordx4 v[17:18], v[13:16], off
.LBB198_21:
	s_endpgm
	.section	.rodata,"a",@progbits
	.p2align	6, 0x0
	.amdhsa_kernel _ZN9rocsparseL19gebsrmvn_2xn_kernelILj128ELj11ELj8E21rocsparse_complex_numIfEEEvi20rocsparse_direction_NS_24const_host_device_scalarIT2_EEPKiS8_PKS5_SA_S6_PS5_21rocsparse_index_base_b
		.amdhsa_group_segment_fixed_size 0
		.amdhsa_private_segment_fixed_size 0
		.amdhsa_kernarg_size 72
		.amdhsa_user_sgpr_count 6
		.amdhsa_user_sgpr_private_segment_buffer 1
		.amdhsa_user_sgpr_dispatch_ptr 0
		.amdhsa_user_sgpr_queue_ptr 0
		.amdhsa_user_sgpr_kernarg_segment_ptr 1
		.amdhsa_user_sgpr_dispatch_id 0
		.amdhsa_user_sgpr_flat_scratch_init 0
		.amdhsa_user_sgpr_private_segment_size 0
		.amdhsa_uses_dynamic_stack 0
		.amdhsa_system_sgpr_private_segment_wavefront_offset 0
		.amdhsa_system_sgpr_workgroup_id_x 1
		.amdhsa_system_sgpr_workgroup_id_y 0
		.amdhsa_system_sgpr_workgroup_id_z 0
		.amdhsa_system_sgpr_workgroup_info 0
		.amdhsa_system_vgpr_workitem_id 0
		.amdhsa_next_free_vgpr 38
		.amdhsa_next_free_sgpr 16
		.amdhsa_reserve_vcc 1
		.amdhsa_reserve_flat_scratch 0
		.amdhsa_float_round_mode_32 0
		.amdhsa_float_round_mode_16_64 0
		.amdhsa_float_denorm_mode_32 3
		.amdhsa_float_denorm_mode_16_64 3
		.amdhsa_dx10_clamp 1
		.amdhsa_ieee_mode 1
		.amdhsa_fp16_overflow 0
		.amdhsa_exception_fp_ieee_invalid_op 0
		.amdhsa_exception_fp_denorm_src 0
		.amdhsa_exception_fp_ieee_div_zero 0
		.amdhsa_exception_fp_ieee_overflow 0
		.amdhsa_exception_fp_ieee_underflow 0
		.amdhsa_exception_fp_ieee_inexact 0
		.amdhsa_exception_int_div_zero 0
	.end_amdhsa_kernel
	.section	.text._ZN9rocsparseL19gebsrmvn_2xn_kernelILj128ELj11ELj8E21rocsparse_complex_numIfEEEvi20rocsparse_direction_NS_24const_host_device_scalarIT2_EEPKiS8_PKS5_SA_S6_PS5_21rocsparse_index_base_b,"axG",@progbits,_ZN9rocsparseL19gebsrmvn_2xn_kernelILj128ELj11ELj8E21rocsparse_complex_numIfEEEvi20rocsparse_direction_NS_24const_host_device_scalarIT2_EEPKiS8_PKS5_SA_S6_PS5_21rocsparse_index_base_b,comdat
.Lfunc_end198:
	.size	_ZN9rocsparseL19gebsrmvn_2xn_kernelILj128ELj11ELj8E21rocsparse_complex_numIfEEEvi20rocsparse_direction_NS_24const_host_device_scalarIT2_EEPKiS8_PKS5_SA_S6_PS5_21rocsparse_index_base_b, .Lfunc_end198-_ZN9rocsparseL19gebsrmvn_2xn_kernelILj128ELj11ELj8E21rocsparse_complex_numIfEEEvi20rocsparse_direction_NS_24const_host_device_scalarIT2_EEPKiS8_PKS5_SA_S6_PS5_21rocsparse_index_base_b
                                        ; -- End function
	.set _ZN9rocsparseL19gebsrmvn_2xn_kernelILj128ELj11ELj8E21rocsparse_complex_numIfEEEvi20rocsparse_direction_NS_24const_host_device_scalarIT2_EEPKiS8_PKS5_SA_S6_PS5_21rocsparse_index_base_b.num_vgpr, 38
	.set _ZN9rocsparseL19gebsrmvn_2xn_kernelILj128ELj11ELj8E21rocsparse_complex_numIfEEEvi20rocsparse_direction_NS_24const_host_device_scalarIT2_EEPKiS8_PKS5_SA_S6_PS5_21rocsparse_index_base_b.num_agpr, 0
	.set _ZN9rocsparseL19gebsrmvn_2xn_kernelILj128ELj11ELj8E21rocsparse_complex_numIfEEEvi20rocsparse_direction_NS_24const_host_device_scalarIT2_EEPKiS8_PKS5_SA_S6_PS5_21rocsparse_index_base_b.numbered_sgpr, 16
	.set _ZN9rocsparseL19gebsrmvn_2xn_kernelILj128ELj11ELj8E21rocsparse_complex_numIfEEEvi20rocsparse_direction_NS_24const_host_device_scalarIT2_EEPKiS8_PKS5_SA_S6_PS5_21rocsparse_index_base_b.num_named_barrier, 0
	.set _ZN9rocsparseL19gebsrmvn_2xn_kernelILj128ELj11ELj8E21rocsparse_complex_numIfEEEvi20rocsparse_direction_NS_24const_host_device_scalarIT2_EEPKiS8_PKS5_SA_S6_PS5_21rocsparse_index_base_b.private_seg_size, 0
	.set _ZN9rocsparseL19gebsrmvn_2xn_kernelILj128ELj11ELj8E21rocsparse_complex_numIfEEEvi20rocsparse_direction_NS_24const_host_device_scalarIT2_EEPKiS8_PKS5_SA_S6_PS5_21rocsparse_index_base_b.uses_vcc, 1
	.set _ZN9rocsparseL19gebsrmvn_2xn_kernelILj128ELj11ELj8E21rocsparse_complex_numIfEEEvi20rocsparse_direction_NS_24const_host_device_scalarIT2_EEPKiS8_PKS5_SA_S6_PS5_21rocsparse_index_base_b.uses_flat_scratch, 0
	.set _ZN9rocsparseL19gebsrmvn_2xn_kernelILj128ELj11ELj8E21rocsparse_complex_numIfEEEvi20rocsparse_direction_NS_24const_host_device_scalarIT2_EEPKiS8_PKS5_SA_S6_PS5_21rocsparse_index_base_b.has_dyn_sized_stack, 0
	.set _ZN9rocsparseL19gebsrmvn_2xn_kernelILj128ELj11ELj8E21rocsparse_complex_numIfEEEvi20rocsparse_direction_NS_24const_host_device_scalarIT2_EEPKiS8_PKS5_SA_S6_PS5_21rocsparse_index_base_b.has_recursion, 0
	.set _ZN9rocsparseL19gebsrmvn_2xn_kernelILj128ELj11ELj8E21rocsparse_complex_numIfEEEvi20rocsparse_direction_NS_24const_host_device_scalarIT2_EEPKiS8_PKS5_SA_S6_PS5_21rocsparse_index_base_b.has_indirect_call, 0
	.section	.AMDGPU.csdata,"",@progbits
; Kernel info:
; codeLenInByte = 3520
; TotalNumSgprs: 20
; NumVgprs: 38
; ScratchSize: 0
; MemoryBound: 0
; FloatMode: 240
; IeeeMode: 1
; LDSByteSize: 0 bytes/workgroup (compile time only)
; SGPRBlocks: 2
; VGPRBlocks: 9
; NumSGPRsForWavesPerEU: 20
; NumVGPRsForWavesPerEU: 38
; Occupancy: 6
; WaveLimiterHint : 1
; COMPUTE_PGM_RSRC2:SCRATCH_EN: 0
; COMPUTE_PGM_RSRC2:USER_SGPR: 6
; COMPUTE_PGM_RSRC2:TRAP_HANDLER: 0
; COMPUTE_PGM_RSRC2:TGID_X_EN: 1
; COMPUTE_PGM_RSRC2:TGID_Y_EN: 0
; COMPUTE_PGM_RSRC2:TGID_Z_EN: 0
; COMPUTE_PGM_RSRC2:TIDIG_COMP_CNT: 0
	.section	.text._ZN9rocsparseL19gebsrmvn_2xn_kernelILj128ELj11ELj16E21rocsparse_complex_numIfEEEvi20rocsparse_direction_NS_24const_host_device_scalarIT2_EEPKiS8_PKS5_SA_S6_PS5_21rocsparse_index_base_b,"axG",@progbits,_ZN9rocsparseL19gebsrmvn_2xn_kernelILj128ELj11ELj16E21rocsparse_complex_numIfEEEvi20rocsparse_direction_NS_24const_host_device_scalarIT2_EEPKiS8_PKS5_SA_S6_PS5_21rocsparse_index_base_b,comdat
	.globl	_ZN9rocsparseL19gebsrmvn_2xn_kernelILj128ELj11ELj16E21rocsparse_complex_numIfEEEvi20rocsparse_direction_NS_24const_host_device_scalarIT2_EEPKiS8_PKS5_SA_S6_PS5_21rocsparse_index_base_b ; -- Begin function _ZN9rocsparseL19gebsrmvn_2xn_kernelILj128ELj11ELj16E21rocsparse_complex_numIfEEEvi20rocsparse_direction_NS_24const_host_device_scalarIT2_EEPKiS8_PKS5_SA_S6_PS5_21rocsparse_index_base_b
	.p2align	8
	.type	_ZN9rocsparseL19gebsrmvn_2xn_kernelILj128ELj11ELj16E21rocsparse_complex_numIfEEEvi20rocsparse_direction_NS_24const_host_device_scalarIT2_EEPKiS8_PKS5_SA_S6_PS5_21rocsparse_index_base_b,@function
_ZN9rocsparseL19gebsrmvn_2xn_kernelILj128ELj11ELj16E21rocsparse_complex_numIfEEEvi20rocsparse_direction_NS_24const_host_device_scalarIT2_EEPKiS8_PKS5_SA_S6_PS5_21rocsparse_index_base_b: ; @_ZN9rocsparseL19gebsrmvn_2xn_kernelILj128ELj11ELj16E21rocsparse_complex_numIfEEEvi20rocsparse_direction_NS_24const_host_device_scalarIT2_EEPKiS8_PKS5_SA_S6_PS5_21rocsparse_index_base_b
; %bb.0:
	s_load_dwordx2 s[0:1], s[4:5], 0x8
	s_load_dwordx2 s[8:9], s[4:5], 0x30
	;; [unrolled: 1-line block ×3, first 2 shown]
	s_add_u32 s7, s4, 8
	s_addc_u32 s10, s5, 0
	s_add_u32 s11, s4, 48
	s_addc_u32 s12, s5, 0
	s_waitcnt lgkmcnt(0)
	s_bitcmp1_b32 s3, 0
	s_cselect_b32 s1, s10, s1
	s_cselect_b32 s0, s7, s0
	v_mov_b32_e32 v1, s0
	v_mov_b32_e32 v2, s1
	flat_load_dwordx2 v[1:2], v[1:2]
	s_cselect_b32 s0, s12, s9
	s_cselect_b32 s1, s11, s8
	v_mov_b32_e32 v3, s1
	v_mov_b32_e32 v4, s0
	flat_load_dwordx2 v[3:4], v[3:4]
	s_waitcnt vmcnt(0) lgkmcnt(0)
	v_cmp_eq_f32_e32 vcc, 0, v1
	v_cmp_eq_f32_e64 s[0:1], 0, v2
	s_and_b64 s[10:11], vcc, s[0:1]
	s_mov_b64 s[0:1], -1
	s_and_saveexec_b64 s[8:9], s[10:11]
; %bb.1:
	v_cmp_neq_f32_e32 vcc, 1.0, v3
	v_cmp_neq_f32_e64 s[0:1], 0, v4
	s_or_b64 s[0:1], vcc, s[0:1]
	s_orn2_b64 s[0:1], s[0:1], exec
; %bb.2:
	s_or_b64 exec, exec, s[8:9]
	s_and_saveexec_b64 s[8:9], s[0:1]
	s_cbranch_execz .LBB199_21
; %bb.3:
	s_load_dwordx2 s[0:1], s[4:5], 0x0
	v_lshrrev_b32_e32 v5, 4, v0
	v_lshl_or_b32 v5, s6, 3, v5
	s_waitcnt lgkmcnt(0)
	v_cmp_gt_i32_e32 vcc, s0, v5
	s_and_b64 exec, exec, vcc
	s_cbranch_execz .LBB199_21
; %bb.4:
	s_load_dwordx8 s[8:15], s[4:5], 0x10
	v_ashrrev_i32_e32 v6, 31, v5
	v_lshlrev_b64 v[6:7], 2, v[5:6]
	v_and_b32_e32 v0, 15, v0
	s_cmp_lg_u32 s1, 0
	s_waitcnt lgkmcnt(0)
	v_mov_b32_e32 v8, s9
	v_add_co_u32_e32 v6, vcc, s8, v6
	v_addc_co_u32_e32 v7, vcc, v8, v7, vcc
	global_load_dwordx2 v[6:7], v[6:7], off
	s_waitcnt vmcnt(0)
	v_subrev_u32_e32 v6, s2, v6
	v_subrev_u32_e32 v14, s2, v7
	v_add_u32_e32 v6, v6, v0
	v_cmp_lt_i32_e64 s[0:1], v6, v14
	s_cbranch_scc0 .LBB199_10
; %bb.5:
	v_mov_b32_e32 v15, 0
	v_mov_b32_e32 v18, 0
	;; [unrolled: 1-line block ×4, first 2 shown]
	s_and_saveexec_b64 s[6:7], s[0:1]
	s_cbranch_execz .LBB199_9
; %bb.6:
	v_mad_u64_u32 v[7:8], s[8:9], v6, 22, 20
	v_mov_b32_e32 v10, 0
	s_mov_b64 s[8:9], 0
	v_mov_b32_e32 v13, s11
	v_mov_b32_e32 v19, s13
	;; [unrolled: 1-line block ×8, first 2 shown]
.LBB199_7:                              ; =>This Inner Loop Header: Depth=1
	v_ashrrev_i32_e32 v12, 31, v11
	v_lshlrev_b64 v[21:22], 2, v[11:12]
	v_subrev_u32_e32 v9, 20, v7
	v_lshlrev_b64 v[23:24], 3, v[9:10]
	v_add_co_u32_e32 v27, vcc, s10, v21
	v_addc_co_u32_e32 v28, vcc, v13, v22, vcc
	v_add_co_u32_e32 v31, vcc, s12, v23
	v_addc_co_u32_e32 v32, vcc, v19, v24, vcc
	global_load_dword v12, v[27:28], off
	global_load_dwordx4 v[21:24], v[31:32], off
	v_mov_b32_e32 v8, v10
	v_lshlrev_b64 v[25:26], 3, v[7:8]
	v_subrev_u32_e32 v9, 18, v7
	v_lshlrev_b64 v[8:9], 3, v[9:10]
	v_add_co_u32_e32 v33, vcc, s12, v25
	v_mov_b32_e32 v30, v10
	v_addc_co_u32_e32 v34, vcc, v19, v26, vcc
	v_add_co_u32_e32 v8, vcc, s12, v8
	v_addc_co_u32_e32 v9, vcc, v19, v9, vcc
	v_add_u32_e32 v11, 16, v11
	s_waitcnt vmcnt(1)
	v_subrev_u32_e32 v12, s2, v12
	v_mul_lo_u32 v29, v12, 11
	v_lshlrev_b64 v[25:26], 3, v[29:30]
	v_add_co_u32_e32 v30, vcc, s14, v25
	v_addc_co_u32_e32 v31, vcc, v20, v26, vcc
	global_load_dwordx4 v[25:28], v[33:34], off
	global_load_dwordx2 v[35:36], v[30:31], off
	s_waitcnt vmcnt(0)
	v_fmac_f32_e32 v18, v21, v35
	v_fmac_f32_e32 v15, v22, v35
	;; [unrolled: 1-line block ×4, first 2 shown]
	v_fma_f32 v12, -v22, v36, v18
	v_fmac_f32_e32 v15, v21, v36
	v_fma_f32 v32, -v24, v36, v17
	v_fmac_f32_e32 v16, v23, v36
	global_load_dwordx4 v[21:24], v[8:9], off
	v_add_u32_e32 v9, 1, v29
	v_lshlrev_b64 v[17:18], 3, v[9:10]
	v_add_u32_e32 v9, -16, v7
	v_add_co_u32_e32 v17, vcc, s14, v17
	v_addc_co_u32_e32 v18, vcc, v20, v18, vcc
	global_load_dwordx2 v[17:18], v[17:18], off
	v_lshlrev_b64 v[30:31], 3, v[9:10]
	v_add_u32_e32 v9, 2, v29
	v_add_co_u32_e32 v30, vcc, s12, v30
	v_addc_co_u32_e32 v31, vcc, v19, v31, vcc
	s_waitcnt vmcnt(0)
	v_fmac_f32_e32 v12, v21, v17
	v_fmac_f32_e32 v15, v22, v17
	v_fmac_f32_e32 v32, v23, v17
	v_fmac_f32_e32 v16, v24, v17
	v_fma_f32 v8, -v22, v18, v12
	v_fmac_f32_e32 v15, v21, v18
	v_fma_f32 v12, -v24, v18, v32
	v_fmac_f32_e32 v16, v23, v18
	v_lshlrev_b64 v[17:18], 3, v[9:10]
	v_add_u32_e32 v9, -14, v7
	v_add_co_u32_e32 v17, vcc, s14, v17
	v_addc_co_u32_e32 v18, vcc, v20, v18, vcc
	global_load_dwordx4 v[21:24], v[30:31], off
	global_load_dwordx2 v[34:35], v[17:18], off
	v_lshlrev_b64 v[32:33], 3, v[9:10]
	v_add_u32_e32 v9, 3, v29
	v_lshlrev_b64 v[17:18], 3, v[9:10]
	v_add_co_u32_e32 v30, vcc, s12, v32
	v_addc_co_u32_e32 v31, vcc, v19, v33, vcc
	v_add_co_u32_e32 v17, vcc, s14, v17
	v_addc_co_u32_e32 v18, vcc, v20, v18, vcc
	v_add_u32_e32 v9, -12, v7
	v_lshlrev_b64 v[32:33], 3, v[9:10]
	v_add_u32_e32 v9, 4, v29
	s_waitcnt vmcnt(0)
	v_fmac_f32_e32 v8, v21, v34
	v_fmac_f32_e32 v15, v22, v34
	v_fmac_f32_e32 v12, v23, v34
	v_fmac_f32_e32 v16, v24, v34
	v_fma_f32 v8, -v22, v35, v8
	v_fmac_f32_e32 v15, v21, v35
	v_fma_f32 v12, -v24, v35, v12
	v_fmac_f32_e32 v16, v23, v35
	global_load_dwordx4 v[21:24], v[30:31], off
	global_load_dwordx2 v[34:35], v[17:18], off
	v_lshlrev_b64 v[17:18], 3, v[9:10]
	v_add_co_u32_e32 v30, vcc, s12, v32
	v_addc_co_u32_e32 v31, vcc, v19, v33, vcc
	v_add_co_u32_e32 v17, vcc, s14, v17
	v_addc_co_u32_e32 v18, vcc, v20, v18, vcc
	v_add_u32_e32 v9, -10, v7
	v_lshlrev_b64 v[32:33], 3, v[9:10]
	v_add_u32_e32 v9, 5, v29
	s_waitcnt vmcnt(0)
	v_fmac_f32_e32 v8, v21, v34
	v_fmac_f32_e32 v15, v22, v34
	v_fmac_f32_e32 v12, v23, v34
	v_fmac_f32_e32 v16, v24, v34
	v_fma_f32 v8, -v22, v35, v8
	v_fmac_f32_e32 v15, v21, v35
	v_fma_f32 v12, -v24, v35, v12
	v_fmac_f32_e32 v16, v23, v35
	global_load_dwordx4 v[21:24], v[30:31], off
	global_load_dwordx2 v[34:35], v[17:18], off
	;; [unrolled: 19-line block ×5, first 2 shown]
	v_lshlrev_b64 v[17:18], 3, v[9:10]
	v_add_co_u32_e32 v30, vcc, s12, v32
	v_add_u32_e32 v9, -2, v7
	v_addc_co_u32_e32 v31, vcc, v19, v33, vcc
	v_add_co_u32_e32 v17, vcc, s14, v17
	v_addc_co_u32_e32 v18, vcc, v20, v18, vcc
	v_add_u32_e32 v7, 0x160, v7
	s_waitcnt vmcnt(0)
	v_fmac_f32_e32 v8, v21, v34
	v_fmac_f32_e32 v15, v22, v34
	v_fma_f32 v8, -v22, v35, v8
	v_fmac_f32_e32 v15, v21, v35
	v_lshlrev_b64 v[21:22], 3, v[9:10]
	v_fmac_f32_e32 v12, v23, v34
	v_fmac_f32_e32 v16, v24, v34
	v_add_co_u32_e32 v34, vcc, s12, v21
	v_fma_f32 v12, -v24, v35, v12
	v_fmac_f32_e32 v16, v23, v35
	v_addc_co_u32_e32 v35, vcc, v19, v22, vcc
	global_load_dwordx4 v[21:24], v[30:31], off
	global_load_dwordx2 v[36:37], v[17:18], off
	v_add_u32_e32 v9, 9, v29
	v_lshlrev_b64 v[32:33], 3, v[9:10]
	v_add_u32_e32 v9, 10, v29
	v_add_co_u32_e32 v17, vcc, s14, v32
	v_addc_co_u32_e32 v18, vcc, v20, v33, vcc
	s_waitcnt vmcnt(0)
	v_fmac_f32_e32 v8, v21, v36
	v_fma_f32 v31, -v22, v37, v8
	v_lshlrev_b64 v[8:9], 3, v[9:10]
	v_fmac_f32_e32 v15, v22, v36
	v_fmac_f32_e32 v12, v23, v36
	;; [unrolled: 1-line block ×4, first 2 shown]
	v_fma_f32 v12, -v24, v37, v12
	v_fmac_f32_e32 v16, v23, v37
	global_load_dwordx4 v[21:24], v[34:35], off
	global_load_dwordx2 v[29:30], v[17:18], off
	v_add_co_u32_e32 v8, vcc, s14, v8
	v_addc_co_u32_e32 v9, vcc, v20, v9, vcc
	global_load_dwordx2 v[8:9], v[8:9], off
	v_cmp_ge_i32_e32 vcc, v11, v14
	s_or_b64 s[8:9], vcc, s[8:9]
	s_waitcnt vmcnt(1)
	v_fmac_f32_e32 v31, v21, v29
	v_fmac_f32_e32 v15, v22, v29
	;; [unrolled: 1-line block ×4, first 2 shown]
	v_fma_f32 v17, -v22, v30, v31
	v_fmac_f32_e32 v15, v21, v30
	v_fma_f32 v12, -v24, v30, v12
	v_fmac_f32_e32 v16, v23, v30
	s_waitcnt vmcnt(0)
	v_fmac_f32_e32 v17, v25, v8
	v_fmac_f32_e32 v15, v26, v8
	;; [unrolled: 1-line block ×4, first 2 shown]
	v_fma_f32 v18, -v26, v9, v17
	v_fmac_f32_e32 v15, v25, v9
	v_fma_f32 v17, -v28, v9, v12
	v_fmac_f32_e32 v16, v27, v9
	s_andn2_b64 exec, exec, s[8:9]
	s_cbranch_execnz .LBB199_7
; %bb.8:
	s_or_b64 exec, exec, s[8:9]
.LBB199_9:
	s_or_b64 exec, exec, s[6:7]
	s_cbranch_execz .LBB199_11
	s_branch .LBB199_16
.LBB199_10:
                                        ; implicit-def: $vgpr15
                                        ; implicit-def: $vgpr18
                                        ; implicit-def: $vgpr17
                                        ; implicit-def: $vgpr16
.LBB199_11:
	v_mov_b32_e32 v15, 0
	v_mov_b32_e32 v18, 0
	;; [unrolled: 1-line block ×4, first 2 shown]
	s_and_saveexec_b64 s[6:7], s[0:1]
	s_cbranch_execz .LBB199_15
; %bb.12:
	v_mad_u64_u32 v[8:9], s[0:1], v6, 22, 21
	v_mov_b32_e32 v11, 0
	s_mov_b64 s[0:1], 0
	v_mov_b32_e32 v19, s11
	v_mov_b32_e32 v20, s13
	;; [unrolled: 1-line block ×7, first 2 shown]
.LBB199_13:                             ; =>This Inner Loop Header: Depth=1
	v_ashrrev_i32_e32 v7, 31, v6
	v_lshlrev_b64 v[22:23], 2, v[6:7]
	v_subrev_u32_e32 v10, 21, v8
	v_add_co_u32_e32 v22, vcc, s10, v22
	v_addc_co_u32_e32 v23, vcc, v19, v23, vcc
	global_load_dword v7, v[22:23], off
	v_lshlrev_b64 v[24:25], 3, v[10:11]
	v_add_u32_e32 v12, -10, v8
	v_mov_b32_e32 v13, v11
	v_lshlrev_b64 v[12:13], 3, v[12:13]
	v_add_co_u32_e32 v24, vcc, s12, v24
	v_mov_b32_e32 v9, v11
	v_addc_co_u32_e32 v25, vcc, v20, v25, vcc
	v_lshlrev_b64 v[9:10], 3, v[8:9]
	v_add_co_u32_e32 v12, vcc, s12, v12
	v_addc_co_u32_e32 v13, vcc, v20, v13, vcc
	v_add_co_u32_e32 v26, vcc, s12, v9
	v_addc_co_u32_e32 v27, vcc, v20, v10, vcc
	v_mov_b32_e32 v10, v11
	v_add_u32_e32 v6, 16, v6
	s_waitcnt vmcnt(0)
	v_subrev_u32_e32 v7, s2, v7
	v_mul_lo_u32 v9, v7, 11
	v_lshlrev_b64 v[22:23], 3, v[9:10]
	v_add_u32_e32 v10, 1, v9
	v_add_co_u32_e32 v22, vcc, s14, v22
	v_lshlrev_b64 v[28:29], 3, v[10:11]
	v_addc_co_u32_e32 v23, vcc, v21, v23, vcc
	v_add_co_u32_e32 v28, vcc, s14, v28
	global_load_dwordx2 v[30:31], v[12:13], off
	global_load_dwordx2 v[32:33], v[22:23], off
	v_addc_co_u32_e32 v29, vcc, v21, v29, vcc
	global_load_dwordx4 v[22:25], v[24:25], off
	v_add_u32_e32 v10, -9, v8
	global_load_dwordx2 v[12:13], v[28:29], off
	s_waitcnt vmcnt(2)
	v_fmac_f32_e32 v17, v30, v32
	v_fma_f32 v7, -v31, v33, v17
	v_fmac_f32_e32 v16, v31, v32
	s_waitcnt vmcnt(1)
	v_fmac_f32_e32 v18, v22, v32
	v_fma_f32 v17, -v23, v33, v18
	s_waitcnt vmcnt(0)
	v_fmac_f32_e32 v17, v24, v12
	v_fmac_f32_e32 v16, v30, v33
	v_fma_f32 v30, -v25, v13, v17
	v_lshlrev_b64 v[17:18], 3, v[10:11]
	v_fmac_f32_e32 v15, v23, v32
	v_subrev_u32_e32 v10, 19, v8
	v_fmac_f32_e32 v15, v22, v33
	v_add_co_u32_e32 v17, vcc, s12, v17
	v_lshlrev_b64 v[22:23], 3, v[10:11]
	v_addc_co_u32_e32 v18, vcc, v20, v18, vcc
	v_fmac_f32_e32 v15, v25, v12
	v_add_co_u32_e32 v22, vcc, s12, v22
	v_fmac_f32_e32 v15, v24, v13
	v_addc_co_u32_e32 v23, vcc, v20, v23, vcc
	global_load_dwordx2 v[24:25], v[17:18], off
	global_load_dwordx2 v[28:29], v[22:23], off
	v_add_u32_e32 v10, 2, v9
	s_waitcnt vmcnt(1)
	v_fmac_f32_e32 v7, v24, v12
	v_fmac_f32_e32 v16, v25, v12
	v_fma_f32 v7, -v25, v13, v7
	v_fmac_f32_e32 v16, v24, v13
	v_lshlrev_b64 v[12:13], 3, v[10:11]
	v_add_u32_e32 v10, -8, v8
	v_add_co_u32_e32 v12, vcc, s14, v12
	v_addc_co_u32_e32 v13, vcc, v21, v13, vcc
	global_load_dwordx2 v[12:13], v[12:13], off
	v_lshlrev_b64 v[17:18], 3, v[10:11]
	v_subrev_u32_e32 v10, 18, v8
	v_add_co_u32_e32 v17, vcc, s12, v17
	v_lshlrev_b64 v[22:23], 3, v[10:11]
	v_addc_co_u32_e32 v18, vcc, v20, v18, vcc
	v_add_co_u32_e32 v22, vcc, s12, v22
	v_addc_co_u32_e32 v23, vcc, v20, v23, vcc
	v_add_u32_e32 v10, 3, v9
	s_waitcnt vmcnt(0)
	v_fmac_f32_e32 v30, v28, v12
	v_fmac_f32_e32 v15, v29, v12
	v_fma_f32 v30, -v29, v13, v30
	v_fmac_f32_e32 v15, v28, v13
	global_load_dwordx2 v[24:25], v[17:18], off
	global_load_dwordx2 v[28:29], v[22:23], off
	s_waitcnt vmcnt(1)
	v_fmac_f32_e32 v7, v24, v12
	v_fmac_f32_e32 v16, v25, v12
	v_fma_f32 v7, -v25, v13, v7
	v_fmac_f32_e32 v16, v24, v13
	v_lshlrev_b64 v[12:13], 3, v[10:11]
	v_add_u32_e32 v10, -7, v8
	v_add_co_u32_e32 v12, vcc, s14, v12
	v_addc_co_u32_e32 v13, vcc, v21, v13, vcc
	global_load_dwordx2 v[12:13], v[12:13], off
	v_lshlrev_b64 v[17:18], 3, v[10:11]
	v_subrev_u32_e32 v10, 17, v8
	v_add_co_u32_e32 v17, vcc, s12, v17
	v_lshlrev_b64 v[22:23], 3, v[10:11]
	v_addc_co_u32_e32 v18, vcc, v20, v18, vcc
	v_add_co_u32_e32 v22, vcc, s12, v22
	v_addc_co_u32_e32 v23, vcc, v20, v23, vcc
	v_add_u32_e32 v10, 4, v9
	s_waitcnt vmcnt(0)
	v_fmac_f32_e32 v30, v28, v12
	v_fmac_f32_e32 v15, v29, v12
	v_fma_f32 v30, -v29, v13, v30
	v_fmac_f32_e32 v15, v28, v13
	global_load_dwordx2 v[24:25], v[17:18], off
	global_load_dwordx2 v[28:29], v[22:23], off
	s_waitcnt vmcnt(1)
	v_fmac_f32_e32 v7, v24, v12
	v_fmac_f32_e32 v16, v25, v12
	v_fma_f32 v7, -v25, v13, v7
	v_fmac_f32_e32 v16, v24, v13
	v_lshlrev_b64 v[12:13], 3, v[10:11]
	v_add_u32_e32 v10, -6, v8
	v_add_co_u32_e32 v12, vcc, s14, v12
	v_addc_co_u32_e32 v13, vcc, v21, v13, vcc
	global_load_dwordx2 v[12:13], v[12:13], off
	v_lshlrev_b64 v[17:18], 3, v[10:11]
	v_add_u32_e32 v10, -16, v8
	v_add_co_u32_e32 v17, vcc, s12, v17
	v_lshlrev_b64 v[22:23], 3, v[10:11]
	v_addc_co_u32_e32 v18, vcc, v20, v18, vcc
	v_add_co_u32_e32 v22, vcc, s12, v22
	v_addc_co_u32_e32 v23, vcc, v20, v23, vcc
	v_add_u32_e32 v10, 5, v9
	s_waitcnt vmcnt(0)
	v_fmac_f32_e32 v30, v28, v12
	v_fmac_f32_e32 v15, v29, v12
	v_fma_f32 v30, -v29, v13, v30
	v_fmac_f32_e32 v15, v28, v13
	global_load_dwordx2 v[24:25], v[17:18], off
	global_load_dwordx2 v[28:29], v[22:23], off
	s_waitcnt vmcnt(1)
	v_fmac_f32_e32 v7, v24, v12
	v_fmac_f32_e32 v16, v25, v12
	v_fma_f32 v7, -v25, v13, v7
	v_fmac_f32_e32 v16, v24, v13
	v_lshlrev_b64 v[12:13], 3, v[10:11]
	v_add_u32_e32 v10, -5, v8
	v_add_co_u32_e32 v12, vcc, s14, v12
	v_addc_co_u32_e32 v13, vcc, v21, v13, vcc
	global_load_dwordx2 v[12:13], v[12:13], off
	v_lshlrev_b64 v[17:18], 3, v[10:11]
	v_add_u32_e32 v10, -15, v8
	;; [unrolled: 25-line block ×6, first 2 shown]
	v_lshlrev_b64 v[22:23], 3, v[10:11]
	v_add_co_u32_e32 v17, vcc, s12, v17
	v_add_u32_e32 v10, 10, v9
	v_addc_co_u32_e32 v18, vcc, v20, v18, vcc
	v_add_co_u32_e32 v22, vcc, s12, v22
	v_lshlrev_b64 v[9:10], 3, v[10:11]
	v_addc_co_u32_e32 v23, vcc, v20, v23, vcc
	v_add_co_u32_e32 v9, vcc, s14, v9
	v_addc_co_u32_e32 v10, vcc, v21, v10, vcc
	v_cmp_ge_i32_e32 vcc, v6, v14
	s_or_b64 s[0:1], vcc, s[0:1]
	v_add_u32_e32 v8, 0x160, v8
	s_waitcnt vmcnt(0)
	v_fmac_f32_e32 v30, v28, v12
	v_fmac_f32_e32 v15, v29, v12
	v_fma_f32 v34, -v29, v13, v30
	v_fmac_f32_e32 v15, v28, v13
	global_load_dwordx2 v[24:25], v[26:27], off
	global_load_dwordx2 v[28:29], v[17:18], off
	;; [unrolled: 1-line block ×4, first 2 shown]
	s_waitcnt vmcnt(2)
	v_fmac_f32_e32 v7, v28, v12
	v_fmac_f32_e32 v16, v29, v12
	v_fma_f32 v7, -v29, v13, v7
	v_fmac_f32_e32 v16, v28, v13
	s_waitcnt vmcnt(0)
	v_fmac_f32_e32 v34, v30, v32
	v_fmac_f32_e32 v15, v31, v32
	;; [unrolled: 1-line block ×4, first 2 shown]
	v_fma_f32 v18, -v31, v33, v34
	v_fmac_f32_e32 v15, v30, v33
	v_fma_f32 v17, -v25, v33, v7
	v_fmac_f32_e32 v16, v24, v33
	s_andn2_b64 exec, exec, s[0:1]
	s_cbranch_execnz .LBB199_13
; %bb.14:
	s_or_b64 exec, exec, s[0:1]
.LBB199_15:
	s_or_b64 exec, exec, s[6:7]
.LBB199_16:
	v_mov_b32_dpp v6, v18 row_shr:1 row_mask:0xf bank_mask:0xf
	v_mov_b32_dpp v8, v15 row_shr:1 row_mask:0xf bank_mask:0xf
	v_mov_b32_dpp v10, v17 row_shr:1 row_mask:0xf bank_mask:0xf
	v_mov_b32_dpp v12, v16 row_shr:1 row_mask:0xf bank_mask:0xf
	v_add_f32_e32 v6, v18, v6
	v_add_f32_e32 v8, v15, v8
	v_add_f32_e32 v10, v17, v10
	v_add_f32_e32 v12, v16, v12
	v_mov_b32_dpp v7, v6 row_shr:2 row_mask:0xf bank_mask:0xf
	v_mov_b32_dpp v9, v8 row_shr:2 row_mask:0xf bank_mask:0xf
	v_mov_b32_dpp v11, v10 row_shr:2 row_mask:0xf bank_mask:0xf
	v_mov_b32_dpp v13, v12 row_shr:2 row_mask:0xf bank_mask:0xf
	v_add_f32_e32 v6, v6, v7
	v_add_f32_e32 v8, v8, v9
	v_add_f32_e32 v10, v10, v11
	v_add_f32_e32 v12, v12, v13
	;; [unrolled: 8-line block ×3, first 2 shown]
	v_mov_b32_dpp v7, v6 row_shr:8 row_mask:0xf bank_mask:0xc
	v_mov_b32_dpp v9, v8 row_shr:8 row_mask:0xf bank_mask:0xc
	;; [unrolled: 1-line block ×4, first 2 shown]
	v_cmp_eq_u32_e32 vcc, 15, v0
	s_and_b64 exec, exec, vcc
	s_cbranch_execz .LBB199_21
; %bb.17:
	s_load_dwordx2 s[2:3], s[4:5], 0x38
	v_cmp_eq_f32_e32 vcc, 0, v3
	v_cmp_eq_f32_e64 s[0:1], 0, v4
	v_add_f32_e32 v7, v6, v7
	v_add_f32_e32 v8, v8, v9
	;; [unrolled: 1-line block ×4, first 2 shown]
	s_and_b64 s[0:1], vcc, s[0:1]
	s_and_saveexec_b64 s[4:5], s[0:1]
	s_xor_b64 s[0:1], exec, s[4:5]
	s_cbranch_execz .LBB199_19
; %bb.18:
	v_mul_f32_e64 v3, v8, -v2
	v_mul_f32_e32 v4, v1, v8
	v_fmac_f32_e32 v3, v1, v7
	v_fmac_f32_e32 v4, v2, v7
	v_lshlrev_b32_e32 v7, 1, v5
	v_ashrrev_i32_e32 v8, 31, v7
	v_lshlrev_b64 v[7:8], 3, v[7:8]
	s_waitcnt lgkmcnt(0)
	v_mov_b32_e32 v5, s3
	v_add_co_u32_e32 v7, vcc, s2, v7
	v_addc_co_u32_e32 v8, vcc, v5, v8, vcc
	v_mul_f32_e64 v5, v6, -v2
	v_mul_f32_e32 v6, v1, v6
	v_fmac_f32_e32 v5, v1, v0
	v_fmac_f32_e32 v6, v2, v0
	global_store_dwordx4 v[7:8], v[3:6], off
                                        ; implicit-def: $vgpr5
                                        ; implicit-def: $vgpr1_vgpr2
                                        ; implicit-def: $vgpr8
                                        ; implicit-def: $vgpr7
                                        ; implicit-def: $vgpr3_vgpr4
                                        ; implicit-def: $vgpr6
                                        ; implicit-def: $vgpr0
.LBB199_19:
	s_andn2_saveexec_b64 s[0:1], s[0:1]
	s_cbranch_execz .LBB199_21
; %bb.20:
	v_lshlrev_b32_e32 v9, 1, v5
	v_ashrrev_i32_e32 v10, 31, v9
	v_lshlrev_b64 v[9:10], 3, v[9:10]
	s_waitcnt lgkmcnt(0)
	v_mov_b32_e32 v5, s3
	v_add_co_u32_e32 v17, vcc, s2, v9
	v_addc_co_u32_e32 v18, vcc, v5, v10, vcc
	global_load_dwordx4 v[9:12], v[17:18], off
	v_mul_f32_e64 v5, v8, -v2
	v_mul_f32_e32 v14, v1, v8
	v_mul_f32_e64 v8, v6, -v2
	v_mul_f32_e32 v16, v1, v6
	v_fmac_f32_e32 v5, v1, v7
	v_fmac_f32_e32 v14, v2, v7
	;; [unrolled: 1-line block ×4, first 2 shown]
	s_waitcnt vmcnt(0)
	v_fmac_f32_e32 v5, v3, v9
	v_fmac_f32_e32 v14, v4, v9
	;; [unrolled: 1-line block ×4, first 2 shown]
	v_fma_f32 v13, -v4, v10, v5
	v_fmac_f32_e32 v14, v3, v10
	v_fma_f32 v15, -v4, v12, v8
	v_fmac_f32_e32 v16, v3, v12
	global_store_dwordx4 v[17:18], v[13:16], off
.LBB199_21:
	s_endpgm
	.section	.rodata,"a",@progbits
	.p2align	6, 0x0
	.amdhsa_kernel _ZN9rocsparseL19gebsrmvn_2xn_kernelILj128ELj11ELj16E21rocsparse_complex_numIfEEEvi20rocsparse_direction_NS_24const_host_device_scalarIT2_EEPKiS8_PKS5_SA_S6_PS5_21rocsparse_index_base_b
		.amdhsa_group_segment_fixed_size 0
		.amdhsa_private_segment_fixed_size 0
		.amdhsa_kernarg_size 72
		.amdhsa_user_sgpr_count 6
		.amdhsa_user_sgpr_private_segment_buffer 1
		.amdhsa_user_sgpr_dispatch_ptr 0
		.amdhsa_user_sgpr_queue_ptr 0
		.amdhsa_user_sgpr_kernarg_segment_ptr 1
		.amdhsa_user_sgpr_dispatch_id 0
		.amdhsa_user_sgpr_flat_scratch_init 0
		.amdhsa_user_sgpr_private_segment_size 0
		.amdhsa_uses_dynamic_stack 0
		.amdhsa_system_sgpr_private_segment_wavefront_offset 0
		.amdhsa_system_sgpr_workgroup_id_x 1
		.amdhsa_system_sgpr_workgroup_id_y 0
		.amdhsa_system_sgpr_workgroup_id_z 0
		.amdhsa_system_sgpr_workgroup_info 0
		.amdhsa_system_vgpr_workitem_id 0
		.amdhsa_next_free_vgpr 38
		.amdhsa_next_free_sgpr 16
		.amdhsa_reserve_vcc 1
		.amdhsa_reserve_flat_scratch 0
		.amdhsa_float_round_mode_32 0
		.amdhsa_float_round_mode_16_64 0
		.amdhsa_float_denorm_mode_32 3
		.amdhsa_float_denorm_mode_16_64 3
		.amdhsa_dx10_clamp 1
		.amdhsa_ieee_mode 1
		.amdhsa_fp16_overflow 0
		.amdhsa_exception_fp_ieee_invalid_op 0
		.amdhsa_exception_fp_denorm_src 0
		.amdhsa_exception_fp_ieee_div_zero 0
		.amdhsa_exception_fp_ieee_overflow 0
		.amdhsa_exception_fp_ieee_underflow 0
		.amdhsa_exception_fp_ieee_inexact 0
		.amdhsa_exception_int_div_zero 0
	.end_amdhsa_kernel
	.section	.text._ZN9rocsparseL19gebsrmvn_2xn_kernelILj128ELj11ELj16E21rocsparse_complex_numIfEEEvi20rocsparse_direction_NS_24const_host_device_scalarIT2_EEPKiS8_PKS5_SA_S6_PS5_21rocsparse_index_base_b,"axG",@progbits,_ZN9rocsparseL19gebsrmvn_2xn_kernelILj128ELj11ELj16E21rocsparse_complex_numIfEEEvi20rocsparse_direction_NS_24const_host_device_scalarIT2_EEPKiS8_PKS5_SA_S6_PS5_21rocsparse_index_base_b,comdat
.Lfunc_end199:
	.size	_ZN9rocsparseL19gebsrmvn_2xn_kernelILj128ELj11ELj16E21rocsparse_complex_numIfEEEvi20rocsparse_direction_NS_24const_host_device_scalarIT2_EEPKiS8_PKS5_SA_S6_PS5_21rocsparse_index_base_b, .Lfunc_end199-_ZN9rocsparseL19gebsrmvn_2xn_kernelILj128ELj11ELj16E21rocsparse_complex_numIfEEEvi20rocsparse_direction_NS_24const_host_device_scalarIT2_EEPKiS8_PKS5_SA_S6_PS5_21rocsparse_index_base_b
                                        ; -- End function
	.set _ZN9rocsparseL19gebsrmvn_2xn_kernelILj128ELj11ELj16E21rocsparse_complex_numIfEEEvi20rocsparse_direction_NS_24const_host_device_scalarIT2_EEPKiS8_PKS5_SA_S6_PS5_21rocsparse_index_base_b.num_vgpr, 38
	.set _ZN9rocsparseL19gebsrmvn_2xn_kernelILj128ELj11ELj16E21rocsparse_complex_numIfEEEvi20rocsparse_direction_NS_24const_host_device_scalarIT2_EEPKiS8_PKS5_SA_S6_PS5_21rocsparse_index_base_b.num_agpr, 0
	.set _ZN9rocsparseL19gebsrmvn_2xn_kernelILj128ELj11ELj16E21rocsparse_complex_numIfEEEvi20rocsparse_direction_NS_24const_host_device_scalarIT2_EEPKiS8_PKS5_SA_S6_PS5_21rocsparse_index_base_b.numbered_sgpr, 16
	.set _ZN9rocsparseL19gebsrmvn_2xn_kernelILj128ELj11ELj16E21rocsparse_complex_numIfEEEvi20rocsparse_direction_NS_24const_host_device_scalarIT2_EEPKiS8_PKS5_SA_S6_PS5_21rocsparse_index_base_b.num_named_barrier, 0
	.set _ZN9rocsparseL19gebsrmvn_2xn_kernelILj128ELj11ELj16E21rocsparse_complex_numIfEEEvi20rocsparse_direction_NS_24const_host_device_scalarIT2_EEPKiS8_PKS5_SA_S6_PS5_21rocsparse_index_base_b.private_seg_size, 0
	.set _ZN9rocsparseL19gebsrmvn_2xn_kernelILj128ELj11ELj16E21rocsparse_complex_numIfEEEvi20rocsparse_direction_NS_24const_host_device_scalarIT2_EEPKiS8_PKS5_SA_S6_PS5_21rocsparse_index_base_b.uses_vcc, 1
	.set _ZN9rocsparseL19gebsrmvn_2xn_kernelILj128ELj11ELj16E21rocsparse_complex_numIfEEEvi20rocsparse_direction_NS_24const_host_device_scalarIT2_EEPKiS8_PKS5_SA_S6_PS5_21rocsparse_index_base_b.uses_flat_scratch, 0
	.set _ZN9rocsparseL19gebsrmvn_2xn_kernelILj128ELj11ELj16E21rocsparse_complex_numIfEEEvi20rocsparse_direction_NS_24const_host_device_scalarIT2_EEPKiS8_PKS5_SA_S6_PS5_21rocsparse_index_base_b.has_dyn_sized_stack, 0
	.set _ZN9rocsparseL19gebsrmvn_2xn_kernelILj128ELj11ELj16E21rocsparse_complex_numIfEEEvi20rocsparse_direction_NS_24const_host_device_scalarIT2_EEPKiS8_PKS5_SA_S6_PS5_21rocsparse_index_base_b.has_recursion, 0
	.set _ZN9rocsparseL19gebsrmvn_2xn_kernelILj128ELj11ELj16E21rocsparse_complex_numIfEEEvi20rocsparse_direction_NS_24const_host_device_scalarIT2_EEPKiS8_PKS5_SA_S6_PS5_21rocsparse_index_base_b.has_indirect_call, 0
	.section	.AMDGPU.csdata,"",@progbits
; Kernel info:
; codeLenInByte = 3568
; TotalNumSgprs: 20
; NumVgprs: 38
; ScratchSize: 0
; MemoryBound: 0
; FloatMode: 240
; IeeeMode: 1
; LDSByteSize: 0 bytes/workgroup (compile time only)
; SGPRBlocks: 2
; VGPRBlocks: 9
; NumSGPRsForWavesPerEU: 20
; NumVGPRsForWavesPerEU: 38
; Occupancy: 6
; WaveLimiterHint : 1
; COMPUTE_PGM_RSRC2:SCRATCH_EN: 0
; COMPUTE_PGM_RSRC2:USER_SGPR: 6
; COMPUTE_PGM_RSRC2:TRAP_HANDLER: 0
; COMPUTE_PGM_RSRC2:TGID_X_EN: 1
; COMPUTE_PGM_RSRC2:TGID_Y_EN: 0
; COMPUTE_PGM_RSRC2:TGID_Z_EN: 0
; COMPUTE_PGM_RSRC2:TIDIG_COMP_CNT: 0
	.section	.text._ZN9rocsparseL19gebsrmvn_2xn_kernelILj128ELj11ELj32E21rocsparse_complex_numIfEEEvi20rocsparse_direction_NS_24const_host_device_scalarIT2_EEPKiS8_PKS5_SA_S6_PS5_21rocsparse_index_base_b,"axG",@progbits,_ZN9rocsparseL19gebsrmvn_2xn_kernelILj128ELj11ELj32E21rocsparse_complex_numIfEEEvi20rocsparse_direction_NS_24const_host_device_scalarIT2_EEPKiS8_PKS5_SA_S6_PS5_21rocsparse_index_base_b,comdat
	.globl	_ZN9rocsparseL19gebsrmvn_2xn_kernelILj128ELj11ELj32E21rocsparse_complex_numIfEEEvi20rocsparse_direction_NS_24const_host_device_scalarIT2_EEPKiS8_PKS5_SA_S6_PS5_21rocsparse_index_base_b ; -- Begin function _ZN9rocsparseL19gebsrmvn_2xn_kernelILj128ELj11ELj32E21rocsparse_complex_numIfEEEvi20rocsparse_direction_NS_24const_host_device_scalarIT2_EEPKiS8_PKS5_SA_S6_PS5_21rocsparse_index_base_b
	.p2align	8
	.type	_ZN9rocsparseL19gebsrmvn_2xn_kernelILj128ELj11ELj32E21rocsparse_complex_numIfEEEvi20rocsparse_direction_NS_24const_host_device_scalarIT2_EEPKiS8_PKS5_SA_S6_PS5_21rocsparse_index_base_b,@function
_ZN9rocsparseL19gebsrmvn_2xn_kernelILj128ELj11ELj32E21rocsparse_complex_numIfEEEvi20rocsparse_direction_NS_24const_host_device_scalarIT2_EEPKiS8_PKS5_SA_S6_PS5_21rocsparse_index_base_b: ; @_ZN9rocsparseL19gebsrmvn_2xn_kernelILj128ELj11ELj32E21rocsparse_complex_numIfEEEvi20rocsparse_direction_NS_24const_host_device_scalarIT2_EEPKiS8_PKS5_SA_S6_PS5_21rocsparse_index_base_b
; %bb.0:
	s_load_dwordx2 s[0:1], s[4:5], 0x8
	s_load_dwordx2 s[8:9], s[4:5], 0x30
	;; [unrolled: 1-line block ×3, first 2 shown]
	s_add_u32 s7, s4, 8
	s_addc_u32 s10, s5, 0
	s_add_u32 s11, s4, 48
	s_addc_u32 s12, s5, 0
	s_waitcnt lgkmcnt(0)
	s_bitcmp1_b32 s3, 0
	s_cselect_b32 s1, s10, s1
	s_cselect_b32 s0, s7, s0
	v_mov_b32_e32 v1, s0
	v_mov_b32_e32 v2, s1
	flat_load_dwordx2 v[1:2], v[1:2]
	s_cselect_b32 s0, s12, s9
	s_cselect_b32 s1, s11, s8
	v_mov_b32_e32 v3, s1
	v_mov_b32_e32 v4, s0
	flat_load_dwordx2 v[3:4], v[3:4]
	s_waitcnt vmcnt(0) lgkmcnt(0)
	v_cmp_eq_f32_e32 vcc, 0, v1
	v_cmp_eq_f32_e64 s[0:1], 0, v2
	s_and_b64 s[10:11], vcc, s[0:1]
	s_mov_b64 s[0:1], -1
	s_and_saveexec_b64 s[8:9], s[10:11]
; %bb.1:
	v_cmp_neq_f32_e32 vcc, 1.0, v3
	v_cmp_neq_f32_e64 s[0:1], 0, v4
	s_or_b64 s[0:1], vcc, s[0:1]
	s_orn2_b64 s[0:1], s[0:1], exec
; %bb.2:
	s_or_b64 exec, exec, s[8:9]
	s_and_saveexec_b64 s[8:9], s[0:1]
	s_cbranch_execz .LBB200_21
; %bb.3:
	s_load_dwordx2 s[0:1], s[4:5], 0x0
	v_lshrrev_b32_e32 v5, 5, v0
	v_lshl_or_b32 v5, s6, 2, v5
	s_waitcnt lgkmcnt(0)
	v_cmp_gt_i32_e32 vcc, s0, v5
	s_and_b64 exec, exec, vcc
	s_cbranch_execz .LBB200_21
; %bb.4:
	s_load_dwordx8 s[8:15], s[4:5], 0x10
	v_ashrrev_i32_e32 v6, 31, v5
	v_lshlrev_b64 v[6:7], 2, v[5:6]
	v_and_b32_e32 v0, 31, v0
	s_cmp_lg_u32 s1, 0
	s_waitcnt lgkmcnt(0)
	v_mov_b32_e32 v8, s9
	v_add_co_u32_e32 v6, vcc, s8, v6
	v_addc_co_u32_e32 v7, vcc, v8, v7, vcc
	global_load_dwordx2 v[6:7], v[6:7], off
	s_waitcnt vmcnt(0)
	v_subrev_u32_e32 v6, s2, v6
	v_subrev_u32_e32 v16, s2, v7
	v_add_u32_e32 v6, v6, v0
	v_cmp_lt_i32_e64 s[0:1], v6, v16
	s_cbranch_scc0 .LBB200_10
; %bb.5:
	v_mov_b32_e32 v15, 0
	v_mov_b32_e32 v18, 0
	v_mov_b32_e32 v17, 0
	v_mov_b32_e32 v14, 0
	s_and_saveexec_b64 s[6:7], s[0:1]
	s_cbranch_execz .LBB200_9
; %bb.6:
	v_mad_u64_u32 v[7:8], s[8:9], v6, 22, 20
	v_mov_b32_e32 v10, 0
	s_mov_b64 s[8:9], 0
	v_mov_b32_e32 v13, s11
	v_mov_b32_e32 v19, s13
	v_mov_b32_e32 v20, s15
	v_mov_b32_e32 v11, v6
	v_mov_b32_e32 v15, 0
	v_mov_b32_e32 v18, 0
	v_mov_b32_e32 v17, 0
	v_mov_b32_e32 v14, 0
.LBB200_7:                              ; =>This Inner Loop Header: Depth=1
	v_ashrrev_i32_e32 v12, 31, v11
	v_lshlrev_b64 v[21:22], 2, v[11:12]
	v_subrev_u32_e32 v9, 20, v7
	v_lshlrev_b64 v[23:24], 3, v[9:10]
	v_add_co_u32_e32 v27, vcc, s10, v21
	v_addc_co_u32_e32 v28, vcc, v13, v22, vcc
	v_add_co_u32_e32 v31, vcc, s12, v23
	v_addc_co_u32_e32 v32, vcc, v19, v24, vcc
	global_load_dword v12, v[27:28], off
	global_load_dwordx4 v[21:24], v[31:32], off
	v_mov_b32_e32 v8, v10
	v_lshlrev_b64 v[25:26], 3, v[7:8]
	v_subrev_u32_e32 v9, 18, v7
	v_lshlrev_b64 v[8:9], 3, v[9:10]
	v_add_co_u32_e32 v33, vcc, s12, v25
	v_mov_b32_e32 v30, v10
	v_addc_co_u32_e32 v34, vcc, v19, v26, vcc
	v_add_co_u32_e32 v8, vcc, s12, v8
	v_addc_co_u32_e32 v9, vcc, v19, v9, vcc
	v_add_u32_e32 v11, 32, v11
	s_waitcnt vmcnt(1)
	v_subrev_u32_e32 v12, s2, v12
	v_mul_lo_u32 v29, v12, 11
	v_lshlrev_b64 v[25:26], 3, v[29:30]
	v_add_co_u32_e32 v30, vcc, s14, v25
	v_addc_co_u32_e32 v31, vcc, v20, v26, vcc
	global_load_dwordx4 v[25:28], v[33:34], off
	global_load_dwordx2 v[35:36], v[30:31], off
	s_waitcnt vmcnt(0)
	v_fmac_f32_e32 v18, v21, v35
	v_fmac_f32_e32 v15, v22, v35
	;; [unrolled: 1-line block ×4, first 2 shown]
	v_fma_f32 v12, -v22, v36, v18
	v_fmac_f32_e32 v15, v21, v36
	v_fma_f32 v32, -v24, v36, v17
	v_fmac_f32_e32 v14, v23, v36
	global_load_dwordx4 v[21:24], v[8:9], off
	v_add_u32_e32 v9, 1, v29
	v_lshlrev_b64 v[17:18], 3, v[9:10]
	v_add_u32_e32 v9, -16, v7
	v_add_co_u32_e32 v17, vcc, s14, v17
	v_addc_co_u32_e32 v18, vcc, v20, v18, vcc
	global_load_dwordx2 v[17:18], v[17:18], off
	v_lshlrev_b64 v[30:31], 3, v[9:10]
	v_add_u32_e32 v9, 2, v29
	v_add_co_u32_e32 v30, vcc, s12, v30
	v_addc_co_u32_e32 v31, vcc, v19, v31, vcc
	s_waitcnt vmcnt(0)
	v_fmac_f32_e32 v12, v21, v17
	v_fmac_f32_e32 v15, v22, v17
	v_fmac_f32_e32 v32, v23, v17
	v_fmac_f32_e32 v14, v24, v17
	v_fma_f32 v8, -v22, v18, v12
	v_fmac_f32_e32 v15, v21, v18
	v_fma_f32 v12, -v24, v18, v32
	v_fmac_f32_e32 v14, v23, v18
	v_lshlrev_b64 v[17:18], 3, v[9:10]
	v_add_u32_e32 v9, -14, v7
	v_add_co_u32_e32 v17, vcc, s14, v17
	v_addc_co_u32_e32 v18, vcc, v20, v18, vcc
	global_load_dwordx4 v[21:24], v[30:31], off
	global_load_dwordx2 v[34:35], v[17:18], off
	v_lshlrev_b64 v[32:33], 3, v[9:10]
	v_add_u32_e32 v9, 3, v29
	v_lshlrev_b64 v[17:18], 3, v[9:10]
	v_add_co_u32_e32 v30, vcc, s12, v32
	v_addc_co_u32_e32 v31, vcc, v19, v33, vcc
	v_add_co_u32_e32 v17, vcc, s14, v17
	v_addc_co_u32_e32 v18, vcc, v20, v18, vcc
	v_add_u32_e32 v9, -12, v7
	v_lshlrev_b64 v[32:33], 3, v[9:10]
	v_add_u32_e32 v9, 4, v29
	s_waitcnt vmcnt(0)
	v_fmac_f32_e32 v8, v21, v34
	v_fmac_f32_e32 v15, v22, v34
	v_fmac_f32_e32 v12, v23, v34
	v_fmac_f32_e32 v14, v24, v34
	v_fma_f32 v8, -v22, v35, v8
	v_fmac_f32_e32 v15, v21, v35
	v_fma_f32 v12, -v24, v35, v12
	v_fmac_f32_e32 v14, v23, v35
	global_load_dwordx4 v[21:24], v[30:31], off
	global_load_dwordx2 v[34:35], v[17:18], off
	v_lshlrev_b64 v[17:18], 3, v[9:10]
	v_add_co_u32_e32 v30, vcc, s12, v32
	v_addc_co_u32_e32 v31, vcc, v19, v33, vcc
	v_add_co_u32_e32 v17, vcc, s14, v17
	v_addc_co_u32_e32 v18, vcc, v20, v18, vcc
	v_add_u32_e32 v9, -10, v7
	v_lshlrev_b64 v[32:33], 3, v[9:10]
	v_add_u32_e32 v9, 5, v29
	s_waitcnt vmcnt(0)
	v_fmac_f32_e32 v8, v21, v34
	v_fmac_f32_e32 v15, v22, v34
	v_fmac_f32_e32 v12, v23, v34
	v_fmac_f32_e32 v14, v24, v34
	v_fma_f32 v8, -v22, v35, v8
	v_fmac_f32_e32 v15, v21, v35
	v_fma_f32 v12, -v24, v35, v12
	v_fmac_f32_e32 v14, v23, v35
	global_load_dwordx4 v[21:24], v[30:31], off
	global_load_dwordx2 v[34:35], v[17:18], off
	;; [unrolled: 19-line block ×5, first 2 shown]
	v_lshlrev_b64 v[17:18], 3, v[9:10]
	v_add_co_u32_e32 v30, vcc, s12, v32
	v_add_u32_e32 v9, -2, v7
	v_addc_co_u32_e32 v31, vcc, v19, v33, vcc
	v_add_co_u32_e32 v17, vcc, s14, v17
	v_addc_co_u32_e32 v18, vcc, v20, v18, vcc
	v_add_u32_e32 v7, 0x2c0, v7
	s_waitcnt vmcnt(0)
	v_fmac_f32_e32 v8, v21, v34
	v_fmac_f32_e32 v15, v22, v34
	v_fma_f32 v8, -v22, v35, v8
	v_fmac_f32_e32 v15, v21, v35
	v_lshlrev_b64 v[21:22], 3, v[9:10]
	v_fmac_f32_e32 v12, v23, v34
	v_fmac_f32_e32 v14, v24, v34
	v_add_co_u32_e32 v34, vcc, s12, v21
	v_fma_f32 v12, -v24, v35, v12
	v_fmac_f32_e32 v14, v23, v35
	v_addc_co_u32_e32 v35, vcc, v19, v22, vcc
	global_load_dwordx4 v[21:24], v[30:31], off
	global_load_dwordx2 v[36:37], v[17:18], off
	v_add_u32_e32 v9, 9, v29
	v_lshlrev_b64 v[32:33], 3, v[9:10]
	v_add_u32_e32 v9, 10, v29
	v_add_co_u32_e32 v17, vcc, s14, v32
	v_addc_co_u32_e32 v18, vcc, v20, v33, vcc
	s_waitcnt vmcnt(0)
	v_fmac_f32_e32 v8, v21, v36
	v_fma_f32 v31, -v22, v37, v8
	v_lshlrev_b64 v[8:9], 3, v[9:10]
	v_fmac_f32_e32 v15, v22, v36
	v_fmac_f32_e32 v12, v23, v36
	;; [unrolled: 1-line block ×4, first 2 shown]
	v_fma_f32 v12, -v24, v37, v12
	v_fmac_f32_e32 v14, v23, v37
	global_load_dwordx4 v[21:24], v[34:35], off
	global_load_dwordx2 v[29:30], v[17:18], off
	v_add_co_u32_e32 v8, vcc, s14, v8
	v_addc_co_u32_e32 v9, vcc, v20, v9, vcc
	global_load_dwordx2 v[8:9], v[8:9], off
	v_cmp_ge_i32_e32 vcc, v11, v16
	s_or_b64 s[8:9], vcc, s[8:9]
	s_waitcnt vmcnt(1)
	v_fmac_f32_e32 v31, v21, v29
	v_fmac_f32_e32 v15, v22, v29
	;; [unrolled: 1-line block ×4, first 2 shown]
	v_fma_f32 v17, -v22, v30, v31
	v_fmac_f32_e32 v15, v21, v30
	v_fma_f32 v12, -v24, v30, v12
	v_fmac_f32_e32 v14, v23, v30
	s_waitcnt vmcnt(0)
	v_fmac_f32_e32 v17, v25, v8
	v_fmac_f32_e32 v15, v26, v8
	;; [unrolled: 1-line block ×4, first 2 shown]
	v_fma_f32 v18, -v26, v9, v17
	v_fmac_f32_e32 v15, v25, v9
	v_fma_f32 v17, -v28, v9, v12
	v_fmac_f32_e32 v14, v27, v9
	s_andn2_b64 exec, exec, s[8:9]
	s_cbranch_execnz .LBB200_7
; %bb.8:
	s_or_b64 exec, exec, s[8:9]
.LBB200_9:
	s_or_b64 exec, exec, s[6:7]
	s_cbranch_execz .LBB200_11
	s_branch .LBB200_16
.LBB200_10:
                                        ; implicit-def: $vgpr15
                                        ; implicit-def: $vgpr18
                                        ; implicit-def: $vgpr17
                                        ; implicit-def: $vgpr14
.LBB200_11:
	v_mov_b32_e32 v15, 0
	v_mov_b32_e32 v18, 0
	;; [unrolled: 1-line block ×4, first 2 shown]
	s_and_saveexec_b64 s[6:7], s[0:1]
	s_cbranch_execz .LBB200_15
; %bb.12:
	v_mad_u64_u32 v[8:9], s[0:1], v6, 22, 21
	v_mov_b32_e32 v11, 0
	s_mov_b64 s[0:1], 0
	v_mov_b32_e32 v19, s11
	v_mov_b32_e32 v20, s13
	;; [unrolled: 1-line block ×7, first 2 shown]
.LBB200_13:                             ; =>This Inner Loop Header: Depth=1
	v_ashrrev_i32_e32 v7, 31, v6
	v_lshlrev_b64 v[22:23], 2, v[6:7]
	v_subrev_u32_e32 v10, 21, v8
	v_add_co_u32_e32 v22, vcc, s10, v22
	v_addc_co_u32_e32 v23, vcc, v19, v23, vcc
	global_load_dword v7, v[22:23], off
	v_lshlrev_b64 v[24:25], 3, v[10:11]
	v_add_u32_e32 v12, -10, v8
	v_mov_b32_e32 v13, v11
	v_lshlrev_b64 v[12:13], 3, v[12:13]
	v_add_co_u32_e32 v24, vcc, s12, v24
	v_mov_b32_e32 v9, v11
	v_addc_co_u32_e32 v25, vcc, v20, v25, vcc
	v_lshlrev_b64 v[9:10], 3, v[8:9]
	v_add_co_u32_e32 v12, vcc, s12, v12
	v_addc_co_u32_e32 v13, vcc, v20, v13, vcc
	v_add_co_u32_e32 v26, vcc, s12, v9
	v_addc_co_u32_e32 v27, vcc, v20, v10, vcc
	v_mov_b32_e32 v10, v11
	v_add_u32_e32 v6, 32, v6
	s_waitcnt vmcnt(0)
	v_subrev_u32_e32 v7, s2, v7
	v_mul_lo_u32 v9, v7, 11
	v_lshlrev_b64 v[22:23], 3, v[9:10]
	v_add_u32_e32 v10, 1, v9
	v_add_co_u32_e32 v22, vcc, s14, v22
	v_lshlrev_b64 v[28:29], 3, v[10:11]
	v_addc_co_u32_e32 v23, vcc, v21, v23, vcc
	v_add_co_u32_e32 v28, vcc, s14, v28
	global_load_dwordx2 v[30:31], v[12:13], off
	global_load_dwordx2 v[32:33], v[22:23], off
	v_addc_co_u32_e32 v29, vcc, v21, v29, vcc
	global_load_dwordx4 v[22:25], v[24:25], off
	v_add_u32_e32 v10, -9, v8
	global_load_dwordx2 v[12:13], v[28:29], off
	s_waitcnt vmcnt(2)
	v_fmac_f32_e32 v17, v30, v32
	v_fma_f32 v7, -v31, v33, v17
	v_fmac_f32_e32 v14, v31, v32
	s_waitcnt vmcnt(1)
	v_fmac_f32_e32 v18, v22, v32
	v_fma_f32 v17, -v23, v33, v18
	s_waitcnt vmcnt(0)
	v_fmac_f32_e32 v17, v24, v12
	v_fmac_f32_e32 v14, v30, v33
	v_fma_f32 v30, -v25, v13, v17
	v_lshlrev_b64 v[17:18], 3, v[10:11]
	v_fmac_f32_e32 v15, v23, v32
	v_subrev_u32_e32 v10, 19, v8
	v_fmac_f32_e32 v15, v22, v33
	v_add_co_u32_e32 v17, vcc, s12, v17
	v_lshlrev_b64 v[22:23], 3, v[10:11]
	v_addc_co_u32_e32 v18, vcc, v20, v18, vcc
	v_fmac_f32_e32 v15, v25, v12
	v_add_co_u32_e32 v22, vcc, s12, v22
	v_fmac_f32_e32 v15, v24, v13
	v_addc_co_u32_e32 v23, vcc, v20, v23, vcc
	global_load_dwordx2 v[24:25], v[17:18], off
	global_load_dwordx2 v[28:29], v[22:23], off
	v_add_u32_e32 v10, 2, v9
	s_waitcnt vmcnt(1)
	v_fmac_f32_e32 v7, v24, v12
	v_fmac_f32_e32 v14, v25, v12
	v_fma_f32 v7, -v25, v13, v7
	v_fmac_f32_e32 v14, v24, v13
	v_lshlrev_b64 v[12:13], 3, v[10:11]
	v_add_u32_e32 v10, -8, v8
	v_add_co_u32_e32 v12, vcc, s14, v12
	v_addc_co_u32_e32 v13, vcc, v21, v13, vcc
	global_load_dwordx2 v[12:13], v[12:13], off
	v_lshlrev_b64 v[17:18], 3, v[10:11]
	v_subrev_u32_e32 v10, 18, v8
	v_add_co_u32_e32 v17, vcc, s12, v17
	v_lshlrev_b64 v[22:23], 3, v[10:11]
	v_addc_co_u32_e32 v18, vcc, v20, v18, vcc
	v_add_co_u32_e32 v22, vcc, s12, v22
	v_addc_co_u32_e32 v23, vcc, v20, v23, vcc
	v_add_u32_e32 v10, 3, v9
	s_waitcnt vmcnt(0)
	v_fmac_f32_e32 v30, v28, v12
	v_fmac_f32_e32 v15, v29, v12
	v_fma_f32 v30, -v29, v13, v30
	v_fmac_f32_e32 v15, v28, v13
	global_load_dwordx2 v[24:25], v[17:18], off
	global_load_dwordx2 v[28:29], v[22:23], off
	s_waitcnt vmcnt(1)
	v_fmac_f32_e32 v7, v24, v12
	v_fmac_f32_e32 v14, v25, v12
	v_fma_f32 v7, -v25, v13, v7
	v_fmac_f32_e32 v14, v24, v13
	v_lshlrev_b64 v[12:13], 3, v[10:11]
	v_add_u32_e32 v10, -7, v8
	v_add_co_u32_e32 v12, vcc, s14, v12
	v_addc_co_u32_e32 v13, vcc, v21, v13, vcc
	global_load_dwordx2 v[12:13], v[12:13], off
	v_lshlrev_b64 v[17:18], 3, v[10:11]
	v_subrev_u32_e32 v10, 17, v8
	v_add_co_u32_e32 v17, vcc, s12, v17
	v_lshlrev_b64 v[22:23], 3, v[10:11]
	v_addc_co_u32_e32 v18, vcc, v20, v18, vcc
	v_add_co_u32_e32 v22, vcc, s12, v22
	v_addc_co_u32_e32 v23, vcc, v20, v23, vcc
	v_add_u32_e32 v10, 4, v9
	s_waitcnt vmcnt(0)
	v_fmac_f32_e32 v30, v28, v12
	v_fmac_f32_e32 v15, v29, v12
	v_fma_f32 v30, -v29, v13, v30
	v_fmac_f32_e32 v15, v28, v13
	global_load_dwordx2 v[24:25], v[17:18], off
	global_load_dwordx2 v[28:29], v[22:23], off
	s_waitcnt vmcnt(1)
	v_fmac_f32_e32 v7, v24, v12
	v_fmac_f32_e32 v14, v25, v12
	v_fma_f32 v7, -v25, v13, v7
	v_fmac_f32_e32 v14, v24, v13
	v_lshlrev_b64 v[12:13], 3, v[10:11]
	v_add_u32_e32 v10, -6, v8
	v_add_co_u32_e32 v12, vcc, s14, v12
	v_addc_co_u32_e32 v13, vcc, v21, v13, vcc
	global_load_dwordx2 v[12:13], v[12:13], off
	v_lshlrev_b64 v[17:18], 3, v[10:11]
	v_add_u32_e32 v10, -16, v8
	v_add_co_u32_e32 v17, vcc, s12, v17
	v_lshlrev_b64 v[22:23], 3, v[10:11]
	v_addc_co_u32_e32 v18, vcc, v20, v18, vcc
	v_add_co_u32_e32 v22, vcc, s12, v22
	v_addc_co_u32_e32 v23, vcc, v20, v23, vcc
	v_add_u32_e32 v10, 5, v9
	s_waitcnt vmcnt(0)
	v_fmac_f32_e32 v30, v28, v12
	v_fmac_f32_e32 v15, v29, v12
	v_fma_f32 v30, -v29, v13, v30
	v_fmac_f32_e32 v15, v28, v13
	global_load_dwordx2 v[24:25], v[17:18], off
	global_load_dwordx2 v[28:29], v[22:23], off
	s_waitcnt vmcnt(1)
	v_fmac_f32_e32 v7, v24, v12
	v_fmac_f32_e32 v14, v25, v12
	v_fma_f32 v7, -v25, v13, v7
	v_fmac_f32_e32 v14, v24, v13
	v_lshlrev_b64 v[12:13], 3, v[10:11]
	v_add_u32_e32 v10, -5, v8
	v_add_co_u32_e32 v12, vcc, s14, v12
	v_addc_co_u32_e32 v13, vcc, v21, v13, vcc
	global_load_dwordx2 v[12:13], v[12:13], off
	v_lshlrev_b64 v[17:18], 3, v[10:11]
	v_add_u32_e32 v10, -15, v8
	;; [unrolled: 25-line block ×6, first 2 shown]
	v_lshlrev_b64 v[22:23], 3, v[10:11]
	v_add_co_u32_e32 v17, vcc, s12, v17
	v_add_u32_e32 v10, 10, v9
	v_addc_co_u32_e32 v18, vcc, v20, v18, vcc
	v_add_co_u32_e32 v22, vcc, s12, v22
	v_lshlrev_b64 v[9:10], 3, v[10:11]
	v_addc_co_u32_e32 v23, vcc, v20, v23, vcc
	v_add_co_u32_e32 v9, vcc, s14, v9
	v_addc_co_u32_e32 v10, vcc, v21, v10, vcc
	v_cmp_ge_i32_e32 vcc, v6, v16
	s_or_b64 s[0:1], vcc, s[0:1]
	v_add_u32_e32 v8, 0x2c0, v8
	s_waitcnt vmcnt(0)
	v_fmac_f32_e32 v30, v28, v12
	v_fmac_f32_e32 v15, v29, v12
	v_fma_f32 v34, -v29, v13, v30
	v_fmac_f32_e32 v15, v28, v13
	global_load_dwordx2 v[24:25], v[26:27], off
	global_load_dwordx2 v[28:29], v[17:18], off
	;; [unrolled: 1-line block ×4, first 2 shown]
	s_waitcnt vmcnt(2)
	v_fmac_f32_e32 v7, v28, v12
	v_fmac_f32_e32 v14, v29, v12
	v_fma_f32 v7, -v29, v13, v7
	v_fmac_f32_e32 v14, v28, v13
	s_waitcnt vmcnt(0)
	v_fmac_f32_e32 v34, v30, v32
	v_fmac_f32_e32 v15, v31, v32
	;; [unrolled: 1-line block ×4, first 2 shown]
	v_fma_f32 v18, -v31, v33, v34
	v_fmac_f32_e32 v15, v30, v33
	v_fma_f32 v17, -v25, v33, v7
	v_fmac_f32_e32 v14, v24, v33
	s_andn2_b64 exec, exec, s[0:1]
	s_cbranch_execnz .LBB200_13
; %bb.14:
	s_or_b64 exec, exec, s[0:1]
.LBB200_15:
	s_or_b64 exec, exec, s[6:7]
.LBB200_16:
	v_mov_b32_dpp v6, v18 row_shr:1 row_mask:0xf bank_mask:0xf
	v_mov_b32_dpp v8, v15 row_shr:1 row_mask:0xf bank_mask:0xf
	v_mov_b32_dpp v10, v17 row_shr:1 row_mask:0xf bank_mask:0xf
	v_mov_b32_dpp v12, v14 row_shr:1 row_mask:0xf bank_mask:0xf
	v_add_f32_e32 v6, v18, v6
	v_add_f32_e32 v8, v15, v8
	v_add_f32_e32 v10, v17, v10
	v_add_f32_e32 v12, v14, v12
	v_mov_b32_dpp v7, v6 row_shr:2 row_mask:0xf bank_mask:0xf
	v_mov_b32_dpp v9, v8 row_shr:2 row_mask:0xf bank_mask:0xf
	v_mov_b32_dpp v11, v10 row_shr:2 row_mask:0xf bank_mask:0xf
	v_mov_b32_dpp v13, v12 row_shr:2 row_mask:0xf bank_mask:0xf
	v_add_f32_e32 v6, v6, v7
	v_add_f32_e32 v8, v8, v9
	v_add_f32_e32 v10, v10, v11
	v_add_f32_e32 v12, v12, v13
	;; [unrolled: 8-line block ×4, first 2 shown]
	v_mov_b32_dpp v7, v6 row_bcast:15 row_mask:0xa bank_mask:0xf
	v_mov_b32_dpp v9, v8 row_bcast:15 row_mask:0xa bank_mask:0xf
	;; [unrolled: 1-line block ×4, first 2 shown]
	v_cmp_eq_u32_e32 vcc, 31, v0
	s_and_b64 exec, exec, vcc
	s_cbranch_execz .LBB200_21
; %bb.17:
	s_load_dwordx2 s[2:3], s[4:5], 0x38
	v_cmp_eq_f32_e32 vcc, 0, v3
	v_cmp_eq_f32_e64 s[0:1], 0, v4
	v_add_f32_e32 v7, v6, v7
	v_add_f32_e32 v8, v8, v9
	;; [unrolled: 1-line block ×4, first 2 shown]
	s_and_b64 s[0:1], vcc, s[0:1]
	s_and_saveexec_b64 s[4:5], s[0:1]
	s_xor_b64 s[0:1], exec, s[4:5]
	s_cbranch_execz .LBB200_19
; %bb.18:
	v_mul_f32_e64 v3, v8, -v2
	v_mul_f32_e32 v4, v1, v8
	v_fmac_f32_e32 v3, v1, v7
	v_fmac_f32_e32 v4, v2, v7
	v_lshlrev_b32_e32 v7, 1, v5
	v_ashrrev_i32_e32 v8, 31, v7
	v_lshlrev_b64 v[7:8], 3, v[7:8]
	s_waitcnt lgkmcnt(0)
	v_mov_b32_e32 v5, s3
	v_add_co_u32_e32 v7, vcc, s2, v7
	v_addc_co_u32_e32 v8, vcc, v5, v8, vcc
	v_mul_f32_e64 v5, v6, -v2
	v_mul_f32_e32 v6, v1, v6
	v_fmac_f32_e32 v5, v1, v0
	v_fmac_f32_e32 v6, v2, v0
	global_store_dwordx4 v[7:8], v[3:6], off
                                        ; implicit-def: $vgpr5
                                        ; implicit-def: $vgpr1_vgpr2
                                        ; implicit-def: $vgpr8
                                        ; implicit-def: $vgpr7
                                        ; implicit-def: $vgpr3_vgpr4
                                        ; implicit-def: $vgpr6
                                        ; implicit-def: $vgpr0
.LBB200_19:
	s_andn2_saveexec_b64 s[0:1], s[0:1]
	s_cbranch_execz .LBB200_21
; %bb.20:
	v_lshlrev_b32_e32 v9, 1, v5
	v_ashrrev_i32_e32 v10, 31, v9
	v_lshlrev_b64 v[9:10], 3, v[9:10]
	s_waitcnt lgkmcnt(0)
	v_mov_b32_e32 v5, s3
	v_add_co_u32_e32 v17, vcc, s2, v9
	v_addc_co_u32_e32 v18, vcc, v5, v10, vcc
	global_load_dwordx4 v[9:12], v[17:18], off
	v_mul_f32_e64 v5, v8, -v2
	v_mul_f32_e32 v14, v1, v8
	v_mul_f32_e64 v8, v6, -v2
	v_mul_f32_e32 v16, v1, v6
	v_fmac_f32_e32 v5, v1, v7
	v_fmac_f32_e32 v14, v2, v7
	v_fmac_f32_e32 v8, v1, v0
	v_fmac_f32_e32 v16, v2, v0
	s_waitcnt vmcnt(0)
	v_fmac_f32_e32 v5, v3, v9
	v_fmac_f32_e32 v14, v4, v9
	;; [unrolled: 1-line block ×4, first 2 shown]
	v_fma_f32 v13, -v4, v10, v5
	v_fmac_f32_e32 v14, v3, v10
	v_fma_f32 v15, -v4, v12, v8
	v_fmac_f32_e32 v16, v3, v12
	global_store_dwordx4 v[17:18], v[13:16], off
.LBB200_21:
	s_endpgm
	.section	.rodata,"a",@progbits
	.p2align	6, 0x0
	.amdhsa_kernel _ZN9rocsparseL19gebsrmvn_2xn_kernelILj128ELj11ELj32E21rocsparse_complex_numIfEEEvi20rocsparse_direction_NS_24const_host_device_scalarIT2_EEPKiS8_PKS5_SA_S6_PS5_21rocsparse_index_base_b
		.amdhsa_group_segment_fixed_size 0
		.amdhsa_private_segment_fixed_size 0
		.amdhsa_kernarg_size 72
		.amdhsa_user_sgpr_count 6
		.amdhsa_user_sgpr_private_segment_buffer 1
		.amdhsa_user_sgpr_dispatch_ptr 0
		.amdhsa_user_sgpr_queue_ptr 0
		.amdhsa_user_sgpr_kernarg_segment_ptr 1
		.amdhsa_user_sgpr_dispatch_id 0
		.amdhsa_user_sgpr_flat_scratch_init 0
		.amdhsa_user_sgpr_private_segment_size 0
		.amdhsa_uses_dynamic_stack 0
		.amdhsa_system_sgpr_private_segment_wavefront_offset 0
		.amdhsa_system_sgpr_workgroup_id_x 1
		.amdhsa_system_sgpr_workgroup_id_y 0
		.amdhsa_system_sgpr_workgroup_id_z 0
		.amdhsa_system_sgpr_workgroup_info 0
		.amdhsa_system_vgpr_workitem_id 0
		.amdhsa_next_free_vgpr 38
		.amdhsa_next_free_sgpr 16
		.amdhsa_reserve_vcc 1
		.amdhsa_reserve_flat_scratch 0
		.amdhsa_float_round_mode_32 0
		.amdhsa_float_round_mode_16_64 0
		.amdhsa_float_denorm_mode_32 3
		.amdhsa_float_denorm_mode_16_64 3
		.amdhsa_dx10_clamp 1
		.amdhsa_ieee_mode 1
		.amdhsa_fp16_overflow 0
		.amdhsa_exception_fp_ieee_invalid_op 0
		.amdhsa_exception_fp_denorm_src 0
		.amdhsa_exception_fp_ieee_div_zero 0
		.amdhsa_exception_fp_ieee_overflow 0
		.amdhsa_exception_fp_ieee_underflow 0
		.amdhsa_exception_fp_ieee_inexact 0
		.amdhsa_exception_int_div_zero 0
	.end_amdhsa_kernel
	.section	.text._ZN9rocsparseL19gebsrmvn_2xn_kernelILj128ELj11ELj32E21rocsparse_complex_numIfEEEvi20rocsparse_direction_NS_24const_host_device_scalarIT2_EEPKiS8_PKS5_SA_S6_PS5_21rocsparse_index_base_b,"axG",@progbits,_ZN9rocsparseL19gebsrmvn_2xn_kernelILj128ELj11ELj32E21rocsparse_complex_numIfEEEvi20rocsparse_direction_NS_24const_host_device_scalarIT2_EEPKiS8_PKS5_SA_S6_PS5_21rocsparse_index_base_b,comdat
.Lfunc_end200:
	.size	_ZN9rocsparseL19gebsrmvn_2xn_kernelILj128ELj11ELj32E21rocsparse_complex_numIfEEEvi20rocsparse_direction_NS_24const_host_device_scalarIT2_EEPKiS8_PKS5_SA_S6_PS5_21rocsparse_index_base_b, .Lfunc_end200-_ZN9rocsparseL19gebsrmvn_2xn_kernelILj128ELj11ELj32E21rocsparse_complex_numIfEEEvi20rocsparse_direction_NS_24const_host_device_scalarIT2_EEPKiS8_PKS5_SA_S6_PS5_21rocsparse_index_base_b
                                        ; -- End function
	.set _ZN9rocsparseL19gebsrmvn_2xn_kernelILj128ELj11ELj32E21rocsparse_complex_numIfEEEvi20rocsparse_direction_NS_24const_host_device_scalarIT2_EEPKiS8_PKS5_SA_S6_PS5_21rocsparse_index_base_b.num_vgpr, 38
	.set _ZN9rocsparseL19gebsrmvn_2xn_kernelILj128ELj11ELj32E21rocsparse_complex_numIfEEEvi20rocsparse_direction_NS_24const_host_device_scalarIT2_EEPKiS8_PKS5_SA_S6_PS5_21rocsparse_index_base_b.num_agpr, 0
	.set _ZN9rocsparseL19gebsrmvn_2xn_kernelILj128ELj11ELj32E21rocsparse_complex_numIfEEEvi20rocsparse_direction_NS_24const_host_device_scalarIT2_EEPKiS8_PKS5_SA_S6_PS5_21rocsparse_index_base_b.numbered_sgpr, 16
	.set _ZN9rocsparseL19gebsrmvn_2xn_kernelILj128ELj11ELj32E21rocsparse_complex_numIfEEEvi20rocsparse_direction_NS_24const_host_device_scalarIT2_EEPKiS8_PKS5_SA_S6_PS5_21rocsparse_index_base_b.num_named_barrier, 0
	.set _ZN9rocsparseL19gebsrmvn_2xn_kernelILj128ELj11ELj32E21rocsparse_complex_numIfEEEvi20rocsparse_direction_NS_24const_host_device_scalarIT2_EEPKiS8_PKS5_SA_S6_PS5_21rocsparse_index_base_b.private_seg_size, 0
	.set _ZN9rocsparseL19gebsrmvn_2xn_kernelILj128ELj11ELj32E21rocsparse_complex_numIfEEEvi20rocsparse_direction_NS_24const_host_device_scalarIT2_EEPKiS8_PKS5_SA_S6_PS5_21rocsparse_index_base_b.uses_vcc, 1
	.set _ZN9rocsparseL19gebsrmvn_2xn_kernelILj128ELj11ELj32E21rocsparse_complex_numIfEEEvi20rocsparse_direction_NS_24const_host_device_scalarIT2_EEPKiS8_PKS5_SA_S6_PS5_21rocsparse_index_base_b.uses_flat_scratch, 0
	.set _ZN9rocsparseL19gebsrmvn_2xn_kernelILj128ELj11ELj32E21rocsparse_complex_numIfEEEvi20rocsparse_direction_NS_24const_host_device_scalarIT2_EEPKiS8_PKS5_SA_S6_PS5_21rocsparse_index_base_b.has_dyn_sized_stack, 0
	.set _ZN9rocsparseL19gebsrmvn_2xn_kernelILj128ELj11ELj32E21rocsparse_complex_numIfEEEvi20rocsparse_direction_NS_24const_host_device_scalarIT2_EEPKiS8_PKS5_SA_S6_PS5_21rocsparse_index_base_b.has_recursion, 0
	.set _ZN9rocsparseL19gebsrmvn_2xn_kernelILj128ELj11ELj32E21rocsparse_complex_numIfEEEvi20rocsparse_direction_NS_24const_host_device_scalarIT2_EEPKiS8_PKS5_SA_S6_PS5_21rocsparse_index_base_b.has_indirect_call, 0
	.section	.AMDGPU.csdata,"",@progbits
; Kernel info:
; codeLenInByte = 3616
; TotalNumSgprs: 20
; NumVgprs: 38
; ScratchSize: 0
; MemoryBound: 0
; FloatMode: 240
; IeeeMode: 1
; LDSByteSize: 0 bytes/workgroup (compile time only)
; SGPRBlocks: 2
; VGPRBlocks: 9
; NumSGPRsForWavesPerEU: 20
; NumVGPRsForWavesPerEU: 38
; Occupancy: 6
; WaveLimiterHint : 1
; COMPUTE_PGM_RSRC2:SCRATCH_EN: 0
; COMPUTE_PGM_RSRC2:USER_SGPR: 6
; COMPUTE_PGM_RSRC2:TRAP_HANDLER: 0
; COMPUTE_PGM_RSRC2:TGID_X_EN: 1
; COMPUTE_PGM_RSRC2:TGID_Y_EN: 0
; COMPUTE_PGM_RSRC2:TGID_Z_EN: 0
; COMPUTE_PGM_RSRC2:TIDIG_COMP_CNT: 0
	.section	.text._ZN9rocsparseL19gebsrmvn_2xn_kernelILj128ELj11ELj64E21rocsparse_complex_numIfEEEvi20rocsparse_direction_NS_24const_host_device_scalarIT2_EEPKiS8_PKS5_SA_S6_PS5_21rocsparse_index_base_b,"axG",@progbits,_ZN9rocsparseL19gebsrmvn_2xn_kernelILj128ELj11ELj64E21rocsparse_complex_numIfEEEvi20rocsparse_direction_NS_24const_host_device_scalarIT2_EEPKiS8_PKS5_SA_S6_PS5_21rocsparse_index_base_b,comdat
	.globl	_ZN9rocsparseL19gebsrmvn_2xn_kernelILj128ELj11ELj64E21rocsparse_complex_numIfEEEvi20rocsparse_direction_NS_24const_host_device_scalarIT2_EEPKiS8_PKS5_SA_S6_PS5_21rocsparse_index_base_b ; -- Begin function _ZN9rocsparseL19gebsrmvn_2xn_kernelILj128ELj11ELj64E21rocsparse_complex_numIfEEEvi20rocsparse_direction_NS_24const_host_device_scalarIT2_EEPKiS8_PKS5_SA_S6_PS5_21rocsparse_index_base_b
	.p2align	8
	.type	_ZN9rocsparseL19gebsrmvn_2xn_kernelILj128ELj11ELj64E21rocsparse_complex_numIfEEEvi20rocsparse_direction_NS_24const_host_device_scalarIT2_EEPKiS8_PKS5_SA_S6_PS5_21rocsparse_index_base_b,@function
_ZN9rocsparseL19gebsrmvn_2xn_kernelILj128ELj11ELj64E21rocsparse_complex_numIfEEEvi20rocsparse_direction_NS_24const_host_device_scalarIT2_EEPKiS8_PKS5_SA_S6_PS5_21rocsparse_index_base_b: ; @_ZN9rocsparseL19gebsrmvn_2xn_kernelILj128ELj11ELj64E21rocsparse_complex_numIfEEEvi20rocsparse_direction_NS_24const_host_device_scalarIT2_EEPKiS8_PKS5_SA_S6_PS5_21rocsparse_index_base_b
; %bb.0:
	s_load_dwordx2 s[0:1], s[4:5], 0x8
	s_load_dwordx2 s[8:9], s[4:5], 0x30
	;; [unrolled: 1-line block ×3, first 2 shown]
	s_add_u32 s7, s4, 8
	s_addc_u32 s10, s5, 0
	s_add_u32 s11, s4, 48
	s_addc_u32 s12, s5, 0
	s_waitcnt lgkmcnt(0)
	s_bitcmp1_b32 s3, 0
	s_cselect_b32 s1, s10, s1
	s_cselect_b32 s0, s7, s0
	v_mov_b32_e32 v1, s0
	v_mov_b32_e32 v2, s1
	flat_load_dwordx2 v[1:2], v[1:2]
	s_cselect_b32 s0, s12, s9
	s_cselect_b32 s1, s11, s8
	v_mov_b32_e32 v3, s1
	v_mov_b32_e32 v4, s0
	flat_load_dwordx2 v[3:4], v[3:4]
	s_waitcnt vmcnt(0) lgkmcnt(0)
	v_cmp_eq_f32_e32 vcc, 0, v1
	v_cmp_eq_f32_e64 s[0:1], 0, v2
	s_and_b64 s[10:11], vcc, s[0:1]
	s_mov_b64 s[0:1], -1
	s_and_saveexec_b64 s[8:9], s[10:11]
; %bb.1:
	v_cmp_neq_f32_e32 vcc, 1.0, v3
	v_cmp_neq_f32_e64 s[0:1], 0, v4
	s_or_b64 s[0:1], vcc, s[0:1]
	s_orn2_b64 s[0:1], s[0:1], exec
; %bb.2:
	s_or_b64 exec, exec, s[8:9]
	s_and_saveexec_b64 s[8:9], s[0:1]
	s_cbranch_execz .LBB201_21
; %bb.3:
	s_load_dwordx2 s[0:1], s[4:5], 0x0
	v_lshrrev_b32_e32 v5, 6, v0
	v_lshl_or_b32 v5, s6, 1, v5
	s_waitcnt lgkmcnt(0)
	v_cmp_gt_i32_e32 vcc, s0, v5
	s_and_b64 exec, exec, vcc
	s_cbranch_execz .LBB201_21
; %bb.4:
	s_load_dwordx8 s[8:15], s[4:5], 0x10
	v_ashrrev_i32_e32 v6, 31, v5
	v_lshlrev_b64 v[6:7], 2, v[5:6]
	v_and_b32_e32 v0, 63, v0
	s_cmp_lg_u32 s1, 0
	s_waitcnt lgkmcnt(0)
	v_mov_b32_e32 v8, s9
	v_add_co_u32_e32 v6, vcc, s8, v6
	v_addc_co_u32_e32 v7, vcc, v8, v7, vcc
	global_load_dwordx2 v[6:7], v[6:7], off
	s_waitcnt vmcnt(0)
	v_subrev_u32_e32 v6, s2, v6
	v_subrev_u32_e32 v16, s2, v7
	v_add_u32_e32 v6, v6, v0
	v_cmp_lt_i32_e64 s[0:1], v6, v16
	s_cbranch_scc0 .LBB201_10
; %bb.5:
	v_mov_b32_e32 v15, 0
	v_mov_b32_e32 v18, 0
	;; [unrolled: 1-line block ×4, first 2 shown]
	s_and_saveexec_b64 s[6:7], s[0:1]
	s_cbranch_execz .LBB201_9
; %bb.6:
	v_mad_u64_u32 v[7:8], s[8:9], v6, 22, 20
	v_mov_b32_e32 v10, 0
	s_mov_b64 s[8:9], 0
	v_mov_b32_e32 v13, s11
	v_mov_b32_e32 v19, s13
	v_mov_b32_e32 v20, s15
	v_mov_b32_e32 v11, v6
	v_mov_b32_e32 v15, 0
	v_mov_b32_e32 v18, 0
	v_mov_b32_e32 v17, 0
	v_mov_b32_e32 v14, 0
.LBB201_7:                              ; =>This Inner Loop Header: Depth=1
	v_ashrrev_i32_e32 v12, 31, v11
	v_lshlrev_b64 v[21:22], 2, v[11:12]
	v_subrev_u32_e32 v9, 20, v7
	v_lshlrev_b64 v[23:24], 3, v[9:10]
	v_add_co_u32_e32 v27, vcc, s10, v21
	v_addc_co_u32_e32 v28, vcc, v13, v22, vcc
	v_add_co_u32_e32 v31, vcc, s12, v23
	v_addc_co_u32_e32 v32, vcc, v19, v24, vcc
	global_load_dword v12, v[27:28], off
	global_load_dwordx4 v[21:24], v[31:32], off
	v_mov_b32_e32 v8, v10
	v_lshlrev_b64 v[25:26], 3, v[7:8]
	v_subrev_u32_e32 v9, 18, v7
	v_lshlrev_b64 v[8:9], 3, v[9:10]
	v_add_co_u32_e32 v33, vcc, s12, v25
	v_mov_b32_e32 v30, v10
	v_addc_co_u32_e32 v34, vcc, v19, v26, vcc
	v_add_co_u32_e32 v8, vcc, s12, v8
	v_addc_co_u32_e32 v9, vcc, v19, v9, vcc
	v_add_u32_e32 v11, 64, v11
	s_waitcnt vmcnt(1)
	v_subrev_u32_e32 v12, s2, v12
	v_mul_lo_u32 v29, v12, 11
	v_lshlrev_b64 v[25:26], 3, v[29:30]
	v_add_co_u32_e32 v30, vcc, s14, v25
	v_addc_co_u32_e32 v31, vcc, v20, v26, vcc
	global_load_dwordx4 v[25:28], v[33:34], off
	global_load_dwordx2 v[35:36], v[30:31], off
	s_waitcnt vmcnt(0)
	v_fmac_f32_e32 v18, v21, v35
	v_fmac_f32_e32 v15, v22, v35
	;; [unrolled: 1-line block ×4, first 2 shown]
	v_fma_f32 v12, -v22, v36, v18
	v_fmac_f32_e32 v15, v21, v36
	v_fma_f32 v32, -v24, v36, v17
	v_fmac_f32_e32 v14, v23, v36
	global_load_dwordx4 v[21:24], v[8:9], off
	v_add_u32_e32 v9, 1, v29
	v_lshlrev_b64 v[17:18], 3, v[9:10]
	v_add_u32_e32 v9, -16, v7
	v_add_co_u32_e32 v17, vcc, s14, v17
	v_addc_co_u32_e32 v18, vcc, v20, v18, vcc
	global_load_dwordx2 v[17:18], v[17:18], off
	v_lshlrev_b64 v[30:31], 3, v[9:10]
	v_add_u32_e32 v9, 2, v29
	v_add_co_u32_e32 v30, vcc, s12, v30
	v_addc_co_u32_e32 v31, vcc, v19, v31, vcc
	s_waitcnt vmcnt(0)
	v_fmac_f32_e32 v12, v21, v17
	v_fmac_f32_e32 v15, v22, v17
	v_fmac_f32_e32 v32, v23, v17
	v_fmac_f32_e32 v14, v24, v17
	v_fma_f32 v8, -v22, v18, v12
	v_fmac_f32_e32 v15, v21, v18
	v_fma_f32 v12, -v24, v18, v32
	v_fmac_f32_e32 v14, v23, v18
	v_lshlrev_b64 v[17:18], 3, v[9:10]
	v_add_u32_e32 v9, -14, v7
	v_add_co_u32_e32 v17, vcc, s14, v17
	v_addc_co_u32_e32 v18, vcc, v20, v18, vcc
	global_load_dwordx4 v[21:24], v[30:31], off
	global_load_dwordx2 v[34:35], v[17:18], off
	v_lshlrev_b64 v[32:33], 3, v[9:10]
	v_add_u32_e32 v9, 3, v29
	v_lshlrev_b64 v[17:18], 3, v[9:10]
	v_add_co_u32_e32 v30, vcc, s12, v32
	v_addc_co_u32_e32 v31, vcc, v19, v33, vcc
	v_add_co_u32_e32 v17, vcc, s14, v17
	v_addc_co_u32_e32 v18, vcc, v20, v18, vcc
	v_add_u32_e32 v9, -12, v7
	v_lshlrev_b64 v[32:33], 3, v[9:10]
	v_add_u32_e32 v9, 4, v29
	s_waitcnt vmcnt(0)
	v_fmac_f32_e32 v8, v21, v34
	v_fmac_f32_e32 v15, v22, v34
	v_fmac_f32_e32 v12, v23, v34
	v_fmac_f32_e32 v14, v24, v34
	v_fma_f32 v8, -v22, v35, v8
	v_fmac_f32_e32 v15, v21, v35
	v_fma_f32 v12, -v24, v35, v12
	v_fmac_f32_e32 v14, v23, v35
	global_load_dwordx4 v[21:24], v[30:31], off
	global_load_dwordx2 v[34:35], v[17:18], off
	v_lshlrev_b64 v[17:18], 3, v[9:10]
	v_add_co_u32_e32 v30, vcc, s12, v32
	v_addc_co_u32_e32 v31, vcc, v19, v33, vcc
	v_add_co_u32_e32 v17, vcc, s14, v17
	v_addc_co_u32_e32 v18, vcc, v20, v18, vcc
	v_add_u32_e32 v9, -10, v7
	v_lshlrev_b64 v[32:33], 3, v[9:10]
	v_add_u32_e32 v9, 5, v29
	s_waitcnt vmcnt(0)
	v_fmac_f32_e32 v8, v21, v34
	v_fmac_f32_e32 v15, v22, v34
	v_fmac_f32_e32 v12, v23, v34
	v_fmac_f32_e32 v14, v24, v34
	v_fma_f32 v8, -v22, v35, v8
	v_fmac_f32_e32 v15, v21, v35
	v_fma_f32 v12, -v24, v35, v12
	v_fmac_f32_e32 v14, v23, v35
	global_load_dwordx4 v[21:24], v[30:31], off
	global_load_dwordx2 v[34:35], v[17:18], off
	;; [unrolled: 19-line block ×5, first 2 shown]
	v_lshlrev_b64 v[17:18], 3, v[9:10]
	v_add_co_u32_e32 v30, vcc, s12, v32
	v_add_u32_e32 v9, -2, v7
	v_addc_co_u32_e32 v31, vcc, v19, v33, vcc
	v_add_co_u32_e32 v17, vcc, s14, v17
	v_addc_co_u32_e32 v18, vcc, v20, v18, vcc
	v_add_u32_e32 v7, 0x580, v7
	s_waitcnt vmcnt(0)
	v_fmac_f32_e32 v8, v21, v34
	v_fmac_f32_e32 v15, v22, v34
	v_fma_f32 v8, -v22, v35, v8
	v_fmac_f32_e32 v15, v21, v35
	v_lshlrev_b64 v[21:22], 3, v[9:10]
	v_fmac_f32_e32 v12, v23, v34
	v_fmac_f32_e32 v14, v24, v34
	v_add_co_u32_e32 v34, vcc, s12, v21
	v_fma_f32 v12, -v24, v35, v12
	v_fmac_f32_e32 v14, v23, v35
	v_addc_co_u32_e32 v35, vcc, v19, v22, vcc
	global_load_dwordx4 v[21:24], v[30:31], off
	global_load_dwordx2 v[36:37], v[17:18], off
	v_add_u32_e32 v9, 9, v29
	v_lshlrev_b64 v[32:33], 3, v[9:10]
	v_add_u32_e32 v9, 10, v29
	v_add_co_u32_e32 v17, vcc, s14, v32
	v_addc_co_u32_e32 v18, vcc, v20, v33, vcc
	s_waitcnt vmcnt(0)
	v_fmac_f32_e32 v8, v21, v36
	v_fma_f32 v31, -v22, v37, v8
	v_lshlrev_b64 v[8:9], 3, v[9:10]
	v_fmac_f32_e32 v15, v22, v36
	v_fmac_f32_e32 v12, v23, v36
	;; [unrolled: 1-line block ×4, first 2 shown]
	v_fma_f32 v12, -v24, v37, v12
	v_fmac_f32_e32 v14, v23, v37
	global_load_dwordx4 v[21:24], v[34:35], off
	global_load_dwordx2 v[29:30], v[17:18], off
	v_add_co_u32_e32 v8, vcc, s14, v8
	v_addc_co_u32_e32 v9, vcc, v20, v9, vcc
	global_load_dwordx2 v[8:9], v[8:9], off
	v_cmp_ge_i32_e32 vcc, v11, v16
	s_or_b64 s[8:9], vcc, s[8:9]
	s_waitcnt vmcnt(1)
	v_fmac_f32_e32 v31, v21, v29
	v_fmac_f32_e32 v15, v22, v29
	;; [unrolled: 1-line block ×4, first 2 shown]
	v_fma_f32 v17, -v22, v30, v31
	v_fmac_f32_e32 v15, v21, v30
	v_fma_f32 v12, -v24, v30, v12
	v_fmac_f32_e32 v14, v23, v30
	s_waitcnt vmcnt(0)
	v_fmac_f32_e32 v17, v25, v8
	v_fmac_f32_e32 v15, v26, v8
	;; [unrolled: 1-line block ×4, first 2 shown]
	v_fma_f32 v18, -v26, v9, v17
	v_fmac_f32_e32 v15, v25, v9
	v_fma_f32 v17, -v28, v9, v12
	v_fmac_f32_e32 v14, v27, v9
	s_andn2_b64 exec, exec, s[8:9]
	s_cbranch_execnz .LBB201_7
; %bb.8:
	s_or_b64 exec, exec, s[8:9]
.LBB201_9:
	s_or_b64 exec, exec, s[6:7]
	s_cbranch_execz .LBB201_11
	s_branch .LBB201_16
.LBB201_10:
                                        ; implicit-def: $vgpr15
                                        ; implicit-def: $vgpr18
                                        ; implicit-def: $vgpr17
                                        ; implicit-def: $vgpr14
.LBB201_11:
	v_mov_b32_e32 v15, 0
	v_mov_b32_e32 v18, 0
	;; [unrolled: 1-line block ×4, first 2 shown]
	s_and_saveexec_b64 s[6:7], s[0:1]
	s_cbranch_execz .LBB201_15
; %bb.12:
	v_mad_u64_u32 v[8:9], s[0:1], v6, 22, 21
	v_mov_b32_e32 v11, 0
	s_mov_b64 s[0:1], 0
	v_mov_b32_e32 v19, s11
	v_mov_b32_e32 v20, s13
	;; [unrolled: 1-line block ×7, first 2 shown]
.LBB201_13:                             ; =>This Inner Loop Header: Depth=1
	v_ashrrev_i32_e32 v7, 31, v6
	v_lshlrev_b64 v[22:23], 2, v[6:7]
	v_subrev_u32_e32 v10, 21, v8
	v_add_co_u32_e32 v22, vcc, s10, v22
	v_addc_co_u32_e32 v23, vcc, v19, v23, vcc
	global_load_dword v7, v[22:23], off
	v_lshlrev_b64 v[24:25], 3, v[10:11]
	v_add_u32_e32 v12, -10, v8
	v_mov_b32_e32 v13, v11
	v_lshlrev_b64 v[12:13], 3, v[12:13]
	v_add_co_u32_e32 v24, vcc, s12, v24
	v_mov_b32_e32 v9, v11
	v_addc_co_u32_e32 v25, vcc, v20, v25, vcc
	v_lshlrev_b64 v[9:10], 3, v[8:9]
	v_add_co_u32_e32 v12, vcc, s12, v12
	v_addc_co_u32_e32 v13, vcc, v20, v13, vcc
	v_add_co_u32_e32 v26, vcc, s12, v9
	v_addc_co_u32_e32 v27, vcc, v20, v10, vcc
	v_mov_b32_e32 v10, v11
	v_add_u32_e32 v6, 64, v6
	s_waitcnt vmcnt(0)
	v_subrev_u32_e32 v7, s2, v7
	v_mul_lo_u32 v9, v7, 11
	v_lshlrev_b64 v[22:23], 3, v[9:10]
	v_add_u32_e32 v10, 1, v9
	v_add_co_u32_e32 v22, vcc, s14, v22
	v_lshlrev_b64 v[28:29], 3, v[10:11]
	v_addc_co_u32_e32 v23, vcc, v21, v23, vcc
	v_add_co_u32_e32 v28, vcc, s14, v28
	global_load_dwordx2 v[30:31], v[12:13], off
	global_load_dwordx2 v[32:33], v[22:23], off
	v_addc_co_u32_e32 v29, vcc, v21, v29, vcc
	global_load_dwordx4 v[22:25], v[24:25], off
	v_add_u32_e32 v10, -9, v8
	global_load_dwordx2 v[12:13], v[28:29], off
	s_waitcnt vmcnt(2)
	v_fmac_f32_e32 v17, v30, v32
	v_fma_f32 v7, -v31, v33, v17
	v_fmac_f32_e32 v14, v31, v32
	s_waitcnt vmcnt(1)
	v_fmac_f32_e32 v18, v22, v32
	v_fma_f32 v17, -v23, v33, v18
	s_waitcnt vmcnt(0)
	v_fmac_f32_e32 v17, v24, v12
	v_fmac_f32_e32 v14, v30, v33
	v_fma_f32 v30, -v25, v13, v17
	v_lshlrev_b64 v[17:18], 3, v[10:11]
	v_fmac_f32_e32 v15, v23, v32
	v_subrev_u32_e32 v10, 19, v8
	v_fmac_f32_e32 v15, v22, v33
	v_add_co_u32_e32 v17, vcc, s12, v17
	v_lshlrev_b64 v[22:23], 3, v[10:11]
	v_addc_co_u32_e32 v18, vcc, v20, v18, vcc
	v_fmac_f32_e32 v15, v25, v12
	v_add_co_u32_e32 v22, vcc, s12, v22
	v_fmac_f32_e32 v15, v24, v13
	v_addc_co_u32_e32 v23, vcc, v20, v23, vcc
	global_load_dwordx2 v[24:25], v[17:18], off
	global_load_dwordx2 v[28:29], v[22:23], off
	v_add_u32_e32 v10, 2, v9
	s_waitcnt vmcnt(1)
	v_fmac_f32_e32 v7, v24, v12
	v_fmac_f32_e32 v14, v25, v12
	v_fma_f32 v7, -v25, v13, v7
	v_fmac_f32_e32 v14, v24, v13
	v_lshlrev_b64 v[12:13], 3, v[10:11]
	v_add_u32_e32 v10, -8, v8
	v_add_co_u32_e32 v12, vcc, s14, v12
	v_addc_co_u32_e32 v13, vcc, v21, v13, vcc
	global_load_dwordx2 v[12:13], v[12:13], off
	v_lshlrev_b64 v[17:18], 3, v[10:11]
	v_subrev_u32_e32 v10, 18, v8
	v_add_co_u32_e32 v17, vcc, s12, v17
	v_lshlrev_b64 v[22:23], 3, v[10:11]
	v_addc_co_u32_e32 v18, vcc, v20, v18, vcc
	v_add_co_u32_e32 v22, vcc, s12, v22
	v_addc_co_u32_e32 v23, vcc, v20, v23, vcc
	v_add_u32_e32 v10, 3, v9
	s_waitcnt vmcnt(0)
	v_fmac_f32_e32 v30, v28, v12
	v_fmac_f32_e32 v15, v29, v12
	v_fma_f32 v30, -v29, v13, v30
	v_fmac_f32_e32 v15, v28, v13
	global_load_dwordx2 v[24:25], v[17:18], off
	global_load_dwordx2 v[28:29], v[22:23], off
	s_waitcnt vmcnt(1)
	v_fmac_f32_e32 v7, v24, v12
	v_fmac_f32_e32 v14, v25, v12
	v_fma_f32 v7, -v25, v13, v7
	v_fmac_f32_e32 v14, v24, v13
	v_lshlrev_b64 v[12:13], 3, v[10:11]
	v_add_u32_e32 v10, -7, v8
	v_add_co_u32_e32 v12, vcc, s14, v12
	v_addc_co_u32_e32 v13, vcc, v21, v13, vcc
	global_load_dwordx2 v[12:13], v[12:13], off
	v_lshlrev_b64 v[17:18], 3, v[10:11]
	v_subrev_u32_e32 v10, 17, v8
	v_add_co_u32_e32 v17, vcc, s12, v17
	v_lshlrev_b64 v[22:23], 3, v[10:11]
	v_addc_co_u32_e32 v18, vcc, v20, v18, vcc
	v_add_co_u32_e32 v22, vcc, s12, v22
	v_addc_co_u32_e32 v23, vcc, v20, v23, vcc
	v_add_u32_e32 v10, 4, v9
	s_waitcnt vmcnt(0)
	v_fmac_f32_e32 v30, v28, v12
	v_fmac_f32_e32 v15, v29, v12
	v_fma_f32 v30, -v29, v13, v30
	v_fmac_f32_e32 v15, v28, v13
	global_load_dwordx2 v[24:25], v[17:18], off
	global_load_dwordx2 v[28:29], v[22:23], off
	s_waitcnt vmcnt(1)
	v_fmac_f32_e32 v7, v24, v12
	v_fmac_f32_e32 v14, v25, v12
	v_fma_f32 v7, -v25, v13, v7
	v_fmac_f32_e32 v14, v24, v13
	v_lshlrev_b64 v[12:13], 3, v[10:11]
	v_add_u32_e32 v10, -6, v8
	v_add_co_u32_e32 v12, vcc, s14, v12
	v_addc_co_u32_e32 v13, vcc, v21, v13, vcc
	global_load_dwordx2 v[12:13], v[12:13], off
	v_lshlrev_b64 v[17:18], 3, v[10:11]
	v_add_u32_e32 v10, -16, v8
	v_add_co_u32_e32 v17, vcc, s12, v17
	v_lshlrev_b64 v[22:23], 3, v[10:11]
	v_addc_co_u32_e32 v18, vcc, v20, v18, vcc
	v_add_co_u32_e32 v22, vcc, s12, v22
	v_addc_co_u32_e32 v23, vcc, v20, v23, vcc
	v_add_u32_e32 v10, 5, v9
	s_waitcnt vmcnt(0)
	v_fmac_f32_e32 v30, v28, v12
	v_fmac_f32_e32 v15, v29, v12
	v_fma_f32 v30, -v29, v13, v30
	v_fmac_f32_e32 v15, v28, v13
	global_load_dwordx2 v[24:25], v[17:18], off
	global_load_dwordx2 v[28:29], v[22:23], off
	s_waitcnt vmcnt(1)
	v_fmac_f32_e32 v7, v24, v12
	v_fmac_f32_e32 v14, v25, v12
	v_fma_f32 v7, -v25, v13, v7
	v_fmac_f32_e32 v14, v24, v13
	v_lshlrev_b64 v[12:13], 3, v[10:11]
	v_add_u32_e32 v10, -5, v8
	v_add_co_u32_e32 v12, vcc, s14, v12
	v_addc_co_u32_e32 v13, vcc, v21, v13, vcc
	global_load_dwordx2 v[12:13], v[12:13], off
	v_lshlrev_b64 v[17:18], 3, v[10:11]
	v_add_u32_e32 v10, -15, v8
	;; [unrolled: 25-line block ×6, first 2 shown]
	v_lshlrev_b64 v[22:23], 3, v[10:11]
	v_add_co_u32_e32 v17, vcc, s12, v17
	v_add_u32_e32 v10, 10, v9
	v_addc_co_u32_e32 v18, vcc, v20, v18, vcc
	v_add_co_u32_e32 v22, vcc, s12, v22
	v_lshlrev_b64 v[9:10], 3, v[10:11]
	v_addc_co_u32_e32 v23, vcc, v20, v23, vcc
	v_add_co_u32_e32 v9, vcc, s14, v9
	v_addc_co_u32_e32 v10, vcc, v21, v10, vcc
	v_cmp_ge_i32_e32 vcc, v6, v16
	s_or_b64 s[0:1], vcc, s[0:1]
	v_add_u32_e32 v8, 0x580, v8
	s_waitcnt vmcnt(0)
	v_fmac_f32_e32 v30, v28, v12
	v_fmac_f32_e32 v15, v29, v12
	v_fma_f32 v34, -v29, v13, v30
	v_fmac_f32_e32 v15, v28, v13
	global_load_dwordx2 v[24:25], v[26:27], off
	global_load_dwordx2 v[28:29], v[17:18], off
	;; [unrolled: 1-line block ×4, first 2 shown]
	s_waitcnt vmcnt(2)
	v_fmac_f32_e32 v7, v28, v12
	v_fmac_f32_e32 v14, v29, v12
	v_fma_f32 v7, -v29, v13, v7
	v_fmac_f32_e32 v14, v28, v13
	s_waitcnt vmcnt(0)
	v_fmac_f32_e32 v34, v30, v32
	v_fmac_f32_e32 v15, v31, v32
	;; [unrolled: 1-line block ×4, first 2 shown]
	v_fma_f32 v18, -v31, v33, v34
	v_fmac_f32_e32 v15, v30, v33
	v_fma_f32 v17, -v25, v33, v7
	v_fmac_f32_e32 v14, v24, v33
	s_andn2_b64 exec, exec, s[0:1]
	s_cbranch_execnz .LBB201_13
; %bb.14:
	s_or_b64 exec, exec, s[0:1]
.LBB201_15:
	s_or_b64 exec, exec, s[6:7]
.LBB201_16:
	v_mov_b32_dpp v6, v18 row_shr:1 row_mask:0xf bank_mask:0xf
	v_mov_b32_dpp v8, v15 row_shr:1 row_mask:0xf bank_mask:0xf
	v_mov_b32_dpp v10, v17 row_shr:1 row_mask:0xf bank_mask:0xf
	v_mov_b32_dpp v12, v14 row_shr:1 row_mask:0xf bank_mask:0xf
	v_add_f32_e32 v6, v18, v6
	v_add_f32_e32 v8, v15, v8
	v_add_f32_e32 v10, v17, v10
	v_add_f32_e32 v12, v14, v12
	v_mov_b32_dpp v7, v6 row_shr:2 row_mask:0xf bank_mask:0xf
	v_mov_b32_dpp v9, v8 row_shr:2 row_mask:0xf bank_mask:0xf
	v_mov_b32_dpp v11, v10 row_shr:2 row_mask:0xf bank_mask:0xf
	v_mov_b32_dpp v13, v12 row_shr:2 row_mask:0xf bank_mask:0xf
	v_add_f32_e32 v6, v6, v7
	v_add_f32_e32 v8, v8, v9
	v_add_f32_e32 v10, v10, v11
	v_add_f32_e32 v12, v12, v13
	v_mov_b32_dpp v7, v6 row_shr:4 row_mask:0xf bank_mask:0xe
	v_mov_b32_dpp v9, v8 row_shr:4 row_mask:0xf bank_mask:0xe
	v_mov_b32_dpp v11, v10 row_shr:4 row_mask:0xf bank_mask:0xe
	v_mov_b32_dpp v13, v12 row_shr:4 row_mask:0xf bank_mask:0xe
	v_add_f32_e32 v6, v6, v7
	v_add_f32_e32 v8, v8, v9
	v_add_f32_e32 v10, v10, v11
	v_add_f32_e32 v12, v12, v13
	v_mov_b32_dpp v7, v6 row_shr:8 row_mask:0xf bank_mask:0xc
	v_mov_b32_dpp v9, v8 row_shr:8 row_mask:0xf bank_mask:0xc
	v_mov_b32_dpp v11, v10 row_shr:8 row_mask:0xf bank_mask:0xc
	v_mov_b32_dpp v13, v12 row_shr:8 row_mask:0xf bank_mask:0xc
	v_add_f32_e32 v6, v6, v7
	v_add_f32_e32 v8, v8, v9
	v_add_f32_e32 v10, v10, v11
	v_add_f32_e32 v12, v12, v13
	v_mov_b32_dpp v7, v6 row_bcast:15 row_mask:0xa bank_mask:0xf
	v_mov_b32_dpp v9, v8 row_bcast:15 row_mask:0xa bank_mask:0xf
	;; [unrolled: 1-line block ×4, first 2 shown]
	v_add_f32_e32 v6, v6, v7
	v_add_f32_e32 v8, v8, v9
	;; [unrolled: 1-line block ×4, first 2 shown]
	v_mov_b32_dpp v7, v6 row_bcast:31 row_mask:0xc bank_mask:0xf
	v_mov_b32_dpp v9, v8 row_bcast:31 row_mask:0xc bank_mask:0xf
	;; [unrolled: 1-line block ×4, first 2 shown]
	v_cmp_eq_u32_e32 vcc, 63, v0
	s_and_b64 exec, exec, vcc
	s_cbranch_execz .LBB201_21
; %bb.17:
	s_load_dwordx2 s[2:3], s[4:5], 0x38
	v_cmp_eq_f32_e32 vcc, 0, v3
	v_cmp_eq_f32_e64 s[0:1], 0, v4
	v_add_f32_e32 v7, v6, v7
	v_add_f32_e32 v8, v8, v9
	;; [unrolled: 1-line block ×4, first 2 shown]
	s_and_b64 s[0:1], vcc, s[0:1]
	s_and_saveexec_b64 s[4:5], s[0:1]
	s_xor_b64 s[0:1], exec, s[4:5]
	s_cbranch_execz .LBB201_19
; %bb.18:
	v_mul_f32_e64 v3, v8, -v2
	v_mul_f32_e32 v4, v1, v8
	v_fmac_f32_e32 v3, v1, v7
	v_fmac_f32_e32 v4, v2, v7
	v_lshlrev_b32_e32 v7, 1, v5
	v_ashrrev_i32_e32 v8, 31, v7
	v_lshlrev_b64 v[7:8], 3, v[7:8]
	s_waitcnt lgkmcnt(0)
	v_mov_b32_e32 v5, s3
	v_add_co_u32_e32 v7, vcc, s2, v7
	v_addc_co_u32_e32 v8, vcc, v5, v8, vcc
	v_mul_f32_e64 v5, v6, -v2
	v_mul_f32_e32 v6, v1, v6
	v_fmac_f32_e32 v5, v1, v0
	v_fmac_f32_e32 v6, v2, v0
	global_store_dwordx4 v[7:8], v[3:6], off
                                        ; implicit-def: $vgpr5
                                        ; implicit-def: $vgpr1_vgpr2
                                        ; implicit-def: $vgpr8
                                        ; implicit-def: $vgpr7
                                        ; implicit-def: $vgpr3_vgpr4
                                        ; implicit-def: $vgpr6
                                        ; implicit-def: $vgpr0
.LBB201_19:
	s_andn2_saveexec_b64 s[0:1], s[0:1]
	s_cbranch_execz .LBB201_21
; %bb.20:
	v_lshlrev_b32_e32 v9, 1, v5
	v_ashrrev_i32_e32 v10, 31, v9
	v_lshlrev_b64 v[9:10], 3, v[9:10]
	s_waitcnt lgkmcnt(0)
	v_mov_b32_e32 v5, s3
	v_add_co_u32_e32 v17, vcc, s2, v9
	v_addc_co_u32_e32 v18, vcc, v5, v10, vcc
	global_load_dwordx4 v[9:12], v[17:18], off
	v_mul_f32_e64 v5, v8, -v2
	v_mul_f32_e32 v14, v1, v8
	v_mul_f32_e64 v8, v6, -v2
	v_mul_f32_e32 v16, v1, v6
	v_fmac_f32_e32 v5, v1, v7
	v_fmac_f32_e32 v14, v2, v7
	v_fmac_f32_e32 v8, v1, v0
	v_fmac_f32_e32 v16, v2, v0
	s_waitcnt vmcnt(0)
	v_fmac_f32_e32 v5, v3, v9
	v_fmac_f32_e32 v14, v4, v9
	;; [unrolled: 1-line block ×4, first 2 shown]
	v_fma_f32 v13, -v4, v10, v5
	v_fmac_f32_e32 v14, v3, v10
	v_fma_f32 v15, -v4, v12, v8
	v_fmac_f32_e32 v16, v3, v12
	global_store_dwordx4 v[17:18], v[13:16], off
.LBB201_21:
	s_endpgm
	.section	.rodata,"a",@progbits
	.p2align	6, 0x0
	.amdhsa_kernel _ZN9rocsparseL19gebsrmvn_2xn_kernelILj128ELj11ELj64E21rocsparse_complex_numIfEEEvi20rocsparse_direction_NS_24const_host_device_scalarIT2_EEPKiS8_PKS5_SA_S6_PS5_21rocsparse_index_base_b
		.amdhsa_group_segment_fixed_size 0
		.amdhsa_private_segment_fixed_size 0
		.amdhsa_kernarg_size 72
		.amdhsa_user_sgpr_count 6
		.amdhsa_user_sgpr_private_segment_buffer 1
		.amdhsa_user_sgpr_dispatch_ptr 0
		.amdhsa_user_sgpr_queue_ptr 0
		.amdhsa_user_sgpr_kernarg_segment_ptr 1
		.amdhsa_user_sgpr_dispatch_id 0
		.amdhsa_user_sgpr_flat_scratch_init 0
		.amdhsa_user_sgpr_private_segment_size 0
		.amdhsa_uses_dynamic_stack 0
		.amdhsa_system_sgpr_private_segment_wavefront_offset 0
		.amdhsa_system_sgpr_workgroup_id_x 1
		.amdhsa_system_sgpr_workgroup_id_y 0
		.amdhsa_system_sgpr_workgroup_id_z 0
		.amdhsa_system_sgpr_workgroup_info 0
		.amdhsa_system_vgpr_workitem_id 0
		.amdhsa_next_free_vgpr 38
		.amdhsa_next_free_sgpr 16
		.amdhsa_reserve_vcc 1
		.amdhsa_reserve_flat_scratch 0
		.amdhsa_float_round_mode_32 0
		.amdhsa_float_round_mode_16_64 0
		.amdhsa_float_denorm_mode_32 3
		.amdhsa_float_denorm_mode_16_64 3
		.amdhsa_dx10_clamp 1
		.amdhsa_ieee_mode 1
		.amdhsa_fp16_overflow 0
		.amdhsa_exception_fp_ieee_invalid_op 0
		.amdhsa_exception_fp_denorm_src 0
		.amdhsa_exception_fp_ieee_div_zero 0
		.amdhsa_exception_fp_ieee_overflow 0
		.amdhsa_exception_fp_ieee_underflow 0
		.amdhsa_exception_fp_ieee_inexact 0
		.amdhsa_exception_int_div_zero 0
	.end_amdhsa_kernel
	.section	.text._ZN9rocsparseL19gebsrmvn_2xn_kernelILj128ELj11ELj64E21rocsparse_complex_numIfEEEvi20rocsparse_direction_NS_24const_host_device_scalarIT2_EEPKiS8_PKS5_SA_S6_PS5_21rocsparse_index_base_b,"axG",@progbits,_ZN9rocsparseL19gebsrmvn_2xn_kernelILj128ELj11ELj64E21rocsparse_complex_numIfEEEvi20rocsparse_direction_NS_24const_host_device_scalarIT2_EEPKiS8_PKS5_SA_S6_PS5_21rocsparse_index_base_b,comdat
.Lfunc_end201:
	.size	_ZN9rocsparseL19gebsrmvn_2xn_kernelILj128ELj11ELj64E21rocsparse_complex_numIfEEEvi20rocsparse_direction_NS_24const_host_device_scalarIT2_EEPKiS8_PKS5_SA_S6_PS5_21rocsparse_index_base_b, .Lfunc_end201-_ZN9rocsparseL19gebsrmvn_2xn_kernelILj128ELj11ELj64E21rocsparse_complex_numIfEEEvi20rocsparse_direction_NS_24const_host_device_scalarIT2_EEPKiS8_PKS5_SA_S6_PS5_21rocsparse_index_base_b
                                        ; -- End function
	.set _ZN9rocsparseL19gebsrmvn_2xn_kernelILj128ELj11ELj64E21rocsparse_complex_numIfEEEvi20rocsparse_direction_NS_24const_host_device_scalarIT2_EEPKiS8_PKS5_SA_S6_PS5_21rocsparse_index_base_b.num_vgpr, 38
	.set _ZN9rocsparseL19gebsrmvn_2xn_kernelILj128ELj11ELj64E21rocsparse_complex_numIfEEEvi20rocsparse_direction_NS_24const_host_device_scalarIT2_EEPKiS8_PKS5_SA_S6_PS5_21rocsparse_index_base_b.num_agpr, 0
	.set _ZN9rocsparseL19gebsrmvn_2xn_kernelILj128ELj11ELj64E21rocsparse_complex_numIfEEEvi20rocsparse_direction_NS_24const_host_device_scalarIT2_EEPKiS8_PKS5_SA_S6_PS5_21rocsparse_index_base_b.numbered_sgpr, 16
	.set _ZN9rocsparseL19gebsrmvn_2xn_kernelILj128ELj11ELj64E21rocsparse_complex_numIfEEEvi20rocsparse_direction_NS_24const_host_device_scalarIT2_EEPKiS8_PKS5_SA_S6_PS5_21rocsparse_index_base_b.num_named_barrier, 0
	.set _ZN9rocsparseL19gebsrmvn_2xn_kernelILj128ELj11ELj64E21rocsparse_complex_numIfEEEvi20rocsparse_direction_NS_24const_host_device_scalarIT2_EEPKiS8_PKS5_SA_S6_PS5_21rocsparse_index_base_b.private_seg_size, 0
	.set _ZN9rocsparseL19gebsrmvn_2xn_kernelILj128ELj11ELj64E21rocsparse_complex_numIfEEEvi20rocsparse_direction_NS_24const_host_device_scalarIT2_EEPKiS8_PKS5_SA_S6_PS5_21rocsparse_index_base_b.uses_vcc, 1
	.set _ZN9rocsparseL19gebsrmvn_2xn_kernelILj128ELj11ELj64E21rocsparse_complex_numIfEEEvi20rocsparse_direction_NS_24const_host_device_scalarIT2_EEPKiS8_PKS5_SA_S6_PS5_21rocsparse_index_base_b.uses_flat_scratch, 0
	.set _ZN9rocsparseL19gebsrmvn_2xn_kernelILj128ELj11ELj64E21rocsparse_complex_numIfEEEvi20rocsparse_direction_NS_24const_host_device_scalarIT2_EEPKiS8_PKS5_SA_S6_PS5_21rocsparse_index_base_b.has_dyn_sized_stack, 0
	.set _ZN9rocsparseL19gebsrmvn_2xn_kernelILj128ELj11ELj64E21rocsparse_complex_numIfEEEvi20rocsparse_direction_NS_24const_host_device_scalarIT2_EEPKiS8_PKS5_SA_S6_PS5_21rocsparse_index_base_b.has_recursion, 0
	.set _ZN9rocsparseL19gebsrmvn_2xn_kernelILj128ELj11ELj64E21rocsparse_complex_numIfEEEvi20rocsparse_direction_NS_24const_host_device_scalarIT2_EEPKiS8_PKS5_SA_S6_PS5_21rocsparse_index_base_b.has_indirect_call, 0
	.section	.AMDGPU.csdata,"",@progbits
; Kernel info:
; codeLenInByte = 3664
; TotalNumSgprs: 20
; NumVgprs: 38
; ScratchSize: 0
; MemoryBound: 0
; FloatMode: 240
; IeeeMode: 1
; LDSByteSize: 0 bytes/workgroup (compile time only)
; SGPRBlocks: 2
; VGPRBlocks: 9
; NumSGPRsForWavesPerEU: 20
; NumVGPRsForWavesPerEU: 38
; Occupancy: 6
; WaveLimiterHint : 1
; COMPUTE_PGM_RSRC2:SCRATCH_EN: 0
; COMPUTE_PGM_RSRC2:USER_SGPR: 6
; COMPUTE_PGM_RSRC2:TRAP_HANDLER: 0
; COMPUTE_PGM_RSRC2:TGID_X_EN: 1
; COMPUTE_PGM_RSRC2:TGID_Y_EN: 0
; COMPUTE_PGM_RSRC2:TGID_Z_EN: 0
; COMPUTE_PGM_RSRC2:TIDIG_COMP_CNT: 0
	.section	.text._ZN9rocsparseL19gebsrmvn_2xn_kernelILj128ELj12ELj4E21rocsparse_complex_numIfEEEvi20rocsparse_direction_NS_24const_host_device_scalarIT2_EEPKiS8_PKS5_SA_S6_PS5_21rocsparse_index_base_b,"axG",@progbits,_ZN9rocsparseL19gebsrmvn_2xn_kernelILj128ELj12ELj4E21rocsparse_complex_numIfEEEvi20rocsparse_direction_NS_24const_host_device_scalarIT2_EEPKiS8_PKS5_SA_S6_PS5_21rocsparse_index_base_b,comdat
	.globl	_ZN9rocsparseL19gebsrmvn_2xn_kernelILj128ELj12ELj4E21rocsparse_complex_numIfEEEvi20rocsparse_direction_NS_24const_host_device_scalarIT2_EEPKiS8_PKS5_SA_S6_PS5_21rocsparse_index_base_b ; -- Begin function _ZN9rocsparseL19gebsrmvn_2xn_kernelILj128ELj12ELj4E21rocsparse_complex_numIfEEEvi20rocsparse_direction_NS_24const_host_device_scalarIT2_EEPKiS8_PKS5_SA_S6_PS5_21rocsparse_index_base_b
	.p2align	8
	.type	_ZN9rocsparseL19gebsrmvn_2xn_kernelILj128ELj12ELj4E21rocsparse_complex_numIfEEEvi20rocsparse_direction_NS_24const_host_device_scalarIT2_EEPKiS8_PKS5_SA_S6_PS5_21rocsparse_index_base_b,@function
_ZN9rocsparseL19gebsrmvn_2xn_kernelILj128ELj12ELj4E21rocsparse_complex_numIfEEEvi20rocsparse_direction_NS_24const_host_device_scalarIT2_EEPKiS8_PKS5_SA_S6_PS5_21rocsparse_index_base_b: ; @_ZN9rocsparseL19gebsrmvn_2xn_kernelILj128ELj12ELj4E21rocsparse_complex_numIfEEEvi20rocsparse_direction_NS_24const_host_device_scalarIT2_EEPKiS8_PKS5_SA_S6_PS5_21rocsparse_index_base_b
; %bb.0:
	s_load_dwordx2 s[0:1], s[4:5], 0x8
	s_load_dwordx2 s[8:9], s[4:5], 0x30
	;; [unrolled: 1-line block ×3, first 2 shown]
	s_add_u32 s7, s4, 8
	s_addc_u32 s10, s5, 0
	s_add_u32 s11, s4, 48
	s_addc_u32 s12, s5, 0
	s_waitcnt lgkmcnt(0)
	s_bitcmp1_b32 s3, 0
	s_cselect_b32 s1, s10, s1
	s_cselect_b32 s0, s7, s0
	v_mov_b32_e32 v1, s0
	v_mov_b32_e32 v2, s1
	flat_load_dwordx2 v[1:2], v[1:2]
	s_cselect_b32 s0, s12, s9
	s_cselect_b32 s1, s11, s8
	v_mov_b32_e32 v3, s1
	v_mov_b32_e32 v4, s0
	flat_load_dwordx2 v[3:4], v[3:4]
	s_waitcnt vmcnt(0) lgkmcnt(0)
	v_cmp_eq_f32_e32 vcc, 0, v1
	v_cmp_eq_f32_e64 s[0:1], 0, v2
	s_and_b64 s[10:11], vcc, s[0:1]
	s_mov_b64 s[0:1], -1
	s_and_saveexec_b64 s[8:9], s[10:11]
; %bb.1:
	v_cmp_neq_f32_e32 vcc, 1.0, v3
	v_cmp_neq_f32_e64 s[0:1], 0, v4
	s_or_b64 s[0:1], vcc, s[0:1]
	s_orn2_b64 s[0:1], s[0:1], exec
; %bb.2:
	s_or_b64 exec, exec, s[8:9]
	s_and_saveexec_b64 s[8:9], s[0:1]
	s_cbranch_execz .LBB202_21
; %bb.3:
	s_load_dwordx2 s[0:1], s[4:5], 0x0
	v_lshrrev_b32_e32 v5, 2, v0
	v_lshl_or_b32 v5, s6, 5, v5
	s_waitcnt lgkmcnt(0)
	v_cmp_gt_i32_e32 vcc, s0, v5
	s_and_b64 exec, exec, vcc
	s_cbranch_execz .LBB202_21
; %bb.4:
	s_load_dwordx8 s[8:15], s[4:5], 0x10
	v_ashrrev_i32_e32 v6, 31, v5
	v_lshlrev_b64 v[6:7], 2, v[5:6]
	v_and_b32_e32 v0, 3, v0
	s_cmp_lg_u32 s1, 0
	s_waitcnt lgkmcnt(0)
	v_mov_b32_e32 v8, s9
	v_add_co_u32_e32 v6, vcc, s8, v6
	v_addc_co_u32_e32 v7, vcc, v8, v7, vcc
	global_load_dwordx2 v[6:7], v[6:7], off
	s_waitcnt vmcnt(0)
	v_subrev_u32_e32 v6, s2, v6
	v_subrev_u32_e32 v14, s2, v7
	v_add_u32_e32 v6, v6, v0
	v_cmp_lt_i32_e64 s[0:1], v6, v14
	s_cbranch_scc0 .LBB202_10
; %bb.5:
	v_mov_b32_e32 v15, 0
	v_mov_b32_e32 v18, 0
	;; [unrolled: 1-line block ×4, first 2 shown]
	s_and_saveexec_b64 s[6:7], s[0:1]
	s_cbranch_execz .LBB202_9
; %bb.6:
	v_mad_u64_u32 v[7:8], s[8:9], v6, 24, 22
	v_mov_b32_e32 v10, 0
	s_mov_b64 s[8:9], 0
	v_mov_b32_e32 v19, s11
	v_mov_b32_e32 v20, s13
	;; [unrolled: 1-line block ×8, first 2 shown]
.LBB202_7:                              ; =>This Inner Loop Header: Depth=1
	v_ashrrev_i32_e32 v12, 31, v11
	v_lshlrev_b64 v[22:23], 2, v[11:12]
	v_subrev_u32_e32 v9, 22, v7
	v_lshlrev_b64 v[24:25], 3, v[9:10]
	v_add_co_u32_e32 v38, vcc, s10, v22
	v_mov_b32_e32 v8, v10
	v_addc_co_u32_e32 v39, vcc, v19, v23, vcc
	v_lshlrev_b64 v[26:27], 3, v[7:8]
	v_add_co_u32_e32 v40, vcc, s12, v24
	v_addc_co_u32_e32 v41, vcc, v20, v25, vcc
	v_add_co_u32_e32 v50, vcc, s12, v26
	v_addc_co_u32_e32 v51, vcc, v20, v27, vcc
	global_load_dword v12, v[38:39], off
	global_load_dwordx4 v[22:25], v[40:41], off
	global_load_dwordx4 v[26:29], v[40:41], off offset:16
	global_load_dwordx4 v[30:33], v[40:41], off offset:32
	;; [unrolled: 1-line block ×3, first 2 shown]
	v_add_u32_e32 v9, -14, v7
	v_lshlrev_b64 v[8:9], 3, v[9:10]
	v_mov_b32_e32 v13, v10
	v_add_co_u32_e32 v8, vcc, s12, v8
	v_addc_co_u32_e32 v9, vcc, v20, v9, vcc
	v_add_u32_e32 v11, 4, v11
	s_waitcnt vmcnt(4)
	v_subrev_u32_e32 v12, s2, v12
	v_mul_lo_u32 v12, v12, 12
	v_lshlrev_b64 v[38:39], 3, v[12:13]
	v_add_co_u32_e32 v46, vcc, s14, v38
	v_addc_co_u32_e32 v47, vcc, v21, v39, vcc
	global_load_dwordx4 v[38:41], v[46:47], off
	global_load_dwordx4 v[42:45], v[46:47], off offset:16
	s_waitcnt vmcnt(1)
	v_fmac_f32_e32 v18, v22, v38
	v_fmac_f32_e32 v15, v23, v38
	;; [unrolled: 1-line block ×4, first 2 shown]
	v_fma_f32 v13, -v23, v39, v18
	v_fmac_f32_e32 v15, v22, v39
	v_fma_f32 v38, -v25, v39, v17
	v_fmac_f32_e32 v16, v24, v39
	global_load_dwordx4 v[22:25], v[8:9], off
	v_add_u32_e32 v9, 4, v12
	v_lshlrev_b64 v[17:18], 3, v[9:10]
	v_add_u32_e32 v9, -12, v7
	v_fmac_f32_e32 v13, v26, v40
	v_fmac_f32_e32 v15, v27, v40
	v_fma_f32 v8, -v27, v41, v13
	v_fmac_f32_e32 v15, v26, v41
	v_lshlrev_b64 v[26:27], 3, v[9:10]
	v_add_co_u32_e32 v17, vcc, s14, v17
	v_addc_co_u32_e32 v18, vcc, v21, v18, vcc
	v_fmac_f32_e32 v38, v28, v40
	v_fmac_f32_e32 v16, v29, v40
	v_add_co_u32_e32 v40, vcc, s12, v26
	v_fma_f32 v13, -v29, v41, v38
	v_fmac_f32_e32 v16, v28, v41
	v_addc_co_u32_e32 v41, vcc, v20, v27, vcc
	global_load_dwordx4 v[26:29], v[17:18], off
	v_add_u32_e32 v9, -10, v7
	v_lshlrev_b64 v[38:39], 3, v[9:10]
	v_add_u32_e32 v9, -8, v7
	s_waitcnt vmcnt(2)
	v_fmac_f32_e32 v8, v30, v42
	v_fmac_f32_e32 v15, v31, v42
	;; [unrolled: 1-line block ×4, first 2 shown]
	v_fma_f32 v8, -v31, v43, v8
	v_fmac_f32_e32 v15, v30, v43
	v_fma_f32 v13, -v33, v43, v13
	v_fmac_f32_e32 v16, v32, v43
	global_load_dwordx4 v[30:33], v[17:18], off offset:16
	v_lshlrev_b64 v[17:18], 3, v[9:10]
	v_add_co_u32_e32 v38, vcc, s12, v38
	v_add_u32_e32 v9, -6, v7
	v_addc_co_u32_e32 v39, vcc, v20, v39, vcc
	v_fmac_f32_e32 v13, v36, v44
	v_lshlrev_b64 v[42:43], 3, v[9:10]
	v_add_u32_e32 v9, 8, v12
	v_add_co_u32_e32 v12, vcc, s12, v17
	v_fmac_f32_e32 v8, v34, v44
	v_fmac_f32_e32 v15, v35, v44
	;; [unrolled: 1-line block ×3, first 2 shown]
	v_fma_f32 v48, -v37, v45, v13
	v_addc_co_u32_e32 v13, vcc, v20, v18, vcc
	v_fma_f32 v8, -v35, v45, v8
	v_fmac_f32_e32 v15, v34, v45
	v_fmac_f32_e32 v16, v36, v45
	global_load_dwordx4 v[34:37], v[40:41], off
	v_add_co_u32_e32 v46, vcc, s12, v42
	v_addc_co_u32_e32 v47, vcc, v20, v43, vcc
	v_lshlrev_b64 v[17:18], 3, v[9:10]
	v_add_u32_e32 v9, -4, v7
	v_add_co_u32_e32 v17, vcc, s14, v17
	v_addc_co_u32_e32 v18, vcc, v21, v18, vcc
	global_load_dwordx4 v[42:45], v[12:13], off
	v_lshlrev_b64 v[12:13], 3, v[9:10]
	v_add_u32_e32 v9, -2, v7
	v_add_u32_e32 v7, 0x60, v7
	v_add_co_u32_e32 v12, vcc, s12, v12
	v_addc_co_u32_e32 v13, vcc, v20, v13, vcc
	s_waitcnt vmcnt(3)
	v_fmac_f32_e32 v8, v22, v26
	v_fmac_f32_e32 v15, v23, v26
	;; [unrolled: 1-line block ×4, first 2 shown]
	v_fma_f32 v8, -v23, v27, v8
	v_fmac_f32_e32 v15, v22, v27
	v_fma_f32 v26, -v25, v27, v48
	v_fmac_f32_e32 v16, v24, v27
	global_load_dwordx4 v[22:25], v[46:47], off
	s_waitcnt vmcnt(2)
	v_fmac_f32_e32 v8, v34, v28
	global_load_dwordx4 v[38:41], v[38:39], off
	v_fmac_f32_e32 v15, v35, v28
	v_fmac_f32_e32 v26, v36, v28
	;; [unrolled: 1-line block ×3, first 2 shown]
	v_fma_f32 v46, -v35, v29, v8
	v_fmac_f32_e32 v15, v34, v29
	v_fma_f32 v47, -v37, v29, v26
	v_fmac_f32_e32 v16, v36, v29
	v_lshlrev_b64 v[8:9], 3, v[9:10]
	global_load_dwordx4 v[26:29], v[17:18], off
	global_load_dwordx4 v[34:37], v[17:18], off offset:16
	v_add_co_u32_e32 v8, vcc, s12, v8
	v_addc_co_u32_e32 v9, vcc, v20, v9, vcc
	v_cmp_ge_i32_e32 vcc, v11, v14
	s_or_b64 s[8:9], vcc, s[8:9]
	s_waitcnt vmcnt(2)
	v_fmac_f32_e32 v46, v38, v30
	v_fmac_f32_e32 v15, v39, v30
	;; [unrolled: 1-line block ×4, first 2 shown]
	v_fma_f32 v17, -v39, v31, v46
	v_fmac_f32_e32 v15, v38, v31
	v_fma_f32 v18, -v41, v31, v47
	v_fmac_f32_e32 v16, v40, v31
	global_load_dwordx4 v[38:41], v[12:13], off
	global_load_dwordx4 v[46:49], v[8:9], off
	v_fmac_f32_e32 v17, v42, v32
	v_fmac_f32_e32 v15, v43, v32
	;; [unrolled: 1-line block ×4, first 2 shown]
	v_fma_f32 v8, -v43, v33, v17
	v_fmac_f32_e32 v15, v42, v33
	v_fma_f32 v9, -v45, v33, v18
	v_fmac_f32_e32 v16, v44, v33
	global_load_dwordx4 v[30:33], v[50:51], off
	s_waitcnt vmcnt(4)
	v_fmac_f32_e32 v8, v22, v26
	v_fmac_f32_e32 v15, v23, v26
	v_fmac_f32_e32 v9, v24, v26
	v_fmac_f32_e32 v16, v25, v26
	v_fma_f32 v8, -v23, v27, v8
	v_fmac_f32_e32 v15, v22, v27
	v_fma_f32 v9, -v25, v27, v9
	v_fmac_f32_e32 v16, v24, v27
	s_waitcnt vmcnt(2)
	v_fmac_f32_e32 v8, v38, v28
	v_fmac_f32_e32 v15, v39, v28
	v_fmac_f32_e32 v9, v40, v28
	v_fmac_f32_e32 v16, v41, v28
	v_fma_f32 v8, -v39, v29, v8
	v_fmac_f32_e32 v15, v38, v29
	v_fma_f32 v9, -v41, v29, v9
	v_fmac_f32_e32 v16, v40, v29
	;; [unrolled: 9-line block ×4, first 2 shown]
	s_andn2_b64 exec, exec, s[8:9]
	s_cbranch_execnz .LBB202_7
; %bb.8:
	s_or_b64 exec, exec, s[8:9]
.LBB202_9:
	s_or_b64 exec, exec, s[6:7]
	s_cbranch_execz .LBB202_11
	s_branch .LBB202_16
.LBB202_10:
                                        ; implicit-def: $vgpr15
                                        ; implicit-def: $vgpr18
                                        ; implicit-def: $vgpr17
                                        ; implicit-def: $vgpr16
.LBB202_11:
	v_mov_b32_e32 v15, 0
	v_mov_b32_e32 v18, 0
	;; [unrolled: 1-line block ×4, first 2 shown]
	s_and_saveexec_b64 s[6:7], s[0:1]
	s_cbranch_execz .LBB202_15
; %bb.12:
	v_mad_u64_u32 v[8:9], s[0:1], v6, 24, 23
	v_mov_b32_e32 v10, 0
	s_mov_b64 s[0:1], 0
	v_mov_b32_e32 v13, s11
	v_mov_b32_e32 v19, s13
	;; [unrolled: 1-line block ×7, first 2 shown]
.LBB202_13:                             ; =>This Inner Loop Header: Depth=1
	v_ashrrev_i32_e32 v7, 31, v6
	v_lshlrev_b64 v[21:22], 2, v[6:7]
	v_subrev_u32_e32 v9, 23, v8
	v_lshlrev_b64 v[23:24], 3, v[9:10]
	v_add_co_u32_e32 v29, vcc, s10, v21
	v_addc_co_u32_e32 v30, vcc, v13, v22, vcc
	v_add_co_u32_e32 v37, vcc, s12, v23
	v_addc_co_u32_e32 v38, vcc, v19, v24, vcc
	global_load_dword v7, v[29:30], off
	global_load_dwordx4 v[21:24], v[37:38], off
	global_load_dwordx4 v[25:28], v[37:38], off offset:16
	v_mov_b32_e32 v12, v10
	v_add_u32_e32 v9, -10, v8
	v_add_u32_e32 v6, 4, v6
	s_waitcnt vmcnt(2)
	v_subrev_u32_e32 v7, s2, v7
	v_mul_lo_u32 v11, v7, 12
	v_lshlrev_b64 v[29:30], 3, v[11:12]
	v_add_co_u32_e32 v39, vcc, s14, v29
	v_addc_co_u32_e32 v40, vcc, v20, v30, vcc
	global_load_dwordx4 v[29:32], v[39:40], off
	global_load_dwordx4 v[33:36], v[39:40], off offset:16
	s_waitcnt vmcnt(1)
	v_fmac_f32_e32 v18, v21, v29
	v_fmac_f32_e32 v15, v22, v29
	v_fma_f32 v7, -v22, v30, v18
	v_fmac_f32_e32 v15, v21, v30
	v_add_u32_e32 v21, -11, v8
	v_mov_b32_e32 v22, v10
	v_lshlrev_b64 v[21:22], 3, v[21:22]
	v_fmac_f32_e32 v7, v23, v31
	v_fmac_f32_e32 v15, v24, v31
	v_fma_f32 v7, -v24, v32, v7
	v_fmac_f32_e32 v15, v23, v32
	v_add_co_u32_e32 v21, vcc, s12, v21
	v_lshlrev_b64 v[23:24], 3, v[9:10]
	v_addc_co_u32_e32 v22, vcc, v19, v22, vcc
	v_add_u32_e32 v9, -9, v8
	v_add_co_u32_e32 v23, vcc, s12, v23
	v_lshlrev_b64 v[39:40], 3, v[9:10]
	v_addc_co_u32_e32 v24, vcc, v19, v24, vcc
	v_add_u32_e32 v9, -8, v8
	v_add_co_u32_e32 v39, vcc, s12, v39
	v_lshlrev_b64 v[41:42], 3, v[9:10]
	v_addc_co_u32_e32 v40, vcc, v19, v40, vcc
	v_add_co_u32_e32 v41, vcc, s12, v41
	v_addc_co_u32_e32 v42, vcc, v19, v42, vcc
	global_load_dwordx2 v[43:44], v[21:22], off
	global_load_dwordx2 v[45:46], v[23:24], off
	;; [unrolled: 1-line block ×4, first 2 shown]
	s_waitcnt vmcnt(4)
	v_fmac_f32_e32 v7, v25, v33
	v_fmac_f32_e32 v15, v26, v33
	v_fma_f32 v7, -v26, v34, v7
	v_fmac_f32_e32 v15, v25, v34
	v_fmac_f32_e32 v7, v27, v35
	;; [unrolled: 1-line block ×3, first 2 shown]
	global_load_dwordx4 v[21:24], v[37:38], off offset:32
	v_fma_f32 v7, -v28, v36, v7
	v_fmac_f32_e32 v15, v27, v36
	global_load_dwordx4 v[25:28], v[37:38], off offset:48
	s_waitcnt vmcnt(5)
	v_fmac_f32_e32 v17, v43, v29
	v_fmac_f32_e32 v16, v44, v29
	v_fma_f32 v9, -v44, v30, v17
	v_fmac_f32_e32 v16, v43, v30
	s_waitcnt vmcnt(4)
	v_fmac_f32_e32 v9, v45, v31
	v_fmac_f32_e32 v16, v46, v31
	v_fma_f32 v12, -v46, v32, v9
	v_add_u32_e32 v9, 4, v11
	v_fmac_f32_e32 v16, v45, v32
	v_lshlrev_b64 v[17:18], 3, v[9:10]
	s_waitcnt vmcnt(3)
	v_fmac_f32_e32 v12, v47, v33
	v_fmac_f32_e32 v16, v48, v33
	v_add_co_u32_e32 v17, vcc, s14, v17
	v_fma_f32 v12, -v48, v34, v12
	v_fmac_f32_e32 v16, v47, v34
	v_addc_co_u32_e32 v18, vcc, v20, v18, vcc
	s_waitcnt vmcnt(2)
	v_fmac_f32_e32 v12, v49, v35
	v_fmac_f32_e32 v16, v50, v35
	v_fma_f32 v12, -v50, v36, v12
	v_fmac_f32_e32 v16, v49, v36
	global_load_dwordx4 v[29:32], v[17:18], off
	global_load_dwordx4 v[33:36], v[17:18], off offset:16
	v_add_u32_e32 v9, -7, v8
	v_lshlrev_b64 v[17:18], 3, v[9:10]
	v_add_u32_e32 v9, -6, v8
	v_add_co_u32_e32 v17, vcc, s12, v17
	v_addc_co_u32_e32 v18, vcc, v19, v18, vcc
	s_waitcnt vmcnt(1)
	v_fmac_f32_e32 v7, v21, v29
	v_fmac_f32_e32 v15, v22, v29
	v_fma_f32 v7, -v22, v30, v7
	v_fmac_f32_e32 v15, v21, v30
	v_lshlrev_b64 v[21:22], 3, v[9:10]
	v_fmac_f32_e32 v7, v23, v31
	v_fmac_f32_e32 v15, v24, v31
	v_add_u32_e32 v9, -5, v8
	v_fma_f32 v7, -v24, v32, v7
	v_fmac_f32_e32 v15, v23, v32
	v_add_co_u32_e32 v21, vcc, s12, v21
	v_lshlrev_b64 v[23:24], 3, v[9:10]
	v_addc_co_u32_e32 v22, vcc, v19, v22, vcc
	v_add_u32_e32 v9, -4, v8
	v_add_co_u32_e32 v23, vcc, s12, v23
	v_lshlrev_b64 v[37:38], 3, v[9:10]
	v_addc_co_u32_e32 v24, vcc, v19, v24, vcc
	v_add_co_u32_e32 v37, vcc, s12, v37
	v_addc_co_u32_e32 v38, vcc, v19, v38, vcc
	global_load_dwordx2 v[39:40], v[17:18], off
	global_load_dwordx2 v[41:42], v[21:22], off
	;; [unrolled: 1-line block ×4, first 2 shown]
	s_waitcnt vmcnt(4)
	v_fmac_f32_e32 v7, v25, v33
	v_fmac_f32_e32 v15, v26, v33
	v_fma_f32 v7, -v26, v34, v7
	v_fmac_f32_e32 v15, v25, v34
	v_fmac_f32_e32 v7, v27, v35
	;; [unrolled: 1-line block ×3, first 2 shown]
	v_fma_f32 v7, -v28, v36, v7
	v_fmac_f32_e32 v15, v27, v36
	s_waitcnt vmcnt(3)
	v_fmac_f32_e32 v12, v39, v29
	v_fma_f32 v9, -v40, v30, v12
	v_fmac_f32_e32 v16, v40, v29
	s_waitcnt vmcnt(2)
	v_fmac_f32_e32 v9, v41, v31
	v_fmac_f32_e32 v16, v39, v30
	v_fma_f32 v39, -v42, v32, v9
	v_mov_b32_e32 v9, v10
	v_lshlrev_b64 v[17:18], 3, v[8:9]
	v_add_u32_e32 v9, -15, v8
	v_add_co_u32_e32 v17, vcc, s12, v17
	v_lshlrev_b64 v[21:22], 3, v[9:10]
	v_addc_co_u32_e32 v18, vcc, v19, v18, vcc
	v_add_u32_e32 v9, 8, v11
	v_add_co_u32_e32 v11, vcc, s12, v21
	v_addc_co_u32_e32 v12, vcc, v19, v22, vcc
	v_lshlrev_b64 v[21:22], 3, v[9:10]
	v_add_u32_e32 v9, -3, v8
	v_lshlrev_b64 v[23:24], 3, v[9:10]
	v_add_co_u32_e32 v29, vcc, s14, v21
	v_add_u32_e32 v9, -14, v8
	v_addc_co_u32_e32 v30, vcc, v20, v22, vcc
	v_fmac_f32_e32 v16, v42, v31
	v_add_co_u32_e32 v31, vcc, s12, v23
	v_lshlrev_b64 v[21:22], 3, v[9:10]
	v_fmac_f32_e32 v16, v41, v32
	v_addc_co_u32_e32 v32, vcc, v19, v24, vcc
	v_add_co_u32_e32 v37, vcc, s12, v21
	v_add_u32_e32 v9, -2, v8
	s_waitcnt vmcnt(1)
	v_fmac_f32_e32 v39, v43, v33
	v_addc_co_u32_e32 v38, vcc, v19, v22, vcc
	v_fma_f32 v23, -v44, v34, v39
	v_lshlrev_b64 v[21:22], 3, v[9:10]
	v_add_u32_e32 v9, -13, v8
	s_waitcnt vmcnt(0)
	v_fmac_f32_e32 v23, v45, v35
	v_fmac_f32_e32 v16, v44, v33
	v_fma_f32 v47, -v46, v36, v23
	v_lshlrev_b64 v[23:24], 3, v[9:10]
	v_add_co_u32_e32 v33, vcc, s12, v21
	v_fmac_f32_e32 v16, v43, v34
	v_add_u32_e32 v9, -1, v8
	v_addc_co_u32_e32 v34, vcc, v19, v22, vcc
	v_fmac_f32_e32 v16, v46, v35
	v_lshlrev_b64 v[21:22], 3, v[9:10]
	v_add_co_u32_e32 v35, vcc, s12, v23
	v_fmac_f32_e32 v16, v45, v36
	v_addc_co_u32_e32 v36, vcc, v19, v24, vcc
	v_add_u32_e32 v9, -12, v8
	v_add_co_u32_e32 v39, vcc, s12, v21
	v_addc_co_u32_e32 v40, vcc, v19, v22, vcc
	v_lshlrev_b64 v[21:22], 3, v[9:10]
	v_add_u32_e32 v8, 0x60, v8
	v_add_co_u32_e32 v41, vcc, s12, v21
	v_addc_co_u32_e32 v42, vcc, v19, v22, vcc
	global_load_dwordx2 v[43:44], v[11:12], off
	global_load_dwordx4 v[21:24], v[29:30], off
	global_load_dwordx4 v[25:28], v[29:30], off offset:16
	v_cmp_ge_i32_e32 vcc, v6, v14
	s_or_b64 s[0:1], vcc, s[0:1]
	s_waitcnt vmcnt(1)
	v_fmac_f32_e32 v7, v43, v21
	v_fmac_f32_e32 v15, v44, v21
	v_fma_f32 v7, -v44, v22, v7
	v_fmac_f32_e32 v15, v43, v22
	global_load_dwordx2 v[11:12], v[31:32], off
	global_load_dwordx2 v[29:30], v[37:38], off
	;; [unrolled: 1-line block ×4, first 2 shown]
	s_waitcnt vmcnt(3)
	v_fmac_f32_e32 v47, v11, v21
	v_fmac_f32_e32 v16, v12, v21
	s_waitcnt vmcnt(2)
	v_fmac_f32_e32 v7, v29, v23
	v_fmac_f32_e32 v15, v30, v23
	v_fma_f32 v9, -v12, v22, v47
	v_fmac_f32_e32 v16, v11, v22
	v_fma_f32 v7, -v30, v24, v7
	v_fmac_f32_e32 v15, v29, v24
	global_load_dwordx2 v[11:12], v[39:40], off
	global_load_dwordx2 v[21:22], v[41:42], off
	;; [unrolled: 1-line block ×3, first 2 shown]
	s_waitcnt vmcnt(4)
	v_fmac_f32_e32 v9, v43, v23
	v_fmac_f32_e32 v16, v44, v23
	v_fma_f32 v9, -v44, v24, v9
	v_fmac_f32_e32 v16, v43, v24
	s_waitcnt vmcnt(3)
	v_fmac_f32_e32 v7, v45, v25
	v_fmac_f32_e32 v15, v46, v25
	v_fma_f32 v7, -v46, v26, v7
	v_fmac_f32_e32 v15, v45, v26
	;; [unrolled: 5-line block ×3, first 2 shown]
	s_waitcnt vmcnt(1)
	v_fmac_f32_e32 v7, v21, v27
	v_fmac_f32_e32 v15, v22, v27
	s_waitcnt vmcnt(0)
	v_fmac_f32_e32 v9, v29, v27
	v_fmac_f32_e32 v16, v30, v27
	v_fma_f32 v18, -v22, v28, v7
	v_fmac_f32_e32 v15, v21, v28
	v_fma_f32 v17, -v30, v28, v9
	v_fmac_f32_e32 v16, v29, v28
	s_andn2_b64 exec, exec, s[0:1]
	s_cbranch_execnz .LBB202_13
; %bb.14:
	s_or_b64 exec, exec, s[0:1]
.LBB202_15:
	s_or_b64 exec, exec, s[6:7]
.LBB202_16:
	v_mov_b32_dpp v6, v18 row_shr:1 row_mask:0xf bank_mask:0xf
	v_mov_b32_dpp v8, v15 row_shr:1 row_mask:0xf bank_mask:0xf
	;; [unrolled: 1-line block ×4, first 2 shown]
	v_add_f32_e32 v6, v18, v6
	v_add_f32_e32 v8, v15, v8
	;; [unrolled: 1-line block ×4, first 2 shown]
	v_mov_b32_dpp v7, v6 row_shr:2 row_mask:0xf bank_mask:0xf
	v_mov_b32_dpp v9, v8 row_shr:2 row_mask:0xf bank_mask:0xf
	;; [unrolled: 1-line block ×4, first 2 shown]
	v_cmp_eq_u32_e32 vcc, 3, v0
	s_and_b64 exec, exec, vcc
	s_cbranch_execz .LBB202_21
; %bb.17:
	s_load_dwordx2 s[2:3], s[4:5], 0x38
	v_cmp_eq_f32_e32 vcc, 0, v3
	v_cmp_eq_f32_e64 s[0:1], 0, v4
	v_add_f32_e32 v7, v6, v7
	v_add_f32_e32 v8, v8, v9
	;; [unrolled: 1-line block ×4, first 2 shown]
	s_and_b64 s[0:1], vcc, s[0:1]
	s_and_saveexec_b64 s[4:5], s[0:1]
	s_xor_b64 s[0:1], exec, s[4:5]
	s_cbranch_execz .LBB202_19
; %bb.18:
	v_mul_f32_e64 v3, v8, -v2
	v_mul_f32_e32 v4, v1, v8
	v_fmac_f32_e32 v3, v1, v7
	v_fmac_f32_e32 v4, v2, v7
	v_lshlrev_b32_e32 v7, 1, v5
	v_ashrrev_i32_e32 v8, 31, v7
	v_lshlrev_b64 v[7:8], 3, v[7:8]
	s_waitcnt lgkmcnt(0)
	v_mov_b32_e32 v5, s3
	v_add_co_u32_e32 v7, vcc, s2, v7
	v_addc_co_u32_e32 v8, vcc, v5, v8, vcc
	v_mul_f32_e64 v5, v6, -v2
	v_mul_f32_e32 v6, v1, v6
	v_fmac_f32_e32 v5, v1, v0
	v_fmac_f32_e32 v6, v2, v0
	global_store_dwordx4 v[7:8], v[3:6], off
                                        ; implicit-def: $vgpr5
                                        ; implicit-def: $vgpr1_vgpr2
                                        ; implicit-def: $vgpr8
                                        ; implicit-def: $vgpr7
                                        ; implicit-def: $vgpr3_vgpr4
                                        ; implicit-def: $vgpr6
                                        ; implicit-def: $vgpr0
.LBB202_19:
	s_andn2_saveexec_b64 s[0:1], s[0:1]
	s_cbranch_execz .LBB202_21
; %bb.20:
	v_lshlrev_b32_e32 v9, 1, v5
	v_ashrrev_i32_e32 v10, 31, v9
	v_lshlrev_b64 v[9:10], 3, v[9:10]
	s_waitcnt lgkmcnt(0)
	v_mov_b32_e32 v5, s3
	v_add_co_u32_e32 v17, vcc, s2, v9
	v_addc_co_u32_e32 v18, vcc, v5, v10, vcc
	global_load_dwordx4 v[9:12], v[17:18], off
	v_mul_f32_e64 v5, v8, -v2
	v_mul_f32_e32 v14, v1, v8
	v_mul_f32_e64 v8, v6, -v2
	v_mul_f32_e32 v16, v1, v6
	v_fmac_f32_e32 v5, v1, v7
	v_fmac_f32_e32 v14, v2, v7
	;; [unrolled: 1-line block ×4, first 2 shown]
	s_waitcnt vmcnt(0)
	v_fmac_f32_e32 v5, v3, v9
	v_fmac_f32_e32 v14, v4, v9
	;; [unrolled: 1-line block ×4, first 2 shown]
	v_fma_f32 v13, -v4, v10, v5
	v_fmac_f32_e32 v14, v3, v10
	v_fma_f32 v15, -v4, v12, v8
	v_fmac_f32_e32 v16, v3, v12
	global_store_dwordx4 v[17:18], v[13:16], off
.LBB202_21:
	s_endpgm
	.section	.rodata,"a",@progbits
	.p2align	6, 0x0
	.amdhsa_kernel _ZN9rocsparseL19gebsrmvn_2xn_kernelILj128ELj12ELj4E21rocsparse_complex_numIfEEEvi20rocsparse_direction_NS_24const_host_device_scalarIT2_EEPKiS8_PKS5_SA_S6_PS5_21rocsparse_index_base_b
		.amdhsa_group_segment_fixed_size 0
		.amdhsa_private_segment_fixed_size 0
		.amdhsa_kernarg_size 72
		.amdhsa_user_sgpr_count 6
		.amdhsa_user_sgpr_private_segment_buffer 1
		.amdhsa_user_sgpr_dispatch_ptr 0
		.amdhsa_user_sgpr_queue_ptr 0
		.amdhsa_user_sgpr_kernarg_segment_ptr 1
		.amdhsa_user_sgpr_dispatch_id 0
		.amdhsa_user_sgpr_flat_scratch_init 0
		.amdhsa_user_sgpr_private_segment_size 0
		.amdhsa_uses_dynamic_stack 0
		.amdhsa_system_sgpr_private_segment_wavefront_offset 0
		.amdhsa_system_sgpr_workgroup_id_x 1
		.amdhsa_system_sgpr_workgroup_id_y 0
		.amdhsa_system_sgpr_workgroup_id_z 0
		.amdhsa_system_sgpr_workgroup_info 0
		.amdhsa_system_vgpr_workitem_id 0
		.amdhsa_next_free_vgpr 52
		.amdhsa_next_free_sgpr 16
		.amdhsa_reserve_vcc 1
		.amdhsa_reserve_flat_scratch 0
		.amdhsa_float_round_mode_32 0
		.amdhsa_float_round_mode_16_64 0
		.amdhsa_float_denorm_mode_32 3
		.amdhsa_float_denorm_mode_16_64 3
		.amdhsa_dx10_clamp 1
		.amdhsa_ieee_mode 1
		.amdhsa_fp16_overflow 0
		.amdhsa_exception_fp_ieee_invalid_op 0
		.amdhsa_exception_fp_denorm_src 0
		.amdhsa_exception_fp_ieee_div_zero 0
		.amdhsa_exception_fp_ieee_overflow 0
		.amdhsa_exception_fp_ieee_underflow 0
		.amdhsa_exception_fp_ieee_inexact 0
		.amdhsa_exception_int_div_zero 0
	.end_amdhsa_kernel
	.section	.text._ZN9rocsparseL19gebsrmvn_2xn_kernelILj128ELj12ELj4E21rocsparse_complex_numIfEEEvi20rocsparse_direction_NS_24const_host_device_scalarIT2_EEPKiS8_PKS5_SA_S6_PS5_21rocsparse_index_base_b,"axG",@progbits,_ZN9rocsparseL19gebsrmvn_2xn_kernelILj128ELj12ELj4E21rocsparse_complex_numIfEEEvi20rocsparse_direction_NS_24const_host_device_scalarIT2_EEPKiS8_PKS5_SA_S6_PS5_21rocsparse_index_base_b,comdat
.Lfunc_end202:
	.size	_ZN9rocsparseL19gebsrmvn_2xn_kernelILj128ELj12ELj4E21rocsparse_complex_numIfEEEvi20rocsparse_direction_NS_24const_host_device_scalarIT2_EEPKiS8_PKS5_SA_S6_PS5_21rocsparse_index_base_b, .Lfunc_end202-_ZN9rocsparseL19gebsrmvn_2xn_kernelILj128ELj12ELj4E21rocsparse_complex_numIfEEEvi20rocsparse_direction_NS_24const_host_device_scalarIT2_EEPKiS8_PKS5_SA_S6_PS5_21rocsparse_index_base_b
                                        ; -- End function
	.set _ZN9rocsparseL19gebsrmvn_2xn_kernelILj128ELj12ELj4E21rocsparse_complex_numIfEEEvi20rocsparse_direction_NS_24const_host_device_scalarIT2_EEPKiS8_PKS5_SA_S6_PS5_21rocsparse_index_base_b.num_vgpr, 52
	.set _ZN9rocsparseL19gebsrmvn_2xn_kernelILj128ELj12ELj4E21rocsparse_complex_numIfEEEvi20rocsparse_direction_NS_24const_host_device_scalarIT2_EEPKiS8_PKS5_SA_S6_PS5_21rocsparse_index_base_b.num_agpr, 0
	.set _ZN9rocsparseL19gebsrmvn_2xn_kernelILj128ELj12ELj4E21rocsparse_complex_numIfEEEvi20rocsparse_direction_NS_24const_host_device_scalarIT2_EEPKiS8_PKS5_SA_S6_PS5_21rocsparse_index_base_b.numbered_sgpr, 16
	.set _ZN9rocsparseL19gebsrmvn_2xn_kernelILj128ELj12ELj4E21rocsparse_complex_numIfEEEvi20rocsparse_direction_NS_24const_host_device_scalarIT2_EEPKiS8_PKS5_SA_S6_PS5_21rocsparse_index_base_b.num_named_barrier, 0
	.set _ZN9rocsparseL19gebsrmvn_2xn_kernelILj128ELj12ELj4E21rocsparse_complex_numIfEEEvi20rocsparse_direction_NS_24const_host_device_scalarIT2_EEPKiS8_PKS5_SA_S6_PS5_21rocsparse_index_base_b.private_seg_size, 0
	.set _ZN9rocsparseL19gebsrmvn_2xn_kernelILj128ELj12ELj4E21rocsparse_complex_numIfEEEvi20rocsparse_direction_NS_24const_host_device_scalarIT2_EEPKiS8_PKS5_SA_S6_PS5_21rocsparse_index_base_b.uses_vcc, 1
	.set _ZN9rocsparseL19gebsrmvn_2xn_kernelILj128ELj12ELj4E21rocsparse_complex_numIfEEEvi20rocsparse_direction_NS_24const_host_device_scalarIT2_EEPKiS8_PKS5_SA_S6_PS5_21rocsparse_index_base_b.uses_flat_scratch, 0
	.set _ZN9rocsparseL19gebsrmvn_2xn_kernelILj128ELj12ELj4E21rocsparse_complex_numIfEEEvi20rocsparse_direction_NS_24const_host_device_scalarIT2_EEPKiS8_PKS5_SA_S6_PS5_21rocsparse_index_base_b.has_dyn_sized_stack, 0
	.set _ZN9rocsparseL19gebsrmvn_2xn_kernelILj128ELj12ELj4E21rocsparse_complex_numIfEEEvi20rocsparse_direction_NS_24const_host_device_scalarIT2_EEPKiS8_PKS5_SA_S6_PS5_21rocsparse_index_base_b.has_recursion, 0
	.set _ZN9rocsparseL19gebsrmvn_2xn_kernelILj128ELj12ELj4E21rocsparse_complex_numIfEEEvi20rocsparse_direction_NS_24const_host_device_scalarIT2_EEPKiS8_PKS5_SA_S6_PS5_21rocsparse_index_base_b.has_indirect_call, 0
	.section	.AMDGPU.csdata,"",@progbits
; Kernel info:
; codeLenInByte = 3020
; TotalNumSgprs: 20
; NumVgprs: 52
; ScratchSize: 0
; MemoryBound: 0
; FloatMode: 240
; IeeeMode: 1
; LDSByteSize: 0 bytes/workgroup (compile time only)
; SGPRBlocks: 2
; VGPRBlocks: 12
; NumSGPRsForWavesPerEU: 20
; NumVGPRsForWavesPerEU: 52
; Occupancy: 4
; WaveLimiterHint : 1
; COMPUTE_PGM_RSRC2:SCRATCH_EN: 0
; COMPUTE_PGM_RSRC2:USER_SGPR: 6
; COMPUTE_PGM_RSRC2:TRAP_HANDLER: 0
; COMPUTE_PGM_RSRC2:TGID_X_EN: 1
; COMPUTE_PGM_RSRC2:TGID_Y_EN: 0
; COMPUTE_PGM_RSRC2:TGID_Z_EN: 0
; COMPUTE_PGM_RSRC2:TIDIG_COMP_CNT: 0
	.section	.text._ZN9rocsparseL19gebsrmvn_2xn_kernelILj128ELj12ELj8E21rocsparse_complex_numIfEEEvi20rocsparse_direction_NS_24const_host_device_scalarIT2_EEPKiS8_PKS5_SA_S6_PS5_21rocsparse_index_base_b,"axG",@progbits,_ZN9rocsparseL19gebsrmvn_2xn_kernelILj128ELj12ELj8E21rocsparse_complex_numIfEEEvi20rocsparse_direction_NS_24const_host_device_scalarIT2_EEPKiS8_PKS5_SA_S6_PS5_21rocsparse_index_base_b,comdat
	.globl	_ZN9rocsparseL19gebsrmvn_2xn_kernelILj128ELj12ELj8E21rocsparse_complex_numIfEEEvi20rocsparse_direction_NS_24const_host_device_scalarIT2_EEPKiS8_PKS5_SA_S6_PS5_21rocsparse_index_base_b ; -- Begin function _ZN9rocsparseL19gebsrmvn_2xn_kernelILj128ELj12ELj8E21rocsparse_complex_numIfEEEvi20rocsparse_direction_NS_24const_host_device_scalarIT2_EEPKiS8_PKS5_SA_S6_PS5_21rocsparse_index_base_b
	.p2align	8
	.type	_ZN9rocsparseL19gebsrmvn_2xn_kernelILj128ELj12ELj8E21rocsparse_complex_numIfEEEvi20rocsparse_direction_NS_24const_host_device_scalarIT2_EEPKiS8_PKS5_SA_S6_PS5_21rocsparse_index_base_b,@function
_ZN9rocsparseL19gebsrmvn_2xn_kernelILj128ELj12ELj8E21rocsparse_complex_numIfEEEvi20rocsparse_direction_NS_24const_host_device_scalarIT2_EEPKiS8_PKS5_SA_S6_PS5_21rocsparse_index_base_b: ; @_ZN9rocsparseL19gebsrmvn_2xn_kernelILj128ELj12ELj8E21rocsparse_complex_numIfEEEvi20rocsparse_direction_NS_24const_host_device_scalarIT2_EEPKiS8_PKS5_SA_S6_PS5_21rocsparse_index_base_b
; %bb.0:
	s_load_dwordx2 s[0:1], s[4:5], 0x8
	s_load_dwordx2 s[8:9], s[4:5], 0x30
	;; [unrolled: 1-line block ×3, first 2 shown]
	s_add_u32 s7, s4, 8
	s_addc_u32 s10, s5, 0
	s_add_u32 s11, s4, 48
	s_addc_u32 s12, s5, 0
	s_waitcnt lgkmcnt(0)
	s_bitcmp1_b32 s3, 0
	s_cselect_b32 s1, s10, s1
	s_cselect_b32 s0, s7, s0
	v_mov_b32_e32 v1, s0
	v_mov_b32_e32 v2, s1
	flat_load_dwordx2 v[1:2], v[1:2]
	s_cselect_b32 s0, s12, s9
	s_cselect_b32 s1, s11, s8
	v_mov_b32_e32 v3, s1
	v_mov_b32_e32 v4, s0
	flat_load_dwordx2 v[3:4], v[3:4]
	s_waitcnt vmcnt(0) lgkmcnt(0)
	v_cmp_eq_f32_e32 vcc, 0, v1
	v_cmp_eq_f32_e64 s[0:1], 0, v2
	s_and_b64 s[10:11], vcc, s[0:1]
	s_mov_b64 s[0:1], -1
	s_and_saveexec_b64 s[8:9], s[10:11]
; %bb.1:
	v_cmp_neq_f32_e32 vcc, 1.0, v3
	v_cmp_neq_f32_e64 s[0:1], 0, v4
	s_or_b64 s[0:1], vcc, s[0:1]
	s_orn2_b64 s[0:1], s[0:1], exec
; %bb.2:
	s_or_b64 exec, exec, s[8:9]
	s_and_saveexec_b64 s[8:9], s[0:1]
	s_cbranch_execz .LBB203_21
; %bb.3:
	s_load_dwordx2 s[0:1], s[4:5], 0x0
	v_lshrrev_b32_e32 v5, 3, v0
	v_lshl_or_b32 v5, s6, 4, v5
	s_waitcnt lgkmcnt(0)
	v_cmp_gt_i32_e32 vcc, s0, v5
	s_and_b64 exec, exec, vcc
	s_cbranch_execz .LBB203_21
; %bb.4:
	s_load_dwordx8 s[8:15], s[4:5], 0x10
	v_ashrrev_i32_e32 v6, 31, v5
	v_lshlrev_b64 v[6:7], 2, v[5:6]
	v_and_b32_e32 v0, 7, v0
	s_cmp_lg_u32 s1, 0
	s_waitcnt lgkmcnt(0)
	v_mov_b32_e32 v8, s9
	v_add_co_u32_e32 v6, vcc, s8, v6
	v_addc_co_u32_e32 v7, vcc, v8, v7, vcc
	global_load_dwordx2 v[6:7], v[6:7], off
	s_waitcnt vmcnt(0)
	v_subrev_u32_e32 v6, s2, v6
	v_subrev_u32_e32 v14, s2, v7
	v_add_u32_e32 v6, v6, v0
	v_cmp_lt_i32_e64 s[0:1], v6, v14
	s_cbranch_scc0 .LBB203_10
; %bb.5:
	v_mov_b32_e32 v15, 0
	v_mov_b32_e32 v18, 0
	;; [unrolled: 1-line block ×4, first 2 shown]
	s_and_saveexec_b64 s[6:7], s[0:1]
	s_cbranch_execz .LBB203_9
; %bb.6:
	v_mad_u64_u32 v[7:8], s[8:9], v6, 24, 22
	v_mov_b32_e32 v10, 0
	s_mov_b64 s[8:9], 0
	v_mov_b32_e32 v19, s11
	v_mov_b32_e32 v20, s13
	;; [unrolled: 1-line block ×8, first 2 shown]
.LBB203_7:                              ; =>This Inner Loop Header: Depth=1
	v_ashrrev_i32_e32 v12, 31, v11
	v_lshlrev_b64 v[22:23], 2, v[11:12]
	v_subrev_u32_e32 v9, 22, v7
	v_lshlrev_b64 v[24:25], 3, v[9:10]
	v_add_co_u32_e32 v38, vcc, s10, v22
	v_mov_b32_e32 v8, v10
	v_addc_co_u32_e32 v39, vcc, v19, v23, vcc
	v_lshlrev_b64 v[26:27], 3, v[7:8]
	v_add_co_u32_e32 v40, vcc, s12, v24
	v_addc_co_u32_e32 v41, vcc, v20, v25, vcc
	v_add_co_u32_e32 v50, vcc, s12, v26
	v_addc_co_u32_e32 v51, vcc, v20, v27, vcc
	global_load_dword v12, v[38:39], off
	global_load_dwordx4 v[22:25], v[40:41], off
	global_load_dwordx4 v[26:29], v[40:41], off offset:16
	global_load_dwordx4 v[30:33], v[40:41], off offset:32
	;; [unrolled: 1-line block ×3, first 2 shown]
	v_add_u32_e32 v9, -14, v7
	v_lshlrev_b64 v[8:9], 3, v[9:10]
	v_mov_b32_e32 v13, v10
	v_add_co_u32_e32 v8, vcc, s12, v8
	v_addc_co_u32_e32 v9, vcc, v20, v9, vcc
	v_add_u32_e32 v11, 8, v11
	s_waitcnt vmcnt(4)
	v_subrev_u32_e32 v12, s2, v12
	v_mul_lo_u32 v12, v12, 12
	v_lshlrev_b64 v[38:39], 3, v[12:13]
	v_add_co_u32_e32 v46, vcc, s14, v38
	v_addc_co_u32_e32 v47, vcc, v21, v39, vcc
	global_load_dwordx4 v[38:41], v[46:47], off
	global_load_dwordx4 v[42:45], v[46:47], off offset:16
	s_waitcnt vmcnt(1)
	v_fmac_f32_e32 v18, v22, v38
	v_fmac_f32_e32 v15, v23, v38
	v_fmac_f32_e32 v17, v24, v38
	v_fmac_f32_e32 v16, v25, v38
	v_fma_f32 v13, -v23, v39, v18
	v_fmac_f32_e32 v15, v22, v39
	v_fma_f32 v38, -v25, v39, v17
	v_fmac_f32_e32 v16, v24, v39
	global_load_dwordx4 v[22:25], v[8:9], off
	v_add_u32_e32 v9, 4, v12
	v_lshlrev_b64 v[17:18], 3, v[9:10]
	v_add_u32_e32 v9, -12, v7
	v_fmac_f32_e32 v13, v26, v40
	v_fmac_f32_e32 v15, v27, v40
	v_fma_f32 v8, -v27, v41, v13
	v_fmac_f32_e32 v15, v26, v41
	v_lshlrev_b64 v[26:27], 3, v[9:10]
	v_add_co_u32_e32 v17, vcc, s14, v17
	v_addc_co_u32_e32 v18, vcc, v21, v18, vcc
	v_fmac_f32_e32 v38, v28, v40
	v_fmac_f32_e32 v16, v29, v40
	v_add_co_u32_e32 v40, vcc, s12, v26
	v_fma_f32 v13, -v29, v41, v38
	v_fmac_f32_e32 v16, v28, v41
	v_addc_co_u32_e32 v41, vcc, v20, v27, vcc
	global_load_dwordx4 v[26:29], v[17:18], off
	v_add_u32_e32 v9, -10, v7
	v_lshlrev_b64 v[38:39], 3, v[9:10]
	v_add_u32_e32 v9, -8, v7
	s_waitcnt vmcnt(2)
	v_fmac_f32_e32 v8, v30, v42
	v_fmac_f32_e32 v15, v31, v42
	;; [unrolled: 1-line block ×4, first 2 shown]
	v_fma_f32 v8, -v31, v43, v8
	v_fmac_f32_e32 v15, v30, v43
	v_fma_f32 v13, -v33, v43, v13
	v_fmac_f32_e32 v16, v32, v43
	global_load_dwordx4 v[30:33], v[17:18], off offset:16
	v_lshlrev_b64 v[17:18], 3, v[9:10]
	v_add_co_u32_e32 v38, vcc, s12, v38
	v_add_u32_e32 v9, -6, v7
	v_addc_co_u32_e32 v39, vcc, v20, v39, vcc
	v_fmac_f32_e32 v13, v36, v44
	v_lshlrev_b64 v[42:43], 3, v[9:10]
	v_add_u32_e32 v9, 8, v12
	v_add_co_u32_e32 v12, vcc, s12, v17
	v_fmac_f32_e32 v8, v34, v44
	v_fmac_f32_e32 v15, v35, v44
	;; [unrolled: 1-line block ×3, first 2 shown]
	v_fma_f32 v48, -v37, v45, v13
	v_addc_co_u32_e32 v13, vcc, v20, v18, vcc
	v_fma_f32 v8, -v35, v45, v8
	v_fmac_f32_e32 v15, v34, v45
	v_fmac_f32_e32 v16, v36, v45
	global_load_dwordx4 v[34:37], v[40:41], off
	v_add_co_u32_e32 v46, vcc, s12, v42
	v_addc_co_u32_e32 v47, vcc, v20, v43, vcc
	v_lshlrev_b64 v[17:18], 3, v[9:10]
	v_add_u32_e32 v9, -4, v7
	v_add_co_u32_e32 v17, vcc, s14, v17
	v_addc_co_u32_e32 v18, vcc, v21, v18, vcc
	global_load_dwordx4 v[42:45], v[12:13], off
	v_lshlrev_b64 v[12:13], 3, v[9:10]
	v_add_u32_e32 v9, -2, v7
	v_add_u32_e32 v7, 0xc0, v7
	v_add_co_u32_e32 v12, vcc, s12, v12
	v_addc_co_u32_e32 v13, vcc, v20, v13, vcc
	s_waitcnt vmcnt(3)
	v_fmac_f32_e32 v8, v22, v26
	v_fmac_f32_e32 v15, v23, v26
	v_fmac_f32_e32 v48, v24, v26
	v_fmac_f32_e32 v16, v25, v26
	v_fma_f32 v8, -v23, v27, v8
	v_fmac_f32_e32 v15, v22, v27
	v_fma_f32 v26, -v25, v27, v48
	v_fmac_f32_e32 v16, v24, v27
	global_load_dwordx4 v[22:25], v[46:47], off
	s_waitcnt vmcnt(2)
	v_fmac_f32_e32 v8, v34, v28
	global_load_dwordx4 v[38:41], v[38:39], off
	v_fmac_f32_e32 v15, v35, v28
	v_fmac_f32_e32 v26, v36, v28
	;; [unrolled: 1-line block ×3, first 2 shown]
	v_fma_f32 v46, -v35, v29, v8
	v_fmac_f32_e32 v15, v34, v29
	v_fma_f32 v47, -v37, v29, v26
	v_fmac_f32_e32 v16, v36, v29
	v_lshlrev_b64 v[8:9], 3, v[9:10]
	global_load_dwordx4 v[26:29], v[17:18], off
	global_load_dwordx4 v[34:37], v[17:18], off offset:16
	v_add_co_u32_e32 v8, vcc, s12, v8
	v_addc_co_u32_e32 v9, vcc, v20, v9, vcc
	v_cmp_ge_i32_e32 vcc, v11, v14
	s_or_b64 s[8:9], vcc, s[8:9]
	s_waitcnt vmcnt(2)
	v_fmac_f32_e32 v46, v38, v30
	v_fmac_f32_e32 v15, v39, v30
	v_fmac_f32_e32 v47, v40, v30
	v_fmac_f32_e32 v16, v41, v30
	v_fma_f32 v17, -v39, v31, v46
	v_fmac_f32_e32 v15, v38, v31
	v_fma_f32 v18, -v41, v31, v47
	v_fmac_f32_e32 v16, v40, v31
	global_load_dwordx4 v[38:41], v[12:13], off
	global_load_dwordx4 v[46:49], v[8:9], off
	v_fmac_f32_e32 v17, v42, v32
	v_fmac_f32_e32 v15, v43, v32
	;; [unrolled: 1-line block ×4, first 2 shown]
	v_fma_f32 v8, -v43, v33, v17
	v_fmac_f32_e32 v15, v42, v33
	v_fma_f32 v9, -v45, v33, v18
	v_fmac_f32_e32 v16, v44, v33
	global_load_dwordx4 v[30:33], v[50:51], off
	s_waitcnt vmcnt(4)
	v_fmac_f32_e32 v8, v22, v26
	v_fmac_f32_e32 v15, v23, v26
	v_fmac_f32_e32 v9, v24, v26
	v_fmac_f32_e32 v16, v25, v26
	v_fma_f32 v8, -v23, v27, v8
	v_fmac_f32_e32 v15, v22, v27
	v_fma_f32 v9, -v25, v27, v9
	v_fmac_f32_e32 v16, v24, v27
	s_waitcnt vmcnt(2)
	v_fmac_f32_e32 v8, v38, v28
	v_fmac_f32_e32 v15, v39, v28
	v_fmac_f32_e32 v9, v40, v28
	v_fmac_f32_e32 v16, v41, v28
	v_fma_f32 v8, -v39, v29, v8
	v_fmac_f32_e32 v15, v38, v29
	v_fma_f32 v9, -v41, v29, v9
	v_fmac_f32_e32 v16, v40, v29
	;; [unrolled: 9-line block ×4, first 2 shown]
	s_andn2_b64 exec, exec, s[8:9]
	s_cbranch_execnz .LBB203_7
; %bb.8:
	s_or_b64 exec, exec, s[8:9]
.LBB203_9:
	s_or_b64 exec, exec, s[6:7]
	s_cbranch_execz .LBB203_11
	s_branch .LBB203_16
.LBB203_10:
                                        ; implicit-def: $vgpr15
                                        ; implicit-def: $vgpr18
                                        ; implicit-def: $vgpr17
                                        ; implicit-def: $vgpr16
.LBB203_11:
	v_mov_b32_e32 v15, 0
	v_mov_b32_e32 v18, 0
	;; [unrolled: 1-line block ×4, first 2 shown]
	s_and_saveexec_b64 s[6:7], s[0:1]
	s_cbranch_execz .LBB203_15
; %bb.12:
	v_mad_u64_u32 v[8:9], s[0:1], v6, 24, 23
	v_mov_b32_e32 v10, 0
	s_mov_b64 s[0:1], 0
	v_mov_b32_e32 v13, s11
	v_mov_b32_e32 v19, s13
	v_mov_b32_e32 v20, s15
	v_mov_b32_e32 v15, 0
	v_mov_b32_e32 v18, 0
	v_mov_b32_e32 v17, 0
	v_mov_b32_e32 v16, 0
.LBB203_13:                             ; =>This Inner Loop Header: Depth=1
	v_ashrrev_i32_e32 v7, 31, v6
	v_lshlrev_b64 v[21:22], 2, v[6:7]
	v_subrev_u32_e32 v9, 23, v8
	v_lshlrev_b64 v[23:24], 3, v[9:10]
	v_add_co_u32_e32 v29, vcc, s10, v21
	v_addc_co_u32_e32 v30, vcc, v13, v22, vcc
	v_add_co_u32_e32 v37, vcc, s12, v23
	v_addc_co_u32_e32 v38, vcc, v19, v24, vcc
	global_load_dword v7, v[29:30], off
	global_load_dwordx4 v[21:24], v[37:38], off
	global_load_dwordx4 v[25:28], v[37:38], off offset:16
	v_mov_b32_e32 v12, v10
	v_add_u32_e32 v9, -10, v8
	v_add_u32_e32 v6, 8, v6
	s_waitcnt vmcnt(2)
	v_subrev_u32_e32 v7, s2, v7
	v_mul_lo_u32 v11, v7, 12
	v_lshlrev_b64 v[29:30], 3, v[11:12]
	v_add_co_u32_e32 v39, vcc, s14, v29
	v_addc_co_u32_e32 v40, vcc, v20, v30, vcc
	global_load_dwordx4 v[29:32], v[39:40], off
	global_load_dwordx4 v[33:36], v[39:40], off offset:16
	s_waitcnt vmcnt(1)
	v_fmac_f32_e32 v18, v21, v29
	v_fmac_f32_e32 v15, v22, v29
	v_fma_f32 v7, -v22, v30, v18
	v_fmac_f32_e32 v15, v21, v30
	v_add_u32_e32 v21, -11, v8
	v_mov_b32_e32 v22, v10
	v_lshlrev_b64 v[21:22], 3, v[21:22]
	v_fmac_f32_e32 v7, v23, v31
	v_fmac_f32_e32 v15, v24, v31
	v_fma_f32 v7, -v24, v32, v7
	v_fmac_f32_e32 v15, v23, v32
	v_add_co_u32_e32 v21, vcc, s12, v21
	v_lshlrev_b64 v[23:24], 3, v[9:10]
	v_addc_co_u32_e32 v22, vcc, v19, v22, vcc
	v_add_u32_e32 v9, -9, v8
	v_add_co_u32_e32 v23, vcc, s12, v23
	v_lshlrev_b64 v[39:40], 3, v[9:10]
	v_addc_co_u32_e32 v24, vcc, v19, v24, vcc
	v_add_u32_e32 v9, -8, v8
	v_add_co_u32_e32 v39, vcc, s12, v39
	v_lshlrev_b64 v[41:42], 3, v[9:10]
	v_addc_co_u32_e32 v40, vcc, v19, v40, vcc
	v_add_co_u32_e32 v41, vcc, s12, v41
	v_addc_co_u32_e32 v42, vcc, v19, v42, vcc
	global_load_dwordx2 v[43:44], v[21:22], off
	global_load_dwordx2 v[45:46], v[23:24], off
	;; [unrolled: 1-line block ×4, first 2 shown]
	s_waitcnt vmcnt(4)
	v_fmac_f32_e32 v7, v25, v33
	v_fmac_f32_e32 v15, v26, v33
	v_fma_f32 v7, -v26, v34, v7
	v_fmac_f32_e32 v15, v25, v34
	v_fmac_f32_e32 v7, v27, v35
	;; [unrolled: 1-line block ×3, first 2 shown]
	global_load_dwordx4 v[21:24], v[37:38], off offset:32
	v_fma_f32 v7, -v28, v36, v7
	v_fmac_f32_e32 v15, v27, v36
	global_load_dwordx4 v[25:28], v[37:38], off offset:48
	s_waitcnt vmcnt(5)
	v_fmac_f32_e32 v17, v43, v29
	v_fmac_f32_e32 v16, v44, v29
	v_fma_f32 v9, -v44, v30, v17
	v_fmac_f32_e32 v16, v43, v30
	s_waitcnt vmcnt(4)
	v_fmac_f32_e32 v9, v45, v31
	v_fmac_f32_e32 v16, v46, v31
	v_fma_f32 v12, -v46, v32, v9
	v_add_u32_e32 v9, 4, v11
	v_fmac_f32_e32 v16, v45, v32
	v_lshlrev_b64 v[17:18], 3, v[9:10]
	s_waitcnt vmcnt(3)
	v_fmac_f32_e32 v12, v47, v33
	v_fmac_f32_e32 v16, v48, v33
	v_add_co_u32_e32 v17, vcc, s14, v17
	v_fma_f32 v12, -v48, v34, v12
	v_fmac_f32_e32 v16, v47, v34
	v_addc_co_u32_e32 v18, vcc, v20, v18, vcc
	s_waitcnt vmcnt(2)
	v_fmac_f32_e32 v12, v49, v35
	v_fmac_f32_e32 v16, v50, v35
	v_fma_f32 v12, -v50, v36, v12
	v_fmac_f32_e32 v16, v49, v36
	global_load_dwordx4 v[29:32], v[17:18], off
	global_load_dwordx4 v[33:36], v[17:18], off offset:16
	v_add_u32_e32 v9, -7, v8
	v_lshlrev_b64 v[17:18], 3, v[9:10]
	v_add_u32_e32 v9, -6, v8
	v_add_co_u32_e32 v17, vcc, s12, v17
	v_addc_co_u32_e32 v18, vcc, v19, v18, vcc
	s_waitcnt vmcnt(1)
	v_fmac_f32_e32 v7, v21, v29
	v_fmac_f32_e32 v15, v22, v29
	v_fma_f32 v7, -v22, v30, v7
	v_fmac_f32_e32 v15, v21, v30
	v_lshlrev_b64 v[21:22], 3, v[9:10]
	v_fmac_f32_e32 v7, v23, v31
	v_fmac_f32_e32 v15, v24, v31
	v_add_u32_e32 v9, -5, v8
	v_fma_f32 v7, -v24, v32, v7
	v_fmac_f32_e32 v15, v23, v32
	v_add_co_u32_e32 v21, vcc, s12, v21
	v_lshlrev_b64 v[23:24], 3, v[9:10]
	v_addc_co_u32_e32 v22, vcc, v19, v22, vcc
	v_add_u32_e32 v9, -4, v8
	v_add_co_u32_e32 v23, vcc, s12, v23
	v_lshlrev_b64 v[37:38], 3, v[9:10]
	v_addc_co_u32_e32 v24, vcc, v19, v24, vcc
	v_add_co_u32_e32 v37, vcc, s12, v37
	v_addc_co_u32_e32 v38, vcc, v19, v38, vcc
	global_load_dwordx2 v[39:40], v[17:18], off
	global_load_dwordx2 v[41:42], v[21:22], off
	;; [unrolled: 1-line block ×4, first 2 shown]
	s_waitcnt vmcnt(4)
	v_fmac_f32_e32 v7, v25, v33
	v_fmac_f32_e32 v15, v26, v33
	v_fma_f32 v7, -v26, v34, v7
	v_fmac_f32_e32 v15, v25, v34
	v_fmac_f32_e32 v7, v27, v35
	;; [unrolled: 1-line block ×3, first 2 shown]
	v_fma_f32 v7, -v28, v36, v7
	v_fmac_f32_e32 v15, v27, v36
	s_waitcnt vmcnt(3)
	v_fmac_f32_e32 v12, v39, v29
	v_fma_f32 v9, -v40, v30, v12
	v_fmac_f32_e32 v16, v40, v29
	s_waitcnt vmcnt(2)
	v_fmac_f32_e32 v9, v41, v31
	v_fmac_f32_e32 v16, v39, v30
	v_fma_f32 v39, -v42, v32, v9
	v_mov_b32_e32 v9, v10
	v_lshlrev_b64 v[17:18], 3, v[8:9]
	v_add_u32_e32 v9, -15, v8
	v_add_co_u32_e32 v17, vcc, s12, v17
	v_lshlrev_b64 v[21:22], 3, v[9:10]
	v_addc_co_u32_e32 v18, vcc, v19, v18, vcc
	v_add_u32_e32 v9, 8, v11
	v_add_co_u32_e32 v11, vcc, s12, v21
	v_addc_co_u32_e32 v12, vcc, v19, v22, vcc
	v_lshlrev_b64 v[21:22], 3, v[9:10]
	v_add_u32_e32 v9, -3, v8
	v_lshlrev_b64 v[23:24], 3, v[9:10]
	v_add_co_u32_e32 v29, vcc, s14, v21
	v_add_u32_e32 v9, -14, v8
	v_addc_co_u32_e32 v30, vcc, v20, v22, vcc
	v_fmac_f32_e32 v16, v42, v31
	v_add_co_u32_e32 v31, vcc, s12, v23
	v_lshlrev_b64 v[21:22], 3, v[9:10]
	v_fmac_f32_e32 v16, v41, v32
	v_addc_co_u32_e32 v32, vcc, v19, v24, vcc
	v_add_co_u32_e32 v37, vcc, s12, v21
	v_add_u32_e32 v9, -2, v8
	s_waitcnt vmcnt(1)
	v_fmac_f32_e32 v39, v43, v33
	v_addc_co_u32_e32 v38, vcc, v19, v22, vcc
	v_fma_f32 v23, -v44, v34, v39
	v_lshlrev_b64 v[21:22], 3, v[9:10]
	v_add_u32_e32 v9, -13, v8
	s_waitcnt vmcnt(0)
	v_fmac_f32_e32 v23, v45, v35
	v_fmac_f32_e32 v16, v44, v33
	v_fma_f32 v47, -v46, v36, v23
	v_lshlrev_b64 v[23:24], 3, v[9:10]
	v_add_co_u32_e32 v33, vcc, s12, v21
	v_fmac_f32_e32 v16, v43, v34
	v_add_u32_e32 v9, -1, v8
	v_addc_co_u32_e32 v34, vcc, v19, v22, vcc
	v_fmac_f32_e32 v16, v46, v35
	v_lshlrev_b64 v[21:22], 3, v[9:10]
	v_add_co_u32_e32 v35, vcc, s12, v23
	v_fmac_f32_e32 v16, v45, v36
	v_addc_co_u32_e32 v36, vcc, v19, v24, vcc
	v_add_u32_e32 v9, -12, v8
	v_add_co_u32_e32 v39, vcc, s12, v21
	v_addc_co_u32_e32 v40, vcc, v19, v22, vcc
	v_lshlrev_b64 v[21:22], 3, v[9:10]
	v_add_u32_e32 v8, 0xc0, v8
	v_add_co_u32_e32 v41, vcc, s12, v21
	v_addc_co_u32_e32 v42, vcc, v19, v22, vcc
	global_load_dwordx2 v[43:44], v[11:12], off
	global_load_dwordx4 v[21:24], v[29:30], off
	global_load_dwordx4 v[25:28], v[29:30], off offset:16
	v_cmp_ge_i32_e32 vcc, v6, v14
	s_or_b64 s[0:1], vcc, s[0:1]
	s_waitcnt vmcnt(1)
	v_fmac_f32_e32 v7, v43, v21
	v_fmac_f32_e32 v15, v44, v21
	v_fma_f32 v7, -v44, v22, v7
	v_fmac_f32_e32 v15, v43, v22
	global_load_dwordx2 v[11:12], v[31:32], off
	global_load_dwordx2 v[29:30], v[37:38], off
	;; [unrolled: 1-line block ×4, first 2 shown]
	s_waitcnt vmcnt(3)
	v_fmac_f32_e32 v47, v11, v21
	v_fmac_f32_e32 v16, v12, v21
	s_waitcnt vmcnt(2)
	v_fmac_f32_e32 v7, v29, v23
	v_fmac_f32_e32 v15, v30, v23
	v_fma_f32 v9, -v12, v22, v47
	v_fmac_f32_e32 v16, v11, v22
	v_fma_f32 v7, -v30, v24, v7
	v_fmac_f32_e32 v15, v29, v24
	global_load_dwordx2 v[11:12], v[39:40], off
	global_load_dwordx2 v[21:22], v[41:42], off
	;; [unrolled: 1-line block ×3, first 2 shown]
	s_waitcnt vmcnt(4)
	v_fmac_f32_e32 v9, v43, v23
	v_fmac_f32_e32 v16, v44, v23
	v_fma_f32 v9, -v44, v24, v9
	v_fmac_f32_e32 v16, v43, v24
	s_waitcnt vmcnt(3)
	v_fmac_f32_e32 v7, v45, v25
	v_fmac_f32_e32 v15, v46, v25
	v_fma_f32 v7, -v46, v26, v7
	v_fmac_f32_e32 v15, v45, v26
	;; [unrolled: 5-line block ×3, first 2 shown]
	s_waitcnt vmcnt(1)
	v_fmac_f32_e32 v7, v21, v27
	v_fmac_f32_e32 v15, v22, v27
	s_waitcnt vmcnt(0)
	v_fmac_f32_e32 v9, v29, v27
	v_fmac_f32_e32 v16, v30, v27
	v_fma_f32 v18, -v22, v28, v7
	v_fmac_f32_e32 v15, v21, v28
	v_fma_f32 v17, -v30, v28, v9
	v_fmac_f32_e32 v16, v29, v28
	s_andn2_b64 exec, exec, s[0:1]
	s_cbranch_execnz .LBB203_13
; %bb.14:
	s_or_b64 exec, exec, s[0:1]
.LBB203_15:
	s_or_b64 exec, exec, s[6:7]
.LBB203_16:
	v_mov_b32_dpp v6, v18 row_shr:1 row_mask:0xf bank_mask:0xf
	v_mov_b32_dpp v8, v15 row_shr:1 row_mask:0xf bank_mask:0xf
	;; [unrolled: 1-line block ×4, first 2 shown]
	v_add_f32_e32 v6, v18, v6
	v_add_f32_e32 v8, v15, v8
	;; [unrolled: 1-line block ×4, first 2 shown]
	v_mov_b32_dpp v7, v6 row_shr:2 row_mask:0xf bank_mask:0xf
	v_mov_b32_dpp v9, v8 row_shr:2 row_mask:0xf bank_mask:0xf
	;; [unrolled: 1-line block ×4, first 2 shown]
	v_add_f32_e32 v6, v6, v7
	v_add_f32_e32 v8, v8, v9
	;; [unrolled: 1-line block ×4, first 2 shown]
	v_mov_b32_dpp v7, v6 row_shr:4 row_mask:0xf bank_mask:0xe
	v_mov_b32_dpp v9, v8 row_shr:4 row_mask:0xf bank_mask:0xe
	;; [unrolled: 1-line block ×4, first 2 shown]
	v_cmp_eq_u32_e32 vcc, 7, v0
	s_and_b64 exec, exec, vcc
	s_cbranch_execz .LBB203_21
; %bb.17:
	s_load_dwordx2 s[2:3], s[4:5], 0x38
	v_cmp_eq_f32_e32 vcc, 0, v3
	v_cmp_eq_f32_e64 s[0:1], 0, v4
	v_add_f32_e32 v7, v6, v7
	v_add_f32_e32 v8, v8, v9
	v_add_f32_e32 v0, v10, v11
	v_add_f32_e32 v6, v12, v13
	s_and_b64 s[0:1], vcc, s[0:1]
	s_and_saveexec_b64 s[4:5], s[0:1]
	s_xor_b64 s[0:1], exec, s[4:5]
	s_cbranch_execz .LBB203_19
; %bb.18:
	v_mul_f32_e64 v3, v8, -v2
	v_mul_f32_e32 v4, v1, v8
	v_fmac_f32_e32 v3, v1, v7
	v_fmac_f32_e32 v4, v2, v7
	v_lshlrev_b32_e32 v7, 1, v5
	v_ashrrev_i32_e32 v8, 31, v7
	v_lshlrev_b64 v[7:8], 3, v[7:8]
	s_waitcnt lgkmcnt(0)
	v_mov_b32_e32 v5, s3
	v_add_co_u32_e32 v7, vcc, s2, v7
	v_addc_co_u32_e32 v8, vcc, v5, v8, vcc
	v_mul_f32_e64 v5, v6, -v2
	v_mul_f32_e32 v6, v1, v6
	v_fmac_f32_e32 v5, v1, v0
	v_fmac_f32_e32 v6, v2, v0
	global_store_dwordx4 v[7:8], v[3:6], off
                                        ; implicit-def: $vgpr5
                                        ; implicit-def: $vgpr1_vgpr2
                                        ; implicit-def: $vgpr8
                                        ; implicit-def: $vgpr7
                                        ; implicit-def: $vgpr3_vgpr4
                                        ; implicit-def: $vgpr6
                                        ; implicit-def: $vgpr0
.LBB203_19:
	s_andn2_saveexec_b64 s[0:1], s[0:1]
	s_cbranch_execz .LBB203_21
; %bb.20:
	v_lshlrev_b32_e32 v9, 1, v5
	v_ashrrev_i32_e32 v10, 31, v9
	v_lshlrev_b64 v[9:10], 3, v[9:10]
	s_waitcnt lgkmcnt(0)
	v_mov_b32_e32 v5, s3
	v_add_co_u32_e32 v17, vcc, s2, v9
	v_addc_co_u32_e32 v18, vcc, v5, v10, vcc
	global_load_dwordx4 v[9:12], v[17:18], off
	v_mul_f32_e64 v5, v8, -v2
	v_mul_f32_e32 v14, v1, v8
	v_mul_f32_e64 v8, v6, -v2
	v_mul_f32_e32 v16, v1, v6
	v_fmac_f32_e32 v5, v1, v7
	v_fmac_f32_e32 v14, v2, v7
	;; [unrolled: 1-line block ×4, first 2 shown]
	s_waitcnt vmcnt(0)
	v_fmac_f32_e32 v5, v3, v9
	v_fmac_f32_e32 v14, v4, v9
	;; [unrolled: 1-line block ×4, first 2 shown]
	v_fma_f32 v13, -v4, v10, v5
	v_fmac_f32_e32 v14, v3, v10
	v_fma_f32 v15, -v4, v12, v8
	v_fmac_f32_e32 v16, v3, v12
	global_store_dwordx4 v[17:18], v[13:16], off
.LBB203_21:
	s_endpgm
	.section	.rodata,"a",@progbits
	.p2align	6, 0x0
	.amdhsa_kernel _ZN9rocsparseL19gebsrmvn_2xn_kernelILj128ELj12ELj8E21rocsparse_complex_numIfEEEvi20rocsparse_direction_NS_24const_host_device_scalarIT2_EEPKiS8_PKS5_SA_S6_PS5_21rocsparse_index_base_b
		.amdhsa_group_segment_fixed_size 0
		.amdhsa_private_segment_fixed_size 0
		.amdhsa_kernarg_size 72
		.amdhsa_user_sgpr_count 6
		.amdhsa_user_sgpr_private_segment_buffer 1
		.amdhsa_user_sgpr_dispatch_ptr 0
		.amdhsa_user_sgpr_queue_ptr 0
		.amdhsa_user_sgpr_kernarg_segment_ptr 1
		.amdhsa_user_sgpr_dispatch_id 0
		.amdhsa_user_sgpr_flat_scratch_init 0
		.amdhsa_user_sgpr_private_segment_size 0
		.amdhsa_uses_dynamic_stack 0
		.amdhsa_system_sgpr_private_segment_wavefront_offset 0
		.amdhsa_system_sgpr_workgroup_id_x 1
		.amdhsa_system_sgpr_workgroup_id_y 0
		.amdhsa_system_sgpr_workgroup_id_z 0
		.amdhsa_system_sgpr_workgroup_info 0
		.amdhsa_system_vgpr_workitem_id 0
		.amdhsa_next_free_vgpr 52
		.amdhsa_next_free_sgpr 16
		.amdhsa_reserve_vcc 1
		.amdhsa_reserve_flat_scratch 0
		.amdhsa_float_round_mode_32 0
		.amdhsa_float_round_mode_16_64 0
		.amdhsa_float_denorm_mode_32 3
		.amdhsa_float_denorm_mode_16_64 3
		.amdhsa_dx10_clamp 1
		.amdhsa_ieee_mode 1
		.amdhsa_fp16_overflow 0
		.amdhsa_exception_fp_ieee_invalid_op 0
		.amdhsa_exception_fp_denorm_src 0
		.amdhsa_exception_fp_ieee_div_zero 0
		.amdhsa_exception_fp_ieee_overflow 0
		.amdhsa_exception_fp_ieee_underflow 0
		.amdhsa_exception_fp_ieee_inexact 0
		.amdhsa_exception_int_div_zero 0
	.end_amdhsa_kernel
	.section	.text._ZN9rocsparseL19gebsrmvn_2xn_kernelILj128ELj12ELj8E21rocsparse_complex_numIfEEEvi20rocsparse_direction_NS_24const_host_device_scalarIT2_EEPKiS8_PKS5_SA_S6_PS5_21rocsparse_index_base_b,"axG",@progbits,_ZN9rocsparseL19gebsrmvn_2xn_kernelILj128ELj12ELj8E21rocsparse_complex_numIfEEEvi20rocsparse_direction_NS_24const_host_device_scalarIT2_EEPKiS8_PKS5_SA_S6_PS5_21rocsparse_index_base_b,comdat
.Lfunc_end203:
	.size	_ZN9rocsparseL19gebsrmvn_2xn_kernelILj128ELj12ELj8E21rocsparse_complex_numIfEEEvi20rocsparse_direction_NS_24const_host_device_scalarIT2_EEPKiS8_PKS5_SA_S6_PS5_21rocsparse_index_base_b, .Lfunc_end203-_ZN9rocsparseL19gebsrmvn_2xn_kernelILj128ELj12ELj8E21rocsparse_complex_numIfEEEvi20rocsparse_direction_NS_24const_host_device_scalarIT2_EEPKiS8_PKS5_SA_S6_PS5_21rocsparse_index_base_b
                                        ; -- End function
	.set _ZN9rocsparseL19gebsrmvn_2xn_kernelILj128ELj12ELj8E21rocsparse_complex_numIfEEEvi20rocsparse_direction_NS_24const_host_device_scalarIT2_EEPKiS8_PKS5_SA_S6_PS5_21rocsparse_index_base_b.num_vgpr, 52
	.set _ZN9rocsparseL19gebsrmvn_2xn_kernelILj128ELj12ELj8E21rocsparse_complex_numIfEEEvi20rocsparse_direction_NS_24const_host_device_scalarIT2_EEPKiS8_PKS5_SA_S6_PS5_21rocsparse_index_base_b.num_agpr, 0
	.set _ZN9rocsparseL19gebsrmvn_2xn_kernelILj128ELj12ELj8E21rocsparse_complex_numIfEEEvi20rocsparse_direction_NS_24const_host_device_scalarIT2_EEPKiS8_PKS5_SA_S6_PS5_21rocsparse_index_base_b.numbered_sgpr, 16
	.set _ZN9rocsparseL19gebsrmvn_2xn_kernelILj128ELj12ELj8E21rocsparse_complex_numIfEEEvi20rocsparse_direction_NS_24const_host_device_scalarIT2_EEPKiS8_PKS5_SA_S6_PS5_21rocsparse_index_base_b.num_named_barrier, 0
	.set _ZN9rocsparseL19gebsrmvn_2xn_kernelILj128ELj12ELj8E21rocsparse_complex_numIfEEEvi20rocsparse_direction_NS_24const_host_device_scalarIT2_EEPKiS8_PKS5_SA_S6_PS5_21rocsparse_index_base_b.private_seg_size, 0
	.set _ZN9rocsparseL19gebsrmvn_2xn_kernelILj128ELj12ELj8E21rocsparse_complex_numIfEEEvi20rocsparse_direction_NS_24const_host_device_scalarIT2_EEPKiS8_PKS5_SA_S6_PS5_21rocsparse_index_base_b.uses_vcc, 1
	.set _ZN9rocsparseL19gebsrmvn_2xn_kernelILj128ELj12ELj8E21rocsparse_complex_numIfEEEvi20rocsparse_direction_NS_24const_host_device_scalarIT2_EEPKiS8_PKS5_SA_S6_PS5_21rocsparse_index_base_b.uses_flat_scratch, 0
	.set _ZN9rocsparseL19gebsrmvn_2xn_kernelILj128ELj12ELj8E21rocsparse_complex_numIfEEEvi20rocsparse_direction_NS_24const_host_device_scalarIT2_EEPKiS8_PKS5_SA_S6_PS5_21rocsparse_index_base_b.has_dyn_sized_stack, 0
	.set _ZN9rocsparseL19gebsrmvn_2xn_kernelILj128ELj12ELj8E21rocsparse_complex_numIfEEEvi20rocsparse_direction_NS_24const_host_device_scalarIT2_EEPKiS8_PKS5_SA_S6_PS5_21rocsparse_index_base_b.has_recursion, 0
	.set _ZN9rocsparseL19gebsrmvn_2xn_kernelILj128ELj12ELj8E21rocsparse_complex_numIfEEEvi20rocsparse_direction_NS_24const_host_device_scalarIT2_EEPKiS8_PKS5_SA_S6_PS5_21rocsparse_index_base_b.has_indirect_call, 0
	.section	.AMDGPU.csdata,"",@progbits
; Kernel info:
; codeLenInByte = 3068
; TotalNumSgprs: 20
; NumVgprs: 52
; ScratchSize: 0
; MemoryBound: 0
; FloatMode: 240
; IeeeMode: 1
; LDSByteSize: 0 bytes/workgroup (compile time only)
; SGPRBlocks: 2
; VGPRBlocks: 12
; NumSGPRsForWavesPerEU: 20
; NumVGPRsForWavesPerEU: 52
; Occupancy: 4
; WaveLimiterHint : 1
; COMPUTE_PGM_RSRC2:SCRATCH_EN: 0
; COMPUTE_PGM_RSRC2:USER_SGPR: 6
; COMPUTE_PGM_RSRC2:TRAP_HANDLER: 0
; COMPUTE_PGM_RSRC2:TGID_X_EN: 1
; COMPUTE_PGM_RSRC2:TGID_Y_EN: 0
; COMPUTE_PGM_RSRC2:TGID_Z_EN: 0
; COMPUTE_PGM_RSRC2:TIDIG_COMP_CNT: 0
	.section	.text._ZN9rocsparseL19gebsrmvn_2xn_kernelILj128ELj12ELj16E21rocsparse_complex_numIfEEEvi20rocsparse_direction_NS_24const_host_device_scalarIT2_EEPKiS8_PKS5_SA_S6_PS5_21rocsparse_index_base_b,"axG",@progbits,_ZN9rocsparseL19gebsrmvn_2xn_kernelILj128ELj12ELj16E21rocsparse_complex_numIfEEEvi20rocsparse_direction_NS_24const_host_device_scalarIT2_EEPKiS8_PKS5_SA_S6_PS5_21rocsparse_index_base_b,comdat
	.globl	_ZN9rocsparseL19gebsrmvn_2xn_kernelILj128ELj12ELj16E21rocsparse_complex_numIfEEEvi20rocsparse_direction_NS_24const_host_device_scalarIT2_EEPKiS8_PKS5_SA_S6_PS5_21rocsparse_index_base_b ; -- Begin function _ZN9rocsparseL19gebsrmvn_2xn_kernelILj128ELj12ELj16E21rocsparse_complex_numIfEEEvi20rocsparse_direction_NS_24const_host_device_scalarIT2_EEPKiS8_PKS5_SA_S6_PS5_21rocsparse_index_base_b
	.p2align	8
	.type	_ZN9rocsparseL19gebsrmvn_2xn_kernelILj128ELj12ELj16E21rocsparse_complex_numIfEEEvi20rocsparse_direction_NS_24const_host_device_scalarIT2_EEPKiS8_PKS5_SA_S6_PS5_21rocsparse_index_base_b,@function
_ZN9rocsparseL19gebsrmvn_2xn_kernelILj128ELj12ELj16E21rocsparse_complex_numIfEEEvi20rocsparse_direction_NS_24const_host_device_scalarIT2_EEPKiS8_PKS5_SA_S6_PS5_21rocsparse_index_base_b: ; @_ZN9rocsparseL19gebsrmvn_2xn_kernelILj128ELj12ELj16E21rocsparse_complex_numIfEEEvi20rocsparse_direction_NS_24const_host_device_scalarIT2_EEPKiS8_PKS5_SA_S6_PS5_21rocsparse_index_base_b
; %bb.0:
	s_load_dwordx2 s[0:1], s[4:5], 0x8
	s_load_dwordx2 s[8:9], s[4:5], 0x30
	;; [unrolled: 1-line block ×3, first 2 shown]
	s_add_u32 s7, s4, 8
	s_addc_u32 s10, s5, 0
	s_add_u32 s11, s4, 48
	s_addc_u32 s12, s5, 0
	s_waitcnt lgkmcnt(0)
	s_bitcmp1_b32 s3, 0
	s_cselect_b32 s1, s10, s1
	s_cselect_b32 s0, s7, s0
	v_mov_b32_e32 v1, s0
	v_mov_b32_e32 v2, s1
	flat_load_dwordx2 v[1:2], v[1:2]
	s_cselect_b32 s0, s12, s9
	s_cselect_b32 s1, s11, s8
	v_mov_b32_e32 v3, s1
	v_mov_b32_e32 v4, s0
	flat_load_dwordx2 v[3:4], v[3:4]
	s_waitcnt vmcnt(0) lgkmcnt(0)
	v_cmp_eq_f32_e32 vcc, 0, v1
	v_cmp_eq_f32_e64 s[0:1], 0, v2
	s_and_b64 s[10:11], vcc, s[0:1]
	s_mov_b64 s[0:1], -1
	s_and_saveexec_b64 s[8:9], s[10:11]
; %bb.1:
	v_cmp_neq_f32_e32 vcc, 1.0, v3
	v_cmp_neq_f32_e64 s[0:1], 0, v4
	s_or_b64 s[0:1], vcc, s[0:1]
	s_orn2_b64 s[0:1], s[0:1], exec
; %bb.2:
	s_or_b64 exec, exec, s[8:9]
	s_and_saveexec_b64 s[8:9], s[0:1]
	s_cbranch_execz .LBB204_21
; %bb.3:
	s_load_dwordx2 s[0:1], s[4:5], 0x0
	v_lshrrev_b32_e32 v5, 4, v0
	v_lshl_or_b32 v5, s6, 3, v5
	s_waitcnt lgkmcnt(0)
	v_cmp_gt_i32_e32 vcc, s0, v5
	s_and_b64 exec, exec, vcc
	s_cbranch_execz .LBB204_21
; %bb.4:
	s_load_dwordx8 s[8:15], s[4:5], 0x10
	v_ashrrev_i32_e32 v6, 31, v5
	v_lshlrev_b64 v[6:7], 2, v[5:6]
	v_and_b32_e32 v0, 15, v0
	s_cmp_lg_u32 s1, 0
	s_waitcnt lgkmcnt(0)
	v_mov_b32_e32 v8, s9
	v_add_co_u32_e32 v6, vcc, s8, v6
	v_addc_co_u32_e32 v7, vcc, v8, v7, vcc
	global_load_dwordx2 v[6:7], v[6:7], off
	s_waitcnt vmcnt(0)
	v_subrev_u32_e32 v6, s2, v6
	v_subrev_u32_e32 v14, s2, v7
	v_add_u32_e32 v6, v6, v0
	v_cmp_lt_i32_e64 s[0:1], v6, v14
	s_cbranch_scc0 .LBB204_10
; %bb.5:
	v_mov_b32_e32 v15, 0
	v_mov_b32_e32 v18, 0
	;; [unrolled: 1-line block ×4, first 2 shown]
	s_and_saveexec_b64 s[6:7], s[0:1]
	s_cbranch_execz .LBB204_9
; %bb.6:
	v_mad_u64_u32 v[7:8], s[8:9], v6, 24, 22
	v_mov_b32_e32 v10, 0
	s_mov_b64 s[8:9], 0
	v_mov_b32_e32 v19, s11
	v_mov_b32_e32 v20, s13
	;; [unrolled: 1-line block ×8, first 2 shown]
.LBB204_7:                              ; =>This Inner Loop Header: Depth=1
	v_ashrrev_i32_e32 v12, 31, v11
	v_lshlrev_b64 v[22:23], 2, v[11:12]
	v_subrev_u32_e32 v9, 22, v7
	v_lshlrev_b64 v[24:25], 3, v[9:10]
	v_add_co_u32_e32 v38, vcc, s10, v22
	v_mov_b32_e32 v8, v10
	v_addc_co_u32_e32 v39, vcc, v19, v23, vcc
	v_lshlrev_b64 v[26:27], 3, v[7:8]
	v_add_co_u32_e32 v40, vcc, s12, v24
	v_addc_co_u32_e32 v41, vcc, v20, v25, vcc
	v_add_co_u32_e32 v50, vcc, s12, v26
	v_addc_co_u32_e32 v51, vcc, v20, v27, vcc
	global_load_dword v12, v[38:39], off
	global_load_dwordx4 v[22:25], v[40:41], off
	global_load_dwordx4 v[26:29], v[40:41], off offset:16
	global_load_dwordx4 v[30:33], v[40:41], off offset:32
	;; [unrolled: 1-line block ×3, first 2 shown]
	v_add_u32_e32 v9, -14, v7
	v_lshlrev_b64 v[8:9], 3, v[9:10]
	v_mov_b32_e32 v13, v10
	v_add_co_u32_e32 v8, vcc, s12, v8
	v_addc_co_u32_e32 v9, vcc, v20, v9, vcc
	v_add_u32_e32 v11, 16, v11
	s_waitcnt vmcnt(4)
	v_subrev_u32_e32 v12, s2, v12
	v_mul_lo_u32 v12, v12, 12
	v_lshlrev_b64 v[38:39], 3, v[12:13]
	v_add_co_u32_e32 v46, vcc, s14, v38
	v_addc_co_u32_e32 v47, vcc, v21, v39, vcc
	global_load_dwordx4 v[38:41], v[46:47], off
	global_load_dwordx4 v[42:45], v[46:47], off offset:16
	s_waitcnt vmcnt(1)
	v_fmac_f32_e32 v18, v22, v38
	v_fmac_f32_e32 v15, v23, v38
	;; [unrolled: 1-line block ×4, first 2 shown]
	v_fma_f32 v13, -v23, v39, v18
	v_fmac_f32_e32 v15, v22, v39
	v_fma_f32 v38, -v25, v39, v17
	v_fmac_f32_e32 v16, v24, v39
	global_load_dwordx4 v[22:25], v[8:9], off
	v_add_u32_e32 v9, 4, v12
	v_lshlrev_b64 v[17:18], 3, v[9:10]
	v_add_u32_e32 v9, -12, v7
	v_fmac_f32_e32 v13, v26, v40
	v_fmac_f32_e32 v15, v27, v40
	v_fma_f32 v8, -v27, v41, v13
	v_fmac_f32_e32 v15, v26, v41
	v_lshlrev_b64 v[26:27], 3, v[9:10]
	v_add_co_u32_e32 v17, vcc, s14, v17
	v_addc_co_u32_e32 v18, vcc, v21, v18, vcc
	v_fmac_f32_e32 v38, v28, v40
	v_fmac_f32_e32 v16, v29, v40
	v_add_co_u32_e32 v40, vcc, s12, v26
	v_fma_f32 v13, -v29, v41, v38
	v_fmac_f32_e32 v16, v28, v41
	v_addc_co_u32_e32 v41, vcc, v20, v27, vcc
	global_load_dwordx4 v[26:29], v[17:18], off
	v_add_u32_e32 v9, -10, v7
	v_lshlrev_b64 v[38:39], 3, v[9:10]
	v_add_u32_e32 v9, -8, v7
	s_waitcnt vmcnt(2)
	v_fmac_f32_e32 v8, v30, v42
	v_fmac_f32_e32 v15, v31, v42
	;; [unrolled: 1-line block ×4, first 2 shown]
	v_fma_f32 v8, -v31, v43, v8
	v_fmac_f32_e32 v15, v30, v43
	v_fma_f32 v13, -v33, v43, v13
	v_fmac_f32_e32 v16, v32, v43
	global_load_dwordx4 v[30:33], v[17:18], off offset:16
	v_lshlrev_b64 v[17:18], 3, v[9:10]
	v_add_co_u32_e32 v38, vcc, s12, v38
	v_add_u32_e32 v9, -6, v7
	v_addc_co_u32_e32 v39, vcc, v20, v39, vcc
	v_fmac_f32_e32 v13, v36, v44
	v_lshlrev_b64 v[42:43], 3, v[9:10]
	v_add_u32_e32 v9, 8, v12
	v_add_co_u32_e32 v12, vcc, s12, v17
	v_fmac_f32_e32 v8, v34, v44
	v_fmac_f32_e32 v15, v35, v44
	v_fmac_f32_e32 v16, v37, v44
	v_fma_f32 v48, -v37, v45, v13
	v_addc_co_u32_e32 v13, vcc, v20, v18, vcc
	v_fma_f32 v8, -v35, v45, v8
	v_fmac_f32_e32 v15, v34, v45
	v_fmac_f32_e32 v16, v36, v45
	global_load_dwordx4 v[34:37], v[40:41], off
	v_add_co_u32_e32 v46, vcc, s12, v42
	v_addc_co_u32_e32 v47, vcc, v20, v43, vcc
	v_lshlrev_b64 v[17:18], 3, v[9:10]
	v_add_u32_e32 v9, -4, v7
	v_add_co_u32_e32 v17, vcc, s14, v17
	v_addc_co_u32_e32 v18, vcc, v21, v18, vcc
	global_load_dwordx4 v[42:45], v[12:13], off
	v_lshlrev_b64 v[12:13], 3, v[9:10]
	v_add_u32_e32 v9, -2, v7
	v_add_u32_e32 v7, 0x180, v7
	v_add_co_u32_e32 v12, vcc, s12, v12
	v_addc_co_u32_e32 v13, vcc, v20, v13, vcc
	s_waitcnt vmcnt(3)
	v_fmac_f32_e32 v8, v22, v26
	v_fmac_f32_e32 v15, v23, v26
	;; [unrolled: 1-line block ×4, first 2 shown]
	v_fma_f32 v8, -v23, v27, v8
	v_fmac_f32_e32 v15, v22, v27
	v_fma_f32 v26, -v25, v27, v48
	v_fmac_f32_e32 v16, v24, v27
	global_load_dwordx4 v[22:25], v[46:47], off
	s_waitcnt vmcnt(2)
	v_fmac_f32_e32 v8, v34, v28
	global_load_dwordx4 v[38:41], v[38:39], off
	v_fmac_f32_e32 v15, v35, v28
	v_fmac_f32_e32 v26, v36, v28
	;; [unrolled: 1-line block ×3, first 2 shown]
	v_fma_f32 v46, -v35, v29, v8
	v_fmac_f32_e32 v15, v34, v29
	v_fma_f32 v47, -v37, v29, v26
	v_fmac_f32_e32 v16, v36, v29
	v_lshlrev_b64 v[8:9], 3, v[9:10]
	global_load_dwordx4 v[26:29], v[17:18], off
	global_load_dwordx4 v[34:37], v[17:18], off offset:16
	v_add_co_u32_e32 v8, vcc, s12, v8
	v_addc_co_u32_e32 v9, vcc, v20, v9, vcc
	v_cmp_ge_i32_e32 vcc, v11, v14
	s_or_b64 s[8:9], vcc, s[8:9]
	s_waitcnt vmcnt(2)
	v_fmac_f32_e32 v46, v38, v30
	v_fmac_f32_e32 v15, v39, v30
	;; [unrolled: 1-line block ×4, first 2 shown]
	v_fma_f32 v17, -v39, v31, v46
	v_fmac_f32_e32 v15, v38, v31
	v_fma_f32 v18, -v41, v31, v47
	v_fmac_f32_e32 v16, v40, v31
	global_load_dwordx4 v[38:41], v[12:13], off
	global_load_dwordx4 v[46:49], v[8:9], off
	v_fmac_f32_e32 v17, v42, v32
	v_fmac_f32_e32 v15, v43, v32
	v_fmac_f32_e32 v18, v44, v32
	v_fmac_f32_e32 v16, v45, v32
	v_fma_f32 v8, -v43, v33, v17
	v_fmac_f32_e32 v15, v42, v33
	v_fma_f32 v9, -v45, v33, v18
	v_fmac_f32_e32 v16, v44, v33
	global_load_dwordx4 v[30:33], v[50:51], off
	s_waitcnt vmcnt(4)
	v_fmac_f32_e32 v8, v22, v26
	v_fmac_f32_e32 v15, v23, v26
	v_fmac_f32_e32 v9, v24, v26
	v_fmac_f32_e32 v16, v25, v26
	v_fma_f32 v8, -v23, v27, v8
	v_fmac_f32_e32 v15, v22, v27
	v_fma_f32 v9, -v25, v27, v9
	v_fmac_f32_e32 v16, v24, v27
	s_waitcnt vmcnt(2)
	v_fmac_f32_e32 v8, v38, v28
	v_fmac_f32_e32 v15, v39, v28
	v_fmac_f32_e32 v9, v40, v28
	v_fmac_f32_e32 v16, v41, v28
	v_fma_f32 v8, -v39, v29, v8
	v_fmac_f32_e32 v15, v38, v29
	v_fma_f32 v9, -v41, v29, v9
	v_fmac_f32_e32 v16, v40, v29
	;; [unrolled: 9-line block ×4, first 2 shown]
	s_andn2_b64 exec, exec, s[8:9]
	s_cbranch_execnz .LBB204_7
; %bb.8:
	s_or_b64 exec, exec, s[8:9]
.LBB204_9:
	s_or_b64 exec, exec, s[6:7]
	s_cbranch_execz .LBB204_11
	s_branch .LBB204_16
.LBB204_10:
                                        ; implicit-def: $vgpr15
                                        ; implicit-def: $vgpr18
                                        ; implicit-def: $vgpr17
                                        ; implicit-def: $vgpr16
.LBB204_11:
	v_mov_b32_e32 v15, 0
	v_mov_b32_e32 v18, 0
	;; [unrolled: 1-line block ×4, first 2 shown]
	s_and_saveexec_b64 s[6:7], s[0:1]
	s_cbranch_execz .LBB204_15
; %bb.12:
	v_mad_u64_u32 v[8:9], s[0:1], v6, 24, 23
	v_mov_b32_e32 v10, 0
	s_mov_b64 s[0:1], 0
	v_mov_b32_e32 v13, s11
	v_mov_b32_e32 v19, s13
	;; [unrolled: 1-line block ×7, first 2 shown]
.LBB204_13:                             ; =>This Inner Loop Header: Depth=1
	v_ashrrev_i32_e32 v7, 31, v6
	v_lshlrev_b64 v[21:22], 2, v[6:7]
	v_subrev_u32_e32 v9, 23, v8
	v_lshlrev_b64 v[23:24], 3, v[9:10]
	v_add_co_u32_e32 v29, vcc, s10, v21
	v_addc_co_u32_e32 v30, vcc, v13, v22, vcc
	v_add_co_u32_e32 v37, vcc, s12, v23
	v_addc_co_u32_e32 v38, vcc, v19, v24, vcc
	global_load_dword v7, v[29:30], off
	global_load_dwordx4 v[21:24], v[37:38], off
	global_load_dwordx4 v[25:28], v[37:38], off offset:16
	v_mov_b32_e32 v12, v10
	v_add_u32_e32 v9, -10, v8
	v_add_u32_e32 v6, 16, v6
	s_waitcnt vmcnt(2)
	v_subrev_u32_e32 v7, s2, v7
	v_mul_lo_u32 v11, v7, 12
	v_lshlrev_b64 v[29:30], 3, v[11:12]
	v_add_co_u32_e32 v39, vcc, s14, v29
	v_addc_co_u32_e32 v40, vcc, v20, v30, vcc
	global_load_dwordx4 v[29:32], v[39:40], off
	global_load_dwordx4 v[33:36], v[39:40], off offset:16
	s_waitcnt vmcnt(1)
	v_fmac_f32_e32 v18, v21, v29
	v_fmac_f32_e32 v15, v22, v29
	v_fma_f32 v7, -v22, v30, v18
	v_fmac_f32_e32 v15, v21, v30
	v_add_u32_e32 v21, -11, v8
	v_mov_b32_e32 v22, v10
	v_lshlrev_b64 v[21:22], 3, v[21:22]
	v_fmac_f32_e32 v7, v23, v31
	v_fmac_f32_e32 v15, v24, v31
	v_fma_f32 v7, -v24, v32, v7
	v_fmac_f32_e32 v15, v23, v32
	v_add_co_u32_e32 v21, vcc, s12, v21
	v_lshlrev_b64 v[23:24], 3, v[9:10]
	v_addc_co_u32_e32 v22, vcc, v19, v22, vcc
	v_add_u32_e32 v9, -9, v8
	v_add_co_u32_e32 v23, vcc, s12, v23
	v_lshlrev_b64 v[39:40], 3, v[9:10]
	v_addc_co_u32_e32 v24, vcc, v19, v24, vcc
	v_add_u32_e32 v9, -8, v8
	v_add_co_u32_e32 v39, vcc, s12, v39
	v_lshlrev_b64 v[41:42], 3, v[9:10]
	v_addc_co_u32_e32 v40, vcc, v19, v40, vcc
	v_add_co_u32_e32 v41, vcc, s12, v41
	v_addc_co_u32_e32 v42, vcc, v19, v42, vcc
	global_load_dwordx2 v[43:44], v[21:22], off
	global_load_dwordx2 v[45:46], v[23:24], off
	global_load_dwordx2 v[47:48], v[39:40], off
	global_load_dwordx2 v[49:50], v[41:42], off
	s_waitcnt vmcnt(4)
	v_fmac_f32_e32 v7, v25, v33
	v_fmac_f32_e32 v15, v26, v33
	v_fma_f32 v7, -v26, v34, v7
	v_fmac_f32_e32 v15, v25, v34
	v_fmac_f32_e32 v7, v27, v35
	;; [unrolled: 1-line block ×3, first 2 shown]
	global_load_dwordx4 v[21:24], v[37:38], off offset:32
	v_fma_f32 v7, -v28, v36, v7
	v_fmac_f32_e32 v15, v27, v36
	global_load_dwordx4 v[25:28], v[37:38], off offset:48
	s_waitcnt vmcnt(5)
	v_fmac_f32_e32 v17, v43, v29
	v_fmac_f32_e32 v16, v44, v29
	v_fma_f32 v9, -v44, v30, v17
	v_fmac_f32_e32 v16, v43, v30
	s_waitcnt vmcnt(4)
	v_fmac_f32_e32 v9, v45, v31
	v_fmac_f32_e32 v16, v46, v31
	v_fma_f32 v12, -v46, v32, v9
	v_add_u32_e32 v9, 4, v11
	v_fmac_f32_e32 v16, v45, v32
	v_lshlrev_b64 v[17:18], 3, v[9:10]
	s_waitcnt vmcnt(3)
	v_fmac_f32_e32 v12, v47, v33
	v_fmac_f32_e32 v16, v48, v33
	v_add_co_u32_e32 v17, vcc, s14, v17
	v_fma_f32 v12, -v48, v34, v12
	v_fmac_f32_e32 v16, v47, v34
	v_addc_co_u32_e32 v18, vcc, v20, v18, vcc
	s_waitcnt vmcnt(2)
	v_fmac_f32_e32 v12, v49, v35
	v_fmac_f32_e32 v16, v50, v35
	v_fma_f32 v12, -v50, v36, v12
	v_fmac_f32_e32 v16, v49, v36
	global_load_dwordx4 v[29:32], v[17:18], off
	global_load_dwordx4 v[33:36], v[17:18], off offset:16
	v_add_u32_e32 v9, -7, v8
	v_lshlrev_b64 v[17:18], 3, v[9:10]
	v_add_u32_e32 v9, -6, v8
	v_add_co_u32_e32 v17, vcc, s12, v17
	v_addc_co_u32_e32 v18, vcc, v19, v18, vcc
	s_waitcnt vmcnt(1)
	v_fmac_f32_e32 v7, v21, v29
	v_fmac_f32_e32 v15, v22, v29
	v_fma_f32 v7, -v22, v30, v7
	v_fmac_f32_e32 v15, v21, v30
	v_lshlrev_b64 v[21:22], 3, v[9:10]
	v_fmac_f32_e32 v7, v23, v31
	v_fmac_f32_e32 v15, v24, v31
	v_add_u32_e32 v9, -5, v8
	v_fma_f32 v7, -v24, v32, v7
	v_fmac_f32_e32 v15, v23, v32
	v_add_co_u32_e32 v21, vcc, s12, v21
	v_lshlrev_b64 v[23:24], 3, v[9:10]
	v_addc_co_u32_e32 v22, vcc, v19, v22, vcc
	v_add_u32_e32 v9, -4, v8
	v_add_co_u32_e32 v23, vcc, s12, v23
	v_lshlrev_b64 v[37:38], 3, v[9:10]
	v_addc_co_u32_e32 v24, vcc, v19, v24, vcc
	v_add_co_u32_e32 v37, vcc, s12, v37
	v_addc_co_u32_e32 v38, vcc, v19, v38, vcc
	global_load_dwordx2 v[39:40], v[17:18], off
	global_load_dwordx2 v[41:42], v[21:22], off
	;; [unrolled: 1-line block ×4, first 2 shown]
	s_waitcnt vmcnt(4)
	v_fmac_f32_e32 v7, v25, v33
	v_fmac_f32_e32 v15, v26, v33
	v_fma_f32 v7, -v26, v34, v7
	v_fmac_f32_e32 v15, v25, v34
	v_fmac_f32_e32 v7, v27, v35
	;; [unrolled: 1-line block ×3, first 2 shown]
	v_fma_f32 v7, -v28, v36, v7
	v_fmac_f32_e32 v15, v27, v36
	s_waitcnt vmcnt(3)
	v_fmac_f32_e32 v12, v39, v29
	v_fma_f32 v9, -v40, v30, v12
	v_fmac_f32_e32 v16, v40, v29
	s_waitcnt vmcnt(2)
	v_fmac_f32_e32 v9, v41, v31
	v_fmac_f32_e32 v16, v39, v30
	v_fma_f32 v39, -v42, v32, v9
	v_mov_b32_e32 v9, v10
	v_lshlrev_b64 v[17:18], 3, v[8:9]
	v_add_u32_e32 v9, -15, v8
	v_add_co_u32_e32 v17, vcc, s12, v17
	v_lshlrev_b64 v[21:22], 3, v[9:10]
	v_addc_co_u32_e32 v18, vcc, v19, v18, vcc
	v_add_u32_e32 v9, 8, v11
	v_add_co_u32_e32 v11, vcc, s12, v21
	v_addc_co_u32_e32 v12, vcc, v19, v22, vcc
	v_lshlrev_b64 v[21:22], 3, v[9:10]
	v_add_u32_e32 v9, -3, v8
	v_lshlrev_b64 v[23:24], 3, v[9:10]
	v_add_co_u32_e32 v29, vcc, s14, v21
	v_add_u32_e32 v9, -14, v8
	v_addc_co_u32_e32 v30, vcc, v20, v22, vcc
	v_fmac_f32_e32 v16, v42, v31
	v_add_co_u32_e32 v31, vcc, s12, v23
	v_lshlrev_b64 v[21:22], 3, v[9:10]
	v_fmac_f32_e32 v16, v41, v32
	v_addc_co_u32_e32 v32, vcc, v19, v24, vcc
	v_add_co_u32_e32 v37, vcc, s12, v21
	v_add_u32_e32 v9, -2, v8
	s_waitcnt vmcnt(1)
	v_fmac_f32_e32 v39, v43, v33
	v_addc_co_u32_e32 v38, vcc, v19, v22, vcc
	v_fma_f32 v23, -v44, v34, v39
	v_lshlrev_b64 v[21:22], 3, v[9:10]
	v_add_u32_e32 v9, -13, v8
	s_waitcnt vmcnt(0)
	v_fmac_f32_e32 v23, v45, v35
	v_fmac_f32_e32 v16, v44, v33
	v_fma_f32 v47, -v46, v36, v23
	v_lshlrev_b64 v[23:24], 3, v[9:10]
	v_add_co_u32_e32 v33, vcc, s12, v21
	v_fmac_f32_e32 v16, v43, v34
	v_add_u32_e32 v9, -1, v8
	v_addc_co_u32_e32 v34, vcc, v19, v22, vcc
	v_fmac_f32_e32 v16, v46, v35
	v_lshlrev_b64 v[21:22], 3, v[9:10]
	v_add_co_u32_e32 v35, vcc, s12, v23
	v_fmac_f32_e32 v16, v45, v36
	v_addc_co_u32_e32 v36, vcc, v19, v24, vcc
	v_add_u32_e32 v9, -12, v8
	v_add_co_u32_e32 v39, vcc, s12, v21
	v_addc_co_u32_e32 v40, vcc, v19, v22, vcc
	v_lshlrev_b64 v[21:22], 3, v[9:10]
	v_add_u32_e32 v8, 0x180, v8
	v_add_co_u32_e32 v41, vcc, s12, v21
	v_addc_co_u32_e32 v42, vcc, v19, v22, vcc
	global_load_dwordx2 v[43:44], v[11:12], off
	global_load_dwordx4 v[21:24], v[29:30], off
	global_load_dwordx4 v[25:28], v[29:30], off offset:16
	v_cmp_ge_i32_e32 vcc, v6, v14
	s_or_b64 s[0:1], vcc, s[0:1]
	s_waitcnt vmcnt(1)
	v_fmac_f32_e32 v7, v43, v21
	v_fmac_f32_e32 v15, v44, v21
	v_fma_f32 v7, -v44, v22, v7
	v_fmac_f32_e32 v15, v43, v22
	global_load_dwordx2 v[11:12], v[31:32], off
	global_load_dwordx2 v[29:30], v[37:38], off
	;; [unrolled: 1-line block ×4, first 2 shown]
	s_waitcnt vmcnt(3)
	v_fmac_f32_e32 v47, v11, v21
	v_fmac_f32_e32 v16, v12, v21
	s_waitcnt vmcnt(2)
	v_fmac_f32_e32 v7, v29, v23
	v_fmac_f32_e32 v15, v30, v23
	v_fma_f32 v9, -v12, v22, v47
	v_fmac_f32_e32 v16, v11, v22
	v_fma_f32 v7, -v30, v24, v7
	v_fmac_f32_e32 v15, v29, v24
	global_load_dwordx2 v[11:12], v[39:40], off
	global_load_dwordx2 v[21:22], v[41:42], off
	;; [unrolled: 1-line block ×3, first 2 shown]
	s_waitcnt vmcnt(4)
	v_fmac_f32_e32 v9, v43, v23
	v_fmac_f32_e32 v16, v44, v23
	v_fma_f32 v9, -v44, v24, v9
	v_fmac_f32_e32 v16, v43, v24
	s_waitcnt vmcnt(3)
	v_fmac_f32_e32 v7, v45, v25
	v_fmac_f32_e32 v15, v46, v25
	v_fma_f32 v7, -v46, v26, v7
	v_fmac_f32_e32 v15, v45, v26
	;; [unrolled: 5-line block ×3, first 2 shown]
	s_waitcnt vmcnt(1)
	v_fmac_f32_e32 v7, v21, v27
	v_fmac_f32_e32 v15, v22, v27
	s_waitcnt vmcnt(0)
	v_fmac_f32_e32 v9, v29, v27
	v_fmac_f32_e32 v16, v30, v27
	v_fma_f32 v18, -v22, v28, v7
	v_fmac_f32_e32 v15, v21, v28
	v_fma_f32 v17, -v30, v28, v9
	v_fmac_f32_e32 v16, v29, v28
	s_andn2_b64 exec, exec, s[0:1]
	s_cbranch_execnz .LBB204_13
; %bb.14:
	s_or_b64 exec, exec, s[0:1]
.LBB204_15:
	s_or_b64 exec, exec, s[6:7]
.LBB204_16:
	v_mov_b32_dpp v6, v18 row_shr:1 row_mask:0xf bank_mask:0xf
	v_mov_b32_dpp v8, v15 row_shr:1 row_mask:0xf bank_mask:0xf
	v_mov_b32_dpp v10, v17 row_shr:1 row_mask:0xf bank_mask:0xf
	v_mov_b32_dpp v12, v16 row_shr:1 row_mask:0xf bank_mask:0xf
	v_add_f32_e32 v6, v18, v6
	v_add_f32_e32 v8, v15, v8
	v_add_f32_e32 v10, v17, v10
	v_add_f32_e32 v12, v16, v12
	v_mov_b32_dpp v7, v6 row_shr:2 row_mask:0xf bank_mask:0xf
	v_mov_b32_dpp v9, v8 row_shr:2 row_mask:0xf bank_mask:0xf
	v_mov_b32_dpp v11, v10 row_shr:2 row_mask:0xf bank_mask:0xf
	v_mov_b32_dpp v13, v12 row_shr:2 row_mask:0xf bank_mask:0xf
	v_add_f32_e32 v6, v6, v7
	v_add_f32_e32 v8, v8, v9
	v_add_f32_e32 v10, v10, v11
	v_add_f32_e32 v12, v12, v13
	;; [unrolled: 8-line block ×3, first 2 shown]
	v_mov_b32_dpp v7, v6 row_shr:8 row_mask:0xf bank_mask:0xc
	v_mov_b32_dpp v9, v8 row_shr:8 row_mask:0xf bank_mask:0xc
	;; [unrolled: 1-line block ×4, first 2 shown]
	v_cmp_eq_u32_e32 vcc, 15, v0
	s_and_b64 exec, exec, vcc
	s_cbranch_execz .LBB204_21
; %bb.17:
	s_load_dwordx2 s[2:3], s[4:5], 0x38
	v_cmp_eq_f32_e32 vcc, 0, v3
	v_cmp_eq_f32_e64 s[0:1], 0, v4
	v_add_f32_e32 v7, v6, v7
	v_add_f32_e32 v8, v8, v9
	;; [unrolled: 1-line block ×4, first 2 shown]
	s_and_b64 s[0:1], vcc, s[0:1]
	s_and_saveexec_b64 s[4:5], s[0:1]
	s_xor_b64 s[0:1], exec, s[4:5]
	s_cbranch_execz .LBB204_19
; %bb.18:
	v_mul_f32_e64 v3, v8, -v2
	v_mul_f32_e32 v4, v1, v8
	v_fmac_f32_e32 v3, v1, v7
	v_fmac_f32_e32 v4, v2, v7
	v_lshlrev_b32_e32 v7, 1, v5
	v_ashrrev_i32_e32 v8, 31, v7
	v_lshlrev_b64 v[7:8], 3, v[7:8]
	s_waitcnt lgkmcnt(0)
	v_mov_b32_e32 v5, s3
	v_add_co_u32_e32 v7, vcc, s2, v7
	v_addc_co_u32_e32 v8, vcc, v5, v8, vcc
	v_mul_f32_e64 v5, v6, -v2
	v_mul_f32_e32 v6, v1, v6
	v_fmac_f32_e32 v5, v1, v0
	v_fmac_f32_e32 v6, v2, v0
	global_store_dwordx4 v[7:8], v[3:6], off
                                        ; implicit-def: $vgpr5
                                        ; implicit-def: $vgpr1_vgpr2
                                        ; implicit-def: $vgpr8
                                        ; implicit-def: $vgpr7
                                        ; implicit-def: $vgpr3_vgpr4
                                        ; implicit-def: $vgpr6
                                        ; implicit-def: $vgpr0
.LBB204_19:
	s_andn2_saveexec_b64 s[0:1], s[0:1]
	s_cbranch_execz .LBB204_21
; %bb.20:
	v_lshlrev_b32_e32 v9, 1, v5
	v_ashrrev_i32_e32 v10, 31, v9
	v_lshlrev_b64 v[9:10], 3, v[9:10]
	s_waitcnt lgkmcnt(0)
	v_mov_b32_e32 v5, s3
	v_add_co_u32_e32 v17, vcc, s2, v9
	v_addc_co_u32_e32 v18, vcc, v5, v10, vcc
	global_load_dwordx4 v[9:12], v[17:18], off
	v_mul_f32_e64 v5, v8, -v2
	v_mul_f32_e32 v14, v1, v8
	v_mul_f32_e64 v8, v6, -v2
	v_mul_f32_e32 v16, v1, v6
	v_fmac_f32_e32 v5, v1, v7
	v_fmac_f32_e32 v14, v2, v7
	;; [unrolled: 1-line block ×4, first 2 shown]
	s_waitcnt vmcnt(0)
	v_fmac_f32_e32 v5, v3, v9
	v_fmac_f32_e32 v14, v4, v9
	;; [unrolled: 1-line block ×4, first 2 shown]
	v_fma_f32 v13, -v4, v10, v5
	v_fmac_f32_e32 v14, v3, v10
	v_fma_f32 v15, -v4, v12, v8
	v_fmac_f32_e32 v16, v3, v12
	global_store_dwordx4 v[17:18], v[13:16], off
.LBB204_21:
	s_endpgm
	.section	.rodata,"a",@progbits
	.p2align	6, 0x0
	.amdhsa_kernel _ZN9rocsparseL19gebsrmvn_2xn_kernelILj128ELj12ELj16E21rocsparse_complex_numIfEEEvi20rocsparse_direction_NS_24const_host_device_scalarIT2_EEPKiS8_PKS5_SA_S6_PS5_21rocsparse_index_base_b
		.amdhsa_group_segment_fixed_size 0
		.amdhsa_private_segment_fixed_size 0
		.amdhsa_kernarg_size 72
		.amdhsa_user_sgpr_count 6
		.amdhsa_user_sgpr_private_segment_buffer 1
		.amdhsa_user_sgpr_dispatch_ptr 0
		.amdhsa_user_sgpr_queue_ptr 0
		.amdhsa_user_sgpr_kernarg_segment_ptr 1
		.amdhsa_user_sgpr_dispatch_id 0
		.amdhsa_user_sgpr_flat_scratch_init 0
		.amdhsa_user_sgpr_private_segment_size 0
		.amdhsa_uses_dynamic_stack 0
		.amdhsa_system_sgpr_private_segment_wavefront_offset 0
		.amdhsa_system_sgpr_workgroup_id_x 1
		.amdhsa_system_sgpr_workgroup_id_y 0
		.amdhsa_system_sgpr_workgroup_id_z 0
		.amdhsa_system_sgpr_workgroup_info 0
		.amdhsa_system_vgpr_workitem_id 0
		.amdhsa_next_free_vgpr 52
		.amdhsa_next_free_sgpr 16
		.amdhsa_reserve_vcc 1
		.amdhsa_reserve_flat_scratch 0
		.amdhsa_float_round_mode_32 0
		.amdhsa_float_round_mode_16_64 0
		.amdhsa_float_denorm_mode_32 3
		.amdhsa_float_denorm_mode_16_64 3
		.amdhsa_dx10_clamp 1
		.amdhsa_ieee_mode 1
		.amdhsa_fp16_overflow 0
		.amdhsa_exception_fp_ieee_invalid_op 0
		.amdhsa_exception_fp_denorm_src 0
		.amdhsa_exception_fp_ieee_div_zero 0
		.amdhsa_exception_fp_ieee_overflow 0
		.amdhsa_exception_fp_ieee_underflow 0
		.amdhsa_exception_fp_ieee_inexact 0
		.amdhsa_exception_int_div_zero 0
	.end_amdhsa_kernel
	.section	.text._ZN9rocsparseL19gebsrmvn_2xn_kernelILj128ELj12ELj16E21rocsparse_complex_numIfEEEvi20rocsparse_direction_NS_24const_host_device_scalarIT2_EEPKiS8_PKS5_SA_S6_PS5_21rocsparse_index_base_b,"axG",@progbits,_ZN9rocsparseL19gebsrmvn_2xn_kernelILj128ELj12ELj16E21rocsparse_complex_numIfEEEvi20rocsparse_direction_NS_24const_host_device_scalarIT2_EEPKiS8_PKS5_SA_S6_PS5_21rocsparse_index_base_b,comdat
.Lfunc_end204:
	.size	_ZN9rocsparseL19gebsrmvn_2xn_kernelILj128ELj12ELj16E21rocsparse_complex_numIfEEEvi20rocsparse_direction_NS_24const_host_device_scalarIT2_EEPKiS8_PKS5_SA_S6_PS5_21rocsparse_index_base_b, .Lfunc_end204-_ZN9rocsparseL19gebsrmvn_2xn_kernelILj128ELj12ELj16E21rocsparse_complex_numIfEEEvi20rocsparse_direction_NS_24const_host_device_scalarIT2_EEPKiS8_PKS5_SA_S6_PS5_21rocsparse_index_base_b
                                        ; -- End function
	.set _ZN9rocsparseL19gebsrmvn_2xn_kernelILj128ELj12ELj16E21rocsparse_complex_numIfEEEvi20rocsparse_direction_NS_24const_host_device_scalarIT2_EEPKiS8_PKS5_SA_S6_PS5_21rocsparse_index_base_b.num_vgpr, 52
	.set _ZN9rocsparseL19gebsrmvn_2xn_kernelILj128ELj12ELj16E21rocsparse_complex_numIfEEEvi20rocsparse_direction_NS_24const_host_device_scalarIT2_EEPKiS8_PKS5_SA_S6_PS5_21rocsparse_index_base_b.num_agpr, 0
	.set _ZN9rocsparseL19gebsrmvn_2xn_kernelILj128ELj12ELj16E21rocsparse_complex_numIfEEEvi20rocsparse_direction_NS_24const_host_device_scalarIT2_EEPKiS8_PKS5_SA_S6_PS5_21rocsparse_index_base_b.numbered_sgpr, 16
	.set _ZN9rocsparseL19gebsrmvn_2xn_kernelILj128ELj12ELj16E21rocsparse_complex_numIfEEEvi20rocsparse_direction_NS_24const_host_device_scalarIT2_EEPKiS8_PKS5_SA_S6_PS5_21rocsparse_index_base_b.num_named_barrier, 0
	.set _ZN9rocsparseL19gebsrmvn_2xn_kernelILj128ELj12ELj16E21rocsparse_complex_numIfEEEvi20rocsparse_direction_NS_24const_host_device_scalarIT2_EEPKiS8_PKS5_SA_S6_PS5_21rocsparse_index_base_b.private_seg_size, 0
	.set _ZN9rocsparseL19gebsrmvn_2xn_kernelILj128ELj12ELj16E21rocsparse_complex_numIfEEEvi20rocsparse_direction_NS_24const_host_device_scalarIT2_EEPKiS8_PKS5_SA_S6_PS5_21rocsparse_index_base_b.uses_vcc, 1
	.set _ZN9rocsparseL19gebsrmvn_2xn_kernelILj128ELj12ELj16E21rocsparse_complex_numIfEEEvi20rocsparse_direction_NS_24const_host_device_scalarIT2_EEPKiS8_PKS5_SA_S6_PS5_21rocsparse_index_base_b.uses_flat_scratch, 0
	.set _ZN9rocsparseL19gebsrmvn_2xn_kernelILj128ELj12ELj16E21rocsparse_complex_numIfEEEvi20rocsparse_direction_NS_24const_host_device_scalarIT2_EEPKiS8_PKS5_SA_S6_PS5_21rocsparse_index_base_b.has_dyn_sized_stack, 0
	.set _ZN9rocsparseL19gebsrmvn_2xn_kernelILj128ELj12ELj16E21rocsparse_complex_numIfEEEvi20rocsparse_direction_NS_24const_host_device_scalarIT2_EEPKiS8_PKS5_SA_S6_PS5_21rocsparse_index_base_b.has_recursion, 0
	.set _ZN9rocsparseL19gebsrmvn_2xn_kernelILj128ELj12ELj16E21rocsparse_complex_numIfEEEvi20rocsparse_direction_NS_24const_host_device_scalarIT2_EEPKiS8_PKS5_SA_S6_PS5_21rocsparse_index_base_b.has_indirect_call, 0
	.section	.AMDGPU.csdata,"",@progbits
; Kernel info:
; codeLenInByte = 3116
; TotalNumSgprs: 20
; NumVgprs: 52
; ScratchSize: 0
; MemoryBound: 0
; FloatMode: 240
; IeeeMode: 1
; LDSByteSize: 0 bytes/workgroup (compile time only)
; SGPRBlocks: 2
; VGPRBlocks: 12
; NumSGPRsForWavesPerEU: 20
; NumVGPRsForWavesPerEU: 52
; Occupancy: 4
; WaveLimiterHint : 1
; COMPUTE_PGM_RSRC2:SCRATCH_EN: 0
; COMPUTE_PGM_RSRC2:USER_SGPR: 6
; COMPUTE_PGM_RSRC2:TRAP_HANDLER: 0
; COMPUTE_PGM_RSRC2:TGID_X_EN: 1
; COMPUTE_PGM_RSRC2:TGID_Y_EN: 0
; COMPUTE_PGM_RSRC2:TGID_Z_EN: 0
; COMPUTE_PGM_RSRC2:TIDIG_COMP_CNT: 0
	.section	.text._ZN9rocsparseL19gebsrmvn_2xn_kernelILj128ELj12ELj32E21rocsparse_complex_numIfEEEvi20rocsparse_direction_NS_24const_host_device_scalarIT2_EEPKiS8_PKS5_SA_S6_PS5_21rocsparse_index_base_b,"axG",@progbits,_ZN9rocsparseL19gebsrmvn_2xn_kernelILj128ELj12ELj32E21rocsparse_complex_numIfEEEvi20rocsparse_direction_NS_24const_host_device_scalarIT2_EEPKiS8_PKS5_SA_S6_PS5_21rocsparse_index_base_b,comdat
	.globl	_ZN9rocsparseL19gebsrmvn_2xn_kernelILj128ELj12ELj32E21rocsparse_complex_numIfEEEvi20rocsparse_direction_NS_24const_host_device_scalarIT2_EEPKiS8_PKS5_SA_S6_PS5_21rocsparse_index_base_b ; -- Begin function _ZN9rocsparseL19gebsrmvn_2xn_kernelILj128ELj12ELj32E21rocsparse_complex_numIfEEEvi20rocsparse_direction_NS_24const_host_device_scalarIT2_EEPKiS8_PKS5_SA_S6_PS5_21rocsparse_index_base_b
	.p2align	8
	.type	_ZN9rocsparseL19gebsrmvn_2xn_kernelILj128ELj12ELj32E21rocsparse_complex_numIfEEEvi20rocsparse_direction_NS_24const_host_device_scalarIT2_EEPKiS8_PKS5_SA_S6_PS5_21rocsparse_index_base_b,@function
_ZN9rocsparseL19gebsrmvn_2xn_kernelILj128ELj12ELj32E21rocsparse_complex_numIfEEEvi20rocsparse_direction_NS_24const_host_device_scalarIT2_EEPKiS8_PKS5_SA_S6_PS5_21rocsparse_index_base_b: ; @_ZN9rocsparseL19gebsrmvn_2xn_kernelILj128ELj12ELj32E21rocsparse_complex_numIfEEEvi20rocsparse_direction_NS_24const_host_device_scalarIT2_EEPKiS8_PKS5_SA_S6_PS5_21rocsparse_index_base_b
; %bb.0:
	s_load_dwordx2 s[0:1], s[4:5], 0x8
	s_load_dwordx2 s[8:9], s[4:5], 0x30
	;; [unrolled: 1-line block ×3, first 2 shown]
	s_add_u32 s7, s4, 8
	s_addc_u32 s10, s5, 0
	s_add_u32 s11, s4, 48
	s_addc_u32 s12, s5, 0
	s_waitcnt lgkmcnt(0)
	s_bitcmp1_b32 s3, 0
	s_cselect_b32 s1, s10, s1
	s_cselect_b32 s0, s7, s0
	v_mov_b32_e32 v1, s0
	v_mov_b32_e32 v2, s1
	flat_load_dwordx2 v[1:2], v[1:2]
	s_cselect_b32 s0, s12, s9
	s_cselect_b32 s1, s11, s8
	v_mov_b32_e32 v3, s1
	v_mov_b32_e32 v4, s0
	flat_load_dwordx2 v[3:4], v[3:4]
	s_waitcnt vmcnt(0) lgkmcnt(0)
	v_cmp_eq_f32_e32 vcc, 0, v1
	v_cmp_eq_f32_e64 s[0:1], 0, v2
	s_and_b64 s[10:11], vcc, s[0:1]
	s_mov_b64 s[0:1], -1
	s_and_saveexec_b64 s[8:9], s[10:11]
; %bb.1:
	v_cmp_neq_f32_e32 vcc, 1.0, v3
	v_cmp_neq_f32_e64 s[0:1], 0, v4
	s_or_b64 s[0:1], vcc, s[0:1]
	s_orn2_b64 s[0:1], s[0:1], exec
; %bb.2:
	s_or_b64 exec, exec, s[8:9]
	s_and_saveexec_b64 s[8:9], s[0:1]
	s_cbranch_execz .LBB205_21
; %bb.3:
	s_load_dwordx2 s[0:1], s[4:5], 0x0
	v_lshrrev_b32_e32 v5, 5, v0
	v_lshl_or_b32 v5, s6, 2, v5
	s_waitcnt lgkmcnt(0)
	v_cmp_gt_i32_e32 vcc, s0, v5
	s_and_b64 exec, exec, vcc
	s_cbranch_execz .LBB205_21
; %bb.4:
	s_load_dwordx8 s[8:15], s[4:5], 0x10
	v_ashrrev_i32_e32 v6, 31, v5
	v_lshlrev_b64 v[6:7], 2, v[5:6]
	v_and_b32_e32 v0, 31, v0
	s_cmp_lg_u32 s1, 0
	s_waitcnt lgkmcnt(0)
	v_mov_b32_e32 v8, s9
	v_add_co_u32_e32 v6, vcc, s8, v6
	v_addc_co_u32_e32 v7, vcc, v8, v7, vcc
	global_load_dwordx2 v[6:7], v[6:7], off
	s_waitcnt vmcnt(0)
	v_subrev_u32_e32 v6, s2, v6
	v_subrev_u32_e32 v16, s2, v7
	v_add_u32_e32 v6, v6, v0
	v_cmp_lt_i32_e64 s[0:1], v6, v16
	s_cbranch_scc0 .LBB205_10
; %bb.5:
	v_mov_b32_e32 v15, 0
	v_mov_b32_e32 v18, 0
	v_mov_b32_e32 v17, 0
	v_mov_b32_e32 v14, 0
	s_and_saveexec_b64 s[6:7], s[0:1]
	s_cbranch_execz .LBB205_9
; %bb.6:
	v_mad_u64_u32 v[7:8], s[8:9], v6, 24, 22
	v_mov_b32_e32 v10, 0
	s_mov_b64 s[8:9], 0
	v_mov_b32_e32 v19, s11
	v_mov_b32_e32 v20, s13
	;; [unrolled: 1-line block ×8, first 2 shown]
.LBB205_7:                              ; =>This Inner Loop Header: Depth=1
	v_ashrrev_i32_e32 v12, 31, v11
	v_lshlrev_b64 v[22:23], 2, v[11:12]
	v_subrev_u32_e32 v9, 22, v7
	v_lshlrev_b64 v[24:25], 3, v[9:10]
	v_add_co_u32_e32 v38, vcc, s10, v22
	v_mov_b32_e32 v8, v10
	v_addc_co_u32_e32 v39, vcc, v19, v23, vcc
	v_lshlrev_b64 v[26:27], 3, v[7:8]
	v_add_co_u32_e32 v40, vcc, s12, v24
	v_addc_co_u32_e32 v41, vcc, v20, v25, vcc
	v_add_co_u32_e32 v50, vcc, s12, v26
	v_addc_co_u32_e32 v51, vcc, v20, v27, vcc
	global_load_dword v12, v[38:39], off
	global_load_dwordx4 v[22:25], v[40:41], off
	global_load_dwordx4 v[26:29], v[40:41], off offset:16
	global_load_dwordx4 v[30:33], v[40:41], off offset:32
	;; [unrolled: 1-line block ×3, first 2 shown]
	v_add_u32_e32 v9, -14, v7
	v_lshlrev_b64 v[8:9], 3, v[9:10]
	v_mov_b32_e32 v13, v10
	v_add_co_u32_e32 v8, vcc, s12, v8
	v_addc_co_u32_e32 v9, vcc, v20, v9, vcc
	v_add_u32_e32 v11, 32, v11
	s_waitcnt vmcnt(4)
	v_subrev_u32_e32 v12, s2, v12
	v_mul_lo_u32 v12, v12, 12
	v_lshlrev_b64 v[38:39], 3, v[12:13]
	v_add_co_u32_e32 v46, vcc, s14, v38
	v_addc_co_u32_e32 v47, vcc, v21, v39, vcc
	global_load_dwordx4 v[38:41], v[46:47], off
	global_load_dwordx4 v[42:45], v[46:47], off offset:16
	s_waitcnt vmcnt(1)
	v_fmac_f32_e32 v18, v22, v38
	v_fmac_f32_e32 v15, v23, v38
	;; [unrolled: 1-line block ×4, first 2 shown]
	v_fma_f32 v13, -v23, v39, v18
	v_fmac_f32_e32 v15, v22, v39
	v_fma_f32 v38, -v25, v39, v17
	v_fmac_f32_e32 v14, v24, v39
	global_load_dwordx4 v[22:25], v[8:9], off
	v_add_u32_e32 v9, 4, v12
	v_lshlrev_b64 v[17:18], 3, v[9:10]
	v_add_u32_e32 v9, -12, v7
	v_fmac_f32_e32 v13, v26, v40
	v_fmac_f32_e32 v15, v27, v40
	v_fma_f32 v8, -v27, v41, v13
	v_fmac_f32_e32 v15, v26, v41
	v_lshlrev_b64 v[26:27], 3, v[9:10]
	v_add_co_u32_e32 v17, vcc, s14, v17
	v_addc_co_u32_e32 v18, vcc, v21, v18, vcc
	v_fmac_f32_e32 v38, v28, v40
	v_fmac_f32_e32 v14, v29, v40
	v_add_co_u32_e32 v40, vcc, s12, v26
	v_fma_f32 v13, -v29, v41, v38
	v_fmac_f32_e32 v14, v28, v41
	v_addc_co_u32_e32 v41, vcc, v20, v27, vcc
	global_load_dwordx4 v[26:29], v[17:18], off
	v_add_u32_e32 v9, -10, v7
	v_lshlrev_b64 v[38:39], 3, v[9:10]
	v_add_u32_e32 v9, -8, v7
	s_waitcnt vmcnt(2)
	v_fmac_f32_e32 v8, v30, v42
	v_fmac_f32_e32 v15, v31, v42
	;; [unrolled: 1-line block ×4, first 2 shown]
	v_fma_f32 v8, -v31, v43, v8
	v_fmac_f32_e32 v15, v30, v43
	v_fma_f32 v13, -v33, v43, v13
	v_fmac_f32_e32 v14, v32, v43
	global_load_dwordx4 v[30:33], v[17:18], off offset:16
	v_lshlrev_b64 v[17:18], 3, v[9:10]
	v_add_co_u32_e32 v38, vcc, s12, v38
	v_add_u32_e32 v9, -6, v7
	v_addc_co_u32_e32 v39, vcc, v20, v39, vcc
	v_fmac_f32_e32 v13, v36, v44
	v_lshlrev_b64 v[42:43], 3, v[9:10]
	v_add_u32_e32 v9, 8, v12
	v_add_co_u32_e32 v12, vcc, s12, v17
	v_fmac_f32_e32 v8, v34, v44
	v_fmac_f32_e32 v15, v35, v44
	;; [unrolled: 1-line block ×3, first 2 shown]
	v_fma_f32 v48, -v37, v45, v13
	v_addc_co_u32_e32 v13, vcc, v20, v18, vcc
	v_fma_f32 v8, -v35, v45, v8
	v_fmac_f32_e32 v15, v34, v45
	v_fmac_f32_e32 v14, v36, v45
	global_load_dwordx4 v[34:37], v[40:41], off
	v_add_co_u32_e32 v46, vcc, s12, v42
	v_addc_co_u32_e32 v47, vcc, v20, v43, vcc
	v_lshlrev_b64 v[17:18], 3, v[9:10]
	v_add_u32_e32 v9, -4, v7
	v_add_co_u32_e32 v17, vcc, s14, v17
	v_addc_co_u32_e32 v18, vcc, v21, v18, vcc
	global_load_dwordx4 v[42:45], v[12:13], off
	v_lshlrev_b64 v[12:13], 3, v[9:10]
	v_add_u32_e32 v9, -2, v7
	v_add_u32_e32 v7, 0x300, v7
	v_add_co_u32_e32 v12, vcc, s12, v12
	v_addc_co_u32_e32 v13, vcc, v20, v13, vcc
	s_waitcnt vmcnt(3)
	v_fmac_f32_e32 v8, v22, v26
	v_fmac_f32_e32 v15, v23, v26
	;; [unrolled: 1-line block ×4, first 2 shown]
	v_fma_f32 v8, -v23, v27, v8
	v_fmac_f32_e32 v15, v22, v27
	v_fma_f32 v26, -v25, v27, v48
	v_fmac_f32_e32 v14, v24, v27
	global_load_dwordx4 v[22:25], v[46:47], off
	s_waitcnt vmcnt(2)
	v_fmac_f32_e32 v8, v34, v28
	global_load_dwordx4 v[38:41], v[38:39], off
	v_fmac_f32_e32 v15, v35, v28
	v_fmac_f32_e32 v26, v36, v28
	;; [unrolled: 1-line block ×3, first 2 shown]
	v_fma_f32 v46, -v35, v29, v8
	v_fmac_f32_e32 v15, v34, v29
	v_fma_f32 v47, -v37, v29, v26
	v_fmac_f32_e32 v14, v36, v29
	v_lshlrev_b64 v[8:9], 3, v[9:10]
	global_load_dwordx4 v[26:29], v[17:18], off
	global_load_dwordx4 v[34:37], v[17:18], off offset:16
	v_add_co_u32_e32 v8, vcc, s12, v8
	v_addc_co_u32_e32 v9, vcc, v20, v9, vcc
	v_cmp_ge_i32_e32 vcc, v11, v16
	s_or_b64 s[8:9], vcc, s[8:9]
	s_waitcnt vmcnt(2)
	v_fmac_f32_e32 v46, v38, v30
	v_fmac_f32_e32 v15, v39, v30
	;; [unrolled: 1-line block ×4, first 2 shown]
	v_fma_f32 v17, -v39, v31, v46
	v_fmac_f32_e32 v15, v38, v31
	v_fma_f32 v18, -v41, v31, v47
	v_fmac_f32_e32 v14, v40, v31
	global_load_dwordx4 v[38:41], v[12:13], off
	global_load_dwordx4 v[46:49], v[8:9], off
	v_fmac_f32_e32 v17, v42, v32
	v_fmac_f32_e32 v15, v43, v32
	;; [unrolled: 1-line block ×4, first 2 shown]
	v_fma_f32 v8, -v43, v33, v17
	v_fmac_f32_e32 v15, v42, v33
	v_fma_f32 v9, -v45, v33, v18
	v_fmac_f32_e32 v14, v44, v33
	global_load_dwordx4 v[30:33], v[50:51], off
	s_waitcnt vmcnt(4)
	v_fmac_f32_e32 v8, v22, v26
	v_fmac_f32_e32 v15, v23, v26
	v_fmac_f32_e32 v9, v24, v26
	v_fmac_f32_e32 v14, v25, v26
	v_fma_f32 v8, -v23, v27, v8
	v_fmac_f32_e32 v15, v22, v27
	v_fma_f32 v9, -v25, v27, v9
	v_fmac_f32_e32 v14, v24, v27
	s_waitcnt vmcnt(2)
	v_fmac_f32_e32 v8, v38, v28
	v_fmac_f32_e32 v15, v39, v28
	v_fmac_f32_e32 v9, v40, v28
	v_fmac_f32_e32 v14, v41, v28
	v_fma_f32 v8, -v39, v29, v8
	v_fmac_f32_e32 v15, v38, v29
	v_fma_f32 v9, -v41, v29, v9
	v_fmac_f32_e32 v14, v40, v29
	;; [unrolled: 9-line block ×4, first 2 shown]
	s_andn2_b64 exec, exec, s[8:9]
	s_cbranch_execnz .LBB205_7
; %bb.8:
	s_or_b64 exec, exec, s[8:9]
.LBB205_9:
	s_or_b64 exec, exec, s[6:7]
	s_cbranch_execz .LBB205_11
	s_branch .LBB205_16
.LBB205_10:
                                        ; implicit-def: $vgpr15
                                        ; implicit-def: $vgpr18
                                        ; implicit-def: $vgpr17
                                        ; implicit-def: $vgpr14
.LBB205_11:
	v_mov_b32_e32 v15, 0
	v_mov_b32_e32 v18, 0
	;; [unrolled: 1-line block ×4, first 2 shown]
	s_and_saveexec_b64 s[6:7], s[0:1]
	s_cbranch_execz .LBB205_15
; %bb.12:
	v_mad_u64_u32 v[8:9], s[0:1], v6, 24, 23
	v_mov_b32_e32 v10, 0
	s_mov_b64 s[0:1], 0
	v_mov_b32_e32 v13, s11
	v_mov_b32_e32 v19, s13
	;; [unrolled: 1-line block ×7, first 2 shown]
.LBB205_13:                             ; =>This Inner Loop Header: Depth=1
	v_ashrrev_i32_e32 v7, 31, v6
	v_lshlrev_b64 v[21:22], 2, v[6:7]
	v_subrev_u32_e32 v9, 23, v8
	v_lshlrev_b64 v[23:24], 3, v[9:10]
	v_add_co_u32_e32 v29, vcc, s10, v21
	v_addc_co_u32_e32 v30, vcc, v13, v22, vcc
	v_add_co_u32_e32 v37, vcc, s12, v23
	v_addc_co_u32_e32 v38, vcc, v19, v24, vcc
	global_load_dword v7, v[29:30], off
	global_load_dwordx4 v[21:24], v[37:38], off
	global_load_dwordx4 v[25:28], v[37:38], off offset:16
	v_mov_b32_e32 v12, v10
	v_add_u32_e32 v9, -10, v8
	v_add_u32_e32 v6, 32, v6
	s_waitcnt vmcnt(2)
	v_subrev_u32_e32 v7, s2, v7
	v_mul_lo_u32 v11, v7, 12
	v_lshlrev_b64 v[29:30], 3, v[11:12]
	v_add_co_u32_e32 v39, vcc, s14, v29
	v_addc_co_u32_e32 v40, vcc, v20, v30, vcc
	global_load_dwordx4 v[29:32], v[39:40], off
	global_load_dwordx4 v[33:36], v[39:40], off offset:16
	s_waitcnt vmcnt(1)
	v_fmac_f32_e32 v18, v21, v29
	v_fmac_f32_e32 v15, v22, v29
	v_fma_f32 v7, -v22, v30, v18
	v_fmac_f32_e32 v15, v21, v30
	v_add_u32_e32 v21, -11, v8
	v_mov_b32_e32 v22, v10
	v_lshlrev_b64 v[21:22], 3, v[21:22]
	v_fmac_f32_e32 v7, v23, v31
	v_fmac_f32_e32 v15, v24, v31
	v_fma_f32 v7, -v24, v32, v7
	v_fmac_f32_e32 v15, v23, v32
	v_add_co_u32_e32 v21, vcc, s12, v21
	v_lshlrev_b64 v[23:24], 3, v[9:10]
	v_addc_co_u32_e32 v22, vcc, v19, v22, vcc
	v_add_u32_e32 v9, -9, v8
	v_add_co_u32_e32 v23, vcc, s12, v23
	v_lshlrev_b64 v[39:40], 3, v[9:10]
	v_addc_co_u32_e32 v24, vcc, v19, v24, vcc
	v_add_u32_e32 v9, -8, v8
	v_add_co_u32_e32 v39, vcc, s12, v39
	v_lshlrev_b64 v[41:42], 3, v[9:10]
	v_addc_co_u32_e32 v40, vcc, v19, v40, vcc
	v_add_co_u32_e32 v41, vcc, s12, v41
	v_addc_co_u32_e32 v42, vcc, v19, v42, vcc
	global_load_dwordx2 v[43:44], v[21:22], off
	global_load_dwordx2 v[45:46], v[23:24], off
	;; [unrolled: 1-line block ×4, first 2 shown]
	s_waitcnt vmcnt(4)
	v_fmac_f32_e32 v7, v25, v33
	v_fmac_f32_e32 v15, v26, v33
	v_fma_f32 v7, -v26, v34, v7
	v_fmac_f32_e32 v15, v25, v34
	v_fmac_f32_e32 v7, v27, v35
	;; [unrolled: 1-line block ×3, first 2 shown]
	global_load_dwordx4 v[21:24], v[37:38], off offset:32
	v_fma_f32 v7, -v28, v36, v7
	v_fmac_f32_e32 v15, v27, v36
	global_load_dwordx4 v[25:28], v[37:38], off offset:48
	s_waitcnt vmcnt(5)
	v_fmac_f32_e32 v17, v43, v29
	v_fmac_f32_e32 v14, v44, v29
	v_fma_f32 v9, -v44, v30, v17
	v_fmac_f32_e32 v14, v43, v30
	s_waitcnt vmcnt(4)
	v_fmac_f32_e32 v9, v45, v31
	v_fmac_f32_e32 v14, v46, v31
	v_fma_f32 v12, -v46, v32, v9
	v_add_u32_e32 v9, 4, v11
	v_fmac_f32_e32 v14, v45, v32
	v_lshlrev_b64 v[17:18], 3, v[9:10]
	s_waitcnt vmcnt(3)
	v_fmac_f32_e32 v12, v47, v33
	v_fmac_f32_e32 v14, v48, v33
	v_add_co_u32_e32 v17, vcc, s14, v17
	v_fma_f32 v12, -v48, v34, v12
	v_fmac_f32_e32 v14, v47, v34
	v_addc_co_u32_e32 v18, vcc, v20, v18, vcc
	s_waitcnt vmcnt(2)
	v_fmac_f32_e32 v12, v49, v35
	v_fmac_f32_e32 v14, v50, v35
	v_fma_f32 v12, -v50, v36, v12
	v_fmac_f32_e32 v14, v49, v36
	global_load_dwordx4 v[29:32], v[17:18], off
	global_load_dwordx4 v[33:36], v[17:18], off offset:16
	v_add_u32_e32 v9, -7, v8
	v_lshlrev_b64 v[17:18], 3, v[9:10]
	v_add_u32_e32 v9, -6, v8
	v_add_co_u32_e32 v17, vcc, s12, v17
	v_addc_co_u32_e32 v18, vcc, v19, v18, vcc
	s_waitcnt vmcnt(1)
	v_fmac_f32_e32 v7, v21, v29
	v_fmac_f32_e32 v15, v22, v29
	v_fma_f32 v7, -v22, v30, v7
	v_fmac_f32_e32 v15, v21, v30
	v_lshlrev_b64 v[21:22], 3, v[9:10]
	v_fmac_f32_e32 v7, v23, v31
	v_fmac_f32_e32 v15, v24, v31
	v_add_u32_e32 v9, -5, v8
	v_fma_f32 v7, -v24, v32, v7
	v_fmac_f32_e32 v15, v23, v32
	v_add_co_u32_e32 v21, vcc, s12, v21
	v_lshlrev_b64 v[23:24], 3, v[9:10]
	v_addc_co_u32_e32 v22, vcc, v19, v22, vcc
	v_add_u32_e32 v9, -4, v8
	v_add_co_u32_e32 v23, vcc, s12, v23
	v_lshlrev_b64 v[37:38], 3, v[9:10]
	v_addc_co_u32_e32 v24, vcc, v19, v24, vcc
	v_add_co_u32_e32 v37, vcc, s12, v37
	v_addc_co_u32_e32 v38, vcc, v19, v38, vcc
	global_load_dwordx2 v[39:40], v[17:18], off
	global_load_dwordx2 v[41:42], v[21:22], off
	;; [unrolled: 1-line block ×4, first 2 shown]
	s_waitcnt vmcnt(4)
	v_fmac_f32_e32 v7, v25, v33
	v_fmac_f32_e32 v15, v26, v33
	v_fma_f32 v7, -v26, v34, v7
	v_fmac_f32_e32 v15, v25, v34
	v_fmac_f32_e32 v7, v27, v35
	;; [unrolled: 1-line block ×3, first 2 shown]
	v_fma_f32 v7, -v28, v36, v7
	v_fmac_f32_e32 v15, v27, v36
	s_waitcnt vmcnt(3)
	v_fmac_f32_e32 v12, v39, v29
	v_fma_f32 v9, -v40, v30, v12
	v_fmac_f32_e32 v14, v40, v29
	s_waitcnt vmcnt(2)
	v_fmac_f32_e32 v9, v41, v31
	v_fmac_f32_e32 v14, v39, v30
	v_fma_f32 v39, -v42, v32, v9
	v_mov_b32_e32 v9, v10
	v_lshlrev_b64 v[17:18], 3, v[8:9]
	v_add_u32_e32 v9, -15, v8
	v_add_co_u32_e32 v17, vcc, s12, v17
	v_lshlrev_b64 v[21:22], 3, v[9:10]
	v_addc_co_u32_e32 v18, vcc, v19, v18, vcc
	v_add_u32_e32 v9, 8, v11
	v_add_co_u32_e32 v11, vcc, s12, v21
	v_addc_co_u32_e32 v12, vcc, v19, v22, vcc
	v_lshlrev_b64 v[21:22], 3, v[9:10]
	v_add_u32_e32 v9, -3, v8
	v_lshlrev_b64 v[23:24], 3, v[9:10]
	v_add_co_u32_e32 v29, vcc, s14, v21
	v_add_u32_e32 v9, -14, v8
	v_addc_co_u32_e32 v30, vcc, v20, v22, vcc
	v_fmac_f32_e32 v14, v42, v31
	v_add_co_u32_e32 v31, vcc, s12, v23
	v_lshlrev_b64 v[21:22], 3, v[9:10]
	v_fmac_f32_e32 v14, v41, v32
	v_addc_co_u32_e32 v32, vcc, v19, v24, vcc
	v_add_co_u32_e32 v37, vcc, s12, v21
	v_add_u32_e32 v9, -2, v8
	s_waitcnt vmcnt(1)
	v_fmac_f32_e32 v39, v43, v33
	v_addc_co_u32_e32 v38, vcc, v19, v22, vcc
	v_fma_f32 v23, -v44, v34, v39
	v_lshlrev_b64 v[21:22], 3, v[9:10]
	v_add_u32_e32 v9, -13, v8
	s_waitcnt vmcnt(0)
	v_fmac_f32_e32 v23, v45, v35
	v_fmac_f32_e32 v14, v44, v33
	v_fma_f32 v47, -v46, v36, v23
	v_lshlrev_b64 v[23:24], 3, v[9:10]
	v_add_co_u32_e32 v33, vcc, s12, v21
	v_fmac_f32_e32 v14, v43, v34
	v_add_u32_e32 v9, -1, v8
	v_addc_co_u32_e32 v34, vcc, v19, v22, vcc
	v_fmac_f32_e32 v14, v46, v35
	v_lshlrev_b64 v[21:22], 3, v[9:10]
	v_add_co_u32_e32 v35, vcc, s12, v23
	v_fmac_f32_e32 v14, v45, v36
	v_addc_co_u32_e32 v36, vcc, v19, v24, vcc
	v_add_u32_e32 v9, -12, v8
	v_add_co_u32_e32 v39, vcc, s12, v21
	v_addc_co_u32_e32 v40, vcc, v19, v22, vcc
	v_lshlrev_b64 v[21:22], 3, v[9:10]
	v_add_u32_e32 v8, 0x300, v8
	v_add_co_u32_e32 v41, vcc, s12, v21
	v_addc_co_u32_e32 v42, vcc, v19, v22, vcc
	global_load_dwordx2 v[43:44], v[11:12], off
	global_load_dwordx4 v[21:24], v[29:30], off
	global_load_dwordx4 v[25:28], v[29:30], off offset:16
	v_cmp_ge_i32_e32 vcc, v6, v16
	s_or_b64 s[0:1], vcc, s[0:1]
	s_waitcnt vmcnt(1)
	v_fmac_f32_e32 v7, v43, v21
	v_fmac_f32_e32 v15, v44, v21
	v_fma_f32 v7, -v44, v22, v7
	v_fmac_f32_e32 v15, v43, v22
	global_load_dwordx2 v[11:12], v[31:32], off
	global_load_dwordx2 v[29:30], v[37:38], off
	;; [unrolled: 1-line block ×4, first 2 shown]
	s_waitcnt vmcnt(3)
	v_fmac_f32_e32 v47, v11, v21
	v_fmac_f32_e32 v14, v12, v21
	s_waitcnt vmcnt(2)
	v_fmac_f32_e32 v7, v29, v23
	v_fmac_f32_e32 v15, v30, v23
	v_fma_f32 v9, -v12, v22, v47
	v_fmac_f32_e32 v14, v11, v22
	v_fma_f32 v7, -v30, v24, v7
	v_fmac_f32_e32 v15, v29, v24
	global_load_dwordx2 v[11:12], v[39:40], off
	global_load_dwordx2 v[21:22], v[41:42], off
	;; [unrolled: 1-line block ×3, first 2 shown]
	s_waitcnt vmcnt(4)
	v_fmac_f32_e32 v9, v43, v23
	v_fmac_f32_e32 v14, v44, v23
	v_fma_f32 v9, -v44, v24, v9
	v_fmac_f32_e32 v14, v43, v24
	s_waitcnt vmcnt(3)
	v_fmac_f32_e32 v7, v45, v25
	v_fmac_f32_e32 v15, v46, v25
	v_fma_f32 v7, -v46, v26, v7
	v_fmac_f32_e32 v15, v45, v26
	;; [unrolled: 5-line block ×3, first 2 shown]
	s_waitcnt vmcnt(1)
	v_fmac_f32_e32 v7, v21, v27
	v_fmac_f32_e32 v15, v22, v27
	s_waitcnt vmcnt(0)
	v_fmac_f32_e32 v9, v29, v27
	v_fmac_f32_e32 v14, v30, v27
	v_fma_f32 v18, -v22, v28, v7
	v_fmac_f32_e32 v15, v21, v28
	v_fma_f32 v17, -v30, v28, v9
	v_fmac_f32_e32 v14, v29, v28
	s_andn2_b64 exec, exec, s[0:1]
	s_cbranch_execnz .LBB205_13
; %bb.14:
	s_or_b64 exec, exec, s[0:1]
.LBB205_15:
	s_or_b64 exec, exec, s[6:7]
.LBB205_16:
	v_mov_b32_dpp v6, v18 row_shr:1 row_mask:0xf bank_mask:0xf
	v_mov_b32_dpp v8, v15 row_shr:1 row_mask:0xf bank_mask:0xf
	v_mov_b32_dpp v10, v17 row_shr:1 row_mask:0xf bank_mask:0xf
	v_mov_b32_dpp v12, v14 row_shr:1 row_mask:0xf bank_mask:0xf
	v_add_f32_e32 v6, v18, v6
	v_add_f32_e32 v8, v15, v8
	v_add_f32_e32 v10, v17, v10
	v_add_f32_e32 v12, v14, v12
	v_mov_b32_dpp v7, v6 row_shr:2 row_mask:0xf bank_mask:0xf
	v_mov_b32_dpp v9, v8 row_shr:2 row_mask:0xf bank_mask:0xf
	v_mov_b32_dpp v11, v10 row_shr:2 row_mask:0xf bank_mask:0xf
	v_mov_b32_dpp v13, v12 row_shr:2 row_mask:0xf bank_mask:0xf
	v_add_f32_e32 v6, v6, v7
	v_add_f32_e32 v8, v8, v9
	v_add_f32_e32 v10, v10, v11
	v_add_f32_e32 v12, v12, v13
	;; [unrolled: 8-line block ×4, first 2 shown]
	v_mov_b32_dpp v7, v6 row_bcast:15 row_mask:0xa bank_mask:0xf
	v_mov_b32_dpp v9, v8 row_bcast:15 row_mask:0xa bank_mask:0xf
	;; [unrolled: 1-line block ×4, first 2 shown]
	v_cmp_eq_u32_e32 vcc, 31, v0
	s_and_b64 exec, exec, vcc
	s_cbranch_execz .LBB205_21
; %bb.17:
	s_load_dwordx2 s[2:3], s[4:5], 0x38
	v_cmp_eq_f32_e32 vcc, 0, v3
	v_cmp_eq_f32_e64 s[0:1], 0, v4
	v_add_f32_e32 v7, v6, v7
	v_add_f32_e32 v8, v8, v9
	;; [unrolled: 1-line block ×4, first 2 shown]
	s_and_b64 s[0:1], vcc, s[0:1]
	s_and_saveexec_b64 s[4:5], s[0:1]
	s_xor_b64 s[0:1], exec, s[4:5]
	s_cbranch_execz .LBB205_19
; %bb.18:
	v_mul_f32_e64 v3, v8, -v2
	v_mul_f32_e32 v4, v1, v8
	v_fmac_f32_e32 v3, v1, v7
	v_fmac_f32_e32 v4, v2, v7
	v_lshlrev_b32_e32 v7, 1, v5
	v_ashrrev_i32_e32 v8, 31, v7
	v_lshlrev_b64 v[7:8], 3, v[7:8]
	s_waitcnt lgkmcnt(0)
	v_mov_b32_e32 v5, s3
	v_add_co_u32_e32 v7, vcc, s2, v7
	v_addc_co_u32_e32 v8, vcc, v5, v8, vcc
	v_mul_f32_e64 v5, v6, -v2
	v_mul_f32_e32 v6, v1, v6
	v_fmac_f32_e32 v5, v1, v0
	v_fmac_f32_e32 v6, v2, v0
	global_store_dwordx4 v[7:8], v[3:6], off
                                        ; implicit-def: $vgpr5
                                        ; implicit-def: $vgpr1_vgpr2
                                        ; implicit-def: $vgpr8
                                        ; implicit-def: $vgpr7
                                        ; implicit-def: $vgpr3_vgpr4
                                        ; implicit-def: $vgpr6
                                        ; implicit-def: $vgpr0
.LBB205_19:
	s_andn2_saveexec_b64 s[0:1], s[0:1]
	s_cbranch_execz .LBB205_21
; %bb.20:
	v_lshlrev_b32_e32 v9, 1, v5
	v_ashrrev_i32_e32 v10, 31, v9
	v_lshlrev_b64 v[9:10], 3, v[9:10]
	s_waitcnt lgkmcnt(0)
	v_mov_b32_e32 v5, s3
	v_add_co_u32_e32 v17, vcc, s2, v9
	v_addc_co_u32_e32 v18, vcc, v5, v10, vcc
	global_load_dwordx4 v[9:12], v[17:18], off
	v_mul_f32_e64 v5, v8, -v2
	v_mul_f32_e32 v14, v1, v8
	v_mul_f32_e64 v8, v6, -v2
	v_mul_f32_e32 v16, v1, v6
	v_fmac_f32_e32 v5, v1, v7
	v_fmac_f32_e32 v14, v2, v7
	;; [unrolled: 1-line block ×4, first 2 shown]
	s_waitcnt vmcnt(0)
	v_fmac_f32_e32 v5, v3, v9
	v_fmac_f32_e32 v14, v4, v9
	;; [unrolled: 1-line block ×4, first 2 shown]
	v_fma_f32 v13, -v4, v10, v5
	v_fmac_f32_e32 v14, v3, v10
	v_fma_f32 v15, -v4, v12, v8
	v_fmac_f32_e32 v16, v3, v12
	global_store_dwordx4 v[17:18], v[13:16], off
.LBB205_21:
	s_endpgm
	.section	.rodata,"a",@progbits
	.p2align	6, 0x0
	.amdhsa_kernel _ZN9rocsparseL19gebsrmvn_2xn_kernelILj128ELj12ELj32E21rocsparse_complex_numIfEEEvi20rocsparse_direction_NS_24const_host_device_scalarIT2_EEPKiS8_PKS5_SA_S6_PS5_21rocsparse_index_base_b
		.amdhsa_group_segment_fixed_size 0
		.amdhsa_private_segment_fixed_size 0
		.amdhsa_kernarg_size 72
		.amdhsa_user_sgpr_count 6
		.amdhsa_user_sgpr_private_segment_buffer 1
		.amdhsa_user_sgpr_dispatch_ptr 0
		.amdhsa_user_sgpr_queue_ptr 0
		.amdhsa_user_sgpr_kernarg_segment_ptr 1
		.amdhsa_user_sgpr_dispatch_id 0
		.amdhsa_user_sgpr_flat_scratch_init 0
		.amdhsa_user_sgpr_private_segment_size 0
		.amdhsa_uses_dynamic_stack 0
		.amdhsa_system_sgpr_private_segment_wavefront_offset 0
		.amdhsa_system_sgpr_workgroup_id_x 1
		.amdhsa_system_sgpr_workgroup_id_y 0
		.amdhsa_system_sgpr_workgroup_id_z 0
		.amdhsa_system_sgpr_workgroup_info 0
		.amdhsa_system_vgpr_workitem_id 0
		.amdhsa_next_free_vgpr 52
		.amdhsa_next_free_sgpr 16
		.amdhsa_reserve_vcc 1
		.amdhsa_reserve_flat_scratch 0
		.amdhsa_float_round_mode_32 0
		.amdhsa_float_round_mode_16_64 0
		.amdhsa_float_denorm_mode_32 3
		.amdhsa_float_denorm_mode_16_64 3
		.amdhsa_dx10_clamp 1
		.amdhsa_ieee_mode 1
		.amdhsa_fp16_overflow 0
		.amdhsa_exception_fp_ieee_invalid_op 0
		.amdhsa_exception_fp_denorm_src 0
		.amdhsa_exception_fp_ieee_div_zero 0
		.amdhsa_exception_fp_ieee_overflow 0
		.amdhsa_exception_fp_ieee_underflow 0
		.amdhsa_exception_fp_ieee_inexact 0
		.amdhsa_exception_int_div_zero 0
	.end_amdhsa_kernel
	.section	.text._ZN9rocsparseL19gebsrmvn_2xn_kernelILj128ELj12ELj32E21rocsparse_complex_numIfEEEvi20rocsparse_direction_NS_24const_host_device_scalarIT2_EEPKiS8_PKS5_SA_S6_PS5_21rocsparse_index_base_b,"axG",@progbits,_ZN9rocsparseL19gebsrmvn_2xn_kernelILj128ELj12ELj32E21rocsparse_complex_numIfEEEvi20rocsparse_direction_NS_24const_host_device_scalarIT2_EEPKiS8_PKS5_SA_S6_PS5_21rocsparse_index_base_b,comdat
.Lfunc_end205:
	.size	_ZN9rocsparseL19gebsrmvn_2xn_kernelILj128ELj12ELj32E21rocsparse_complex_numIfEEEvi20rocsparse_direction_NS_24const_host_device_scalarIT2_EEPKiS8_PKS5_SA_S6_PS5_21rocsparse_index_base_b, .Lfunc_end205-_ZN9rocsparseL19gebsrmvn_2xn_kernelILj128ELj12ELj32E21rocsparse_complex_numIfEEEvi20rocsparse_direction_NS_24const_host_device_scalarIT2_EEPKiS8_PKS5_SA_S6_PS5_21rocsparse_index_base_b
                                        ; -- End function
	.set _ZN9rocsparseL19gebsrmvn_2xn_kernelILj128ELj12ELj32E21rocsparse_complex_numIfEEEvi20rocsparse_direction_NS_24const_host_device_scalarIT2_EEPKiS8_PKS5_SA_S6_PS5_21rocsparse_index_base_b.num_vgpr, 52
	.set _ZN9rocsparseL19gebsrmvn_2xn_kernelILj128ELj12ELj32E21rocsparse_complex_numIfEEEvi20rocsparse_direction_NS_24const_host_device_scalarIT2_EEPKiS8_PKS5_SA_S6_PS5_21rocsparse_index_base_b.num_agpr, 0
	.set _ZN9rocsparseL19gebsrmvn_2xn_kernelILj128ELj12ELj32E21rocsparse_complex_numIfEEEvi20rocsparse_direction_NS_24const_host_device_scalarIT2_EEPKiS8_PKS5_SA_S6_PS5_21rocsparse_index_base_b.numbered_sgpr, 16
	.set _ZN9rocsparseL19gebsrmvn_2xn_kernelILj128ELj12ELj32E21rocsparse_complex_numIfEEEvi20rocsparse_direction_NS_24const_host_device_scalarIT2_EEPKiS8_PKS5_SA_S6_PS5_21rocsparse_index_base_b.num_named_barrier, 0
	.set _ZN9rocsparseL19gebsrmvn_2xn_kernelILj128ELj12ELj32E21rocsparse_complex_numIfEEEvi20rocsparse_direction_NS_24const_host_device_scalarIT2_EEPKiS8_PKS5_SA_S6_PS5_21rocsparse_index_base_b.private_seg_size, 0
	.set _ZN9rocsparseL19gebsrmvn_2xn_kernelILj128ELj12ELj32E21rocsparse_complex_numIfEEEvi20rocsparse_direction_NS_24const_host_device_scalarIT2_EEPKiS8_PKS5_SA_S6_PS5_21rocsparse_index_base_b.uses_vcc, 1
	.set _ZN9rocsparseL19gebsrmvn_2xn_kernelILj128ELj12ELj32E21rocsparse_complex_numIfEEEvi20rocsparse_direction_NS_24const_host_device_scalarIT2_EEPKiS8_PKS5_SA_S6_PS5_21rocsparse_index_base_b.uses_flat_scratch, 0
	.set _ZN9rocsparseL19gebsrmvn_2xn_kernelILj128ELj12ELj32E21rocsparse_complex_numIfEEEvi20rocsparse_direction_NS_24const_host_device_scalarIT2_EEPKiS8_PKS5_SA_S6_PS5_21rocsparse_index_base_b.has_dyn_sized_stack, 0
	.set _ZN9rocsparseL19gebsrmvn_2xn_kernelILj128ELj12ELj32E21rocsparse_complex_numIfEEEvi20rocsparse_direction_NS_24const_host_device_scalarIT2_EEPKiS8_PKS5_SA_S6_PS5_21rocsparse_index_base_b.has_recursion, 0
	.set _ZN9rocsparseL19gebsrmvn_2xn_kernelILj128ELj12ELj32E21rocsparse_complex_numIfEEEvi20rocsparse_direction_NS_24const_host_device_scalarIT2_EEPKiS8_PKS5_SA_S6_PS5_21rocsparse_index_base_b.has_indirect_call, 0
	.section	.AMDGPU.csdata,"",@progbits
; Kernel info:
; codeLenInByte = 3164
; TotalNumSgprs: 20
; NumVgprs: 52
; ScratchSize: 0
; MemoryBound: 0
; FloatMode: 240
; IeeeMode: 1
; LDSByteSize: 0 bytes/workgroup (compile time only)
; SGPRBlocks: 2
; VGPRBlocks: 12
; NumSGPRsForWavesPerEU: 20
; NumVGPRsForWavesPerEU: 52
; Occupancy: 4
; WaveLimiterHint : 1
; COMPUTE_PGM_RSRC2:SCRATCH_EN: 0
; COMPUTE_PGM_RSRC2:USER_SGPR: 6
; COMPUTE_PGM_RSRC2:TRAP_HANDLER: 0
; COMPUTE_PGM_RSRC2:TGID_X_EN: 1
; COMPUTE_PGM_RSRC2:TGID_Y_EN: 0
; COMPUTE_PGM_RSRC2:TGID_Z_EN: 0
; COMPUTE_PGM_RSRC2:TIDIG_COMP_CNT: 0
	.section	.text._ZN9rocsparseL19gebsrmvn_2xn_kernelILj128ELj12ELj64E21rocsparse_complex_numIfEEEvi20rocsparse_direction_NS_24const_host_device_scalarIT2_EEPKiS8_PKS5_SA_S6_PS5_21rocsparse_index_base_b,"axG",@progbits,_ZN9rocsparseL19gebsrmvn_2xn_kernelILj128ELj12ELj64E21rocsparse_complex_numIfEEEvi20rocsparse_direction_NS_24const_host_device_scalarIT2_EEPKiS8_PKS5_SA_S6_PS5_21rocsparse_index_base_b,comdat
	.globl	_ZN9rocsparseL19gebsrmvn_2xn_kernelILj128ELj12ELj64E21rocsparse_complex_numIfEEEvi20rocsparse_direction_NS_24const_host_device_scalarIT2_EEPKiS8_PKS5_SA_S6_PS5_21rocsparse_index_base_b ; -- Begin function _ZN9rocsparseL19gebsrmvn_2xn_kernelILj128ELj12ELj64E21rocsparse_complex_numIfEEEvi20rocsparse_direction_NS_24const_host_device_scalarIT2_EEPKiS8_PKS5_SA_S6_PS5_21rocsparse_index_base_b
	.p2align	8
	.type	_ZN9rocsparseL19gebsrmvn_2xn_kernelILj128ELj12ELj64E21rocsparse_complex_numIfEEEvi20rocsparse_direction_NS_24const_host_device_scalarIT2_EEPKiS8_PKS5_SA_S6_PS5_21rocsparse_index_base_b,@function
_ZN9rocsparseL19gebsrmvn_2xn_kernelILj128ELj12ELj64E21rocsparse_complex_numIfEEEvi20rocsparse_direction_NS_24const_host_device_scalarIT2_EEPKiS8_PKS5_SA_S6_PS5_21rocsparse_index_base_b: ; @_ZN9rocsparseL19gebsrmvn_2xn_kernelILj128ELj12ELj64E21rocsparse_complex_numIfEEEvi20rocsparse_direction_NS_24const_host_device_scalarIT2_EEPKiS8_PKS5_SA_S6_PS5_21rocsparse_index_base_b
; %bb.0:
	s_load_dwordx2 s[0:1], s[4:5], 0x8
	s_load_dwordx2 s[8:9], s[4:5], 0x30
	;; [unrolled: 1-line block ×3, first 2 shown]
	s_add_u32 s7, s4, 8
	s_addc_u32 s10, s5, 0
	s_add_u32 s11, s4, 48
	s_addc_u32 s12, s5, 0
	s_waitcnt lgkmcnt(0)
	s_bitcmp1_b32 s3, 0
	s_cselect_b32 s1, s10, s1
	s_cselect_b32 s0, s7, s0
	v_mov_b32_e32 v1, s0
	v_mov_b32_e32 v2, s1
	flat_load_dwordx2 v[1:2], v[1:2]
	s_cselect_b32 s0, s12, s9
	s_cselect_b32 s1, s11, s8
	v_mov_b32_e32 v3, s1
	v_mov_b32_e32 v4, s0
	flat_load_dwordx2 v[3:4], v[3:4]
	s_waitcnt vmcnt(0) lgkmcnt(0)
	v_cmp_eq_f32_e32 vcc, 0, v1
	v_cmp_eq_f32_e64 s[0:1], 0, v2
	s_and_b64 s[10:11], vcc, s[0:1]
	s_mov_b64 s[0:1], -1
	s_and_saveexec_b64 s[8:9], s[10:11]
; %bb.1:
	v_cmp_neq_f32_e32 vcc, 1.0, v3
	v_cmp_neq_f32_e64 s[0:1], 0, v4
	s_or_b64 s[0:1], vcc, s[0:1]
	s_orn2_b64 s[0:1], s[0:1], exec
; %bb.2:
	s_or_b64 exec, exec, s[8:9]
	s_and_saveexec_b64 s[8:9], s[0:1]
	s_cbranch_execz .LBB206_21
; %bb.3:
	s_load_dwordx2 s[0:1], s[4:5], 0x0
	v_lshrrev_b32_e32 v5, 6, v0
	v_lshl_or_b32 v5, s6, 1, v5
	s_waitcnt lgkmcnt(0)
	v_cmp_gt_i32_e32 vcc, s0, v5
	s_and_b64 exec, exec, vcc
	s_cbranch_execz .LBB206_21
; %bb.4:
	s_load_dwordx8 s[8:15], s[4:5], 0x10
	v_ashrrev_i32_e32 v6, 31, v5
	v_lshlrev_b64 v[6:7], 2, v[5:6]
	v_and_b32_e32 v0, 63, v0
	s_cmp_lg_u32 s1, 0
	s_waitcnt lgkmcnt(0)
	v_mov_b32_e32 v8, s9
	v_add_co_u32_e32 v6, vcc, s8, v6
	v_addc_co_u32_e32 v7, vcc, v8, v7, vcc
	global_load_dwordx2 v[6:7], v[6:7], off
	s_waitcnt vmcnt(0)
	v_subrev_u32_e32 v6, s2, v6
	v_subrev_u32_e32 v16, s2, v7
	v_add_u32_e32 v6, v6, v0
	v_cmp_lt_i32_e64 s[0:1], v6, v16
	s_cbranch_scc0 .LBB206_10
; %bb.5:
	v_mov_b32_e32 v15, 0
	v_mov_b32_e32 v18, 0
	;; [unrolled: 1-line block ×4, first 2 shown]
	s_and_saveexec_b64 s[6:7], s[0:1]
	s_cbranch_execz .LBB206_9
; %bb.6:
	v_mad_u64_u32 v[7:8], s[8:9], v6, 24, 22
	v_mov_b32_e32 v10, 0
	s_mov_b64 s[8:9], 0
	v_mov_b32_e32 v19, s11
	v_mov_b32_e32 v20, s13
	;; [unrolled: 1-line block ×8, first 2 shown]
.LBB206_7:                              ; =>This Inner Loop Header: Depth=1
	v_ashrrev_i32_e32 v12, 31, v11
	v_lshlrev_b64 v[22:23], 2, v[11:12]
	v_subrev_u32_e32 v9, 22, v7
	v_lshlrev_b64 v[24:25], 3, v[9:10]
	v_add_co_u32_e32 v38, vcc, s10, v22
	v_mov_b32_e32 v8, v10
	v_addc_co_u32_e32 v39, vcc, v19, v23, vcc
	v_lshlrev_b64 v[26:27], 3, v[7:8]
	v_add_co_u32_e32 v40, vcc, s12, v24
	v_addc_co_u32_e32 v41, vcc, v20, v25, vcc
	v_add_co_u32_e32 v50, vcc, s12, v26
	v_addc_co_u32_e32 v51, vcc, v20, v27, vcc
	global_load_dword v12, v[38:39], off
	global_load_dwordx4 v[22:25], v[40:41], off
	global_load_dwordx4 v[26:29], v[40:41], off offset:16
	global_load_dwordx4 v[30:33], v[40:41], off offset:32
	global_load_dwordx4 v[34:37], v[40:41], off offset:48
	v_add_u32_e32 v9, -14, v7
	v_lshlrev_b64 v[8:9], 3, v[9:10]
	v_mov_b32_e32 v13, v10
	v_add_co_u32_e32 v8, vcc, s12, v8
	v_addc_co_u32_e32 v9, vcc, v20, v9, vcc
	v_add_u32_e32 v11, 64, v11
	s_waitcnt vmcnt(4)
	v_subrev_u32_e32 v12, s2, v12
	v_mul_lo_u32 v12, v12, 12
	v_lshlrev_b64 v[38:39], 3, v[12:13]
	v_add_co_u32_e32 v46, vcc, s14, v38
	v_addc_co_u32_e32 v47, vcc, v21, v39, vcc
	global_load_dwordx4 v[38:41], v[46:47], off
	global_load_dwordx4 v[42:45], v[46:47], off offset:16
	s_waitcnt vmcnt(1)
	v_fmac_f32_e32 v18, v22, v38
	v_fmac_f32_e32 v15, v23, v38
	;; [unrolled: 1-line block ×4, first 2 shown]
	v_fma_f32 v13, -v23, v39, v18
	v_fmac_f32_e32 v15, v22, v39
	v_fma_f32 v38, -v25, v39, v17
	v_fmac_f32_e32 v14, v24, v39
	global_load_dwordx4 v[22:25], v[8:9], off
	v_add_u32_e32 v9, 4, v12
	v_lshlrev_b64 v[17:18], 3, v[9:10]
	v_add_u32_e32 v9, -12, v7
	v_fmac_f32_e32 v13, v26, v40
	v_fmac_f32_e32 v15, v27, v40
	v_fma_f32 v8, -v27, v41, v13
	v_fmac_f32_e32 v15, v26, v41
	v_lshlrev_b64 v[26:27], 3, v[9:10]
	v_add_co_u32_e32 v17, vcc, s14, v17
	v_addc_co_u32_e32 v18, vcc, v21, v18, vcc
	v_fmac_f32_e32 v38, v28, v40
	v_fmac_f32_e32 v14, v29, v40
	v_add_co_u32_e32 v40, vcc, s12, v26
	v_fma_f32 v13, -v29, v41, v38
	v_fmac_f32_e32 v14, v28, v41
	v_addc_co_u32_e32 v41, vcc, v20, v27, vcc
	global_load_dwordx4 v[26:29], v[17:18], off
	v_add_u32_e32 v9, -10, v7
	v_lshlrev_b64 v[38:39], 3, v[9:10]
	v_add_u32_e32 v9, -8, v7
	s_waitcnt vmcnt(2)
	v_fmac_f32_e32 v8, v30, v42
	v_fmac_f32_e32 v15, v31, v42
	;; [unrolled: 1-line block ×4, first 2 shown]
	v_fma_f32 v8, -v31, v43, v8
	v_fmac_f32_e32 v15, v30, v43
	v_fma_f32 v13, -v33, v43, v13
	v_fmac_f32_e32 v14, v32, v43
	global_load_dwordx4 v[30:33], v[17:18], off offset:16
	v_lshlrev_b64 v[17:18], 3, v[9:10]
	v_add_co_u32_e32 v38, vcc, s12, v38
	v_add_u32_e32 v9, -6, v7
	v_addc_co_u32_e32 v39, vcc, v20, v39, vcc
	v_fmac_f32_e32 v13, v36, v44
	v_lshlrev_b64 v[42:43], 3, v[9:10]
	v_add_u32_e32 v9, 8, v12
	v_add_co_u32_e32 v12, vcc, s12, v17
	v_fmac_f32_e32 v8, v34, v44
	v_fmac_f32_e32 v15, v35, v44
	;; [unrolled: 1-line block ×3, first 2 shown]
	v_fma_f32 v48, -v37, v45, v13
	v_addc_co_u32_e32 v13, vcc, v20, v18, vcc
	v_fma_f32 v8, -v35, v45, v8
	v_fmac_f32_e32 v15, v34, v45
	v_fmac_f32_e32 v14, v36, v45
	global_load_dwordx4 v[34:37], v[40:41], off
	v_add_co_u32_e32 v46, vcc, s12, v42
	v_addc_co_u32_e32 v47, vcc, v20, v43, vcc
	v_lshlrev_b64 v[17:18], 3, v[9:10]
	v_add_u32_e32 v9, -4, v7
	v_add_co_u32_e32 v17, vcc, s14, v17
	v_addc_co_u32_e32 v18, vcc, v21, v18, vcc
	global_load_dwordx4 v[42:45], v[12:13], off
	v_lshlrev_b64 v[12:13], 3, v[9:10]
	v_add_u32_e32 v9, -2, v7
	v_add_u32_e32 v7, 0x600, v7
	v_add_co_u32_e32 v12, vcc, s12, v12
	v_addc_co_u32_e32 v13, vcc, v20, v13, vcc
	s_waitcnt vmcnt(3)
	v_fmac_f32_e32 v8, v22, v26
	v_fmac_f32_e32 v15, v23, v26
	;; [unrolled: 1-line block ×4, first 2 shown]
	v_fma_f32 v8, -v23, v27, v8
	v_fmac_f32_e32 v15, v22, v27
	v_fma_f32 v26, -v25, v27, v48
	v_fmac_f32_e32 v14, v24, v27
	global_load_dwordx4 v[22:25], v[46:47], off
	s_waitcnt vmcnt(2)
	v_fmac_f32_e32 v8, v34, v28
	global_load_dwordx4 v[38:41], v[38:39], off
	v_fmac_f32_e32 v15, v35, v28
	v_fmac_f32_e32 v26, v36, v28
	;; [unrolled: 1-line block ×3, first 2 shown]
	v_fma_f32 v46, -v35, v29, v8
	v_fmac_f32_e32 v15, v34, v29
	v_fma_f32 v47, -v37, v29, v26
	v_fmac_f32_e32 v14, v36, v29
	v_lshlrev_b64 v[8:9], 3, v[9:10]
	global_load_dwordx4 v[26:29], v[17:18], off
	global_load_dwordx4 v[34:37], v[17:18], off offset:16
	v_add_co_u32_e32 v8, vcc, s12, v8
	v_addc_co_u32_e32 v9, vcc, v20, v9, vcc
	v_cmp_ge_i32_e32 vcc, v11, v16
	s_or_b64 s[8:9], vcc, s[8:9]
	s_waitcnt vmcnt(2)
	v_fmac_f32_e32 v46, v38, v30
	v_fmac_f32_e32 v15, v39, v30
	;; [unrolled: 1-line block ×4, first 2 shown]
	v_fma_f32 v17, -v39, v31, v46
	v_fmac_f32_e32 v15, v38, v31
	v_fma_f32 v18, -v41, v31, v47
	v_fmac_f32_e32 v14, v40, v31
	global_load_dwordx4 v[38:41], v[12:13], off
	global_load_dwordx4 v[46:49], v[8:9], off
	v_fmac_f32_e32 v17, v42, v32
	v_fmac_f32_e32 v15, v43, v32
	;; [unrolled: 1-line block ×4, first 2 shown]
	v_fma_f32 v8, -v43, v33, v17
	v_fmac_f32_e32 v15, v42, v33
	v_fma_f32 v9, -v45, v33, v18
	v_fmac_f32_e32 v14, v44, v33
	global_load_dwordx4 v[30:33], v[50:51], off
	s_waitcnt vmcnt(4)
	v_fmac_f32_e32 v8, v22, v26
	v_fmac_f32_e32 v15, v23, v26
	v_fmac_f32_e32 v9, v24, v26
	v_fmac_f32_e32 v14, v25, v26
	v_fma_f32 v8, -v23, v27, v8
	v_fmac_f32_e32 v15, v22, v27
	v_fma_f32 v9, -v25, v27, v9
	v_fmac_f32_e32 v14, v24, v27
	s_waitcnt vmcnt(2)
	v_fmac_f32_e32 v8, v38, v28
	v_fmac_f32_e32 v15, v39, v28
	v_fmac_f32_e32 v9, v40, v28
	v_fmac_f32_e32 v14, v41, v28
	v_fma_f32 v8, -v39, v29, v8
	v_fmac_f32_e32 v15, v38, v29
	v_fma_f32 v9, -v41, v29, v9
	v_fmac_f32_e32 v14, v40, v29
	;; [unrolled: 9-line block ×4, first 2 shown]
	s_andn2_b64 exec, exec, s[8:9]
	s_cbranch_execnz .LBB206_7
; %bb.8:
	s_or_b64 exec, exec, s[8:9]
.LBB206_9:
	s_or_b64 exec, exec, s[6:7]
	s_cbranch_execz .LBB206_11
	s_branch .LBB206_16
.LBB206_10:
                                        ; implicit-def: $vgpr15
                                        ; implicit-def: $vgpr18
                                        ; implicit-def: $vgpr17
                                        ; implicit-def: $vgpr14
.LBB206_11:
	v_mov_b32_e32 v15, 0
	v_mov_b32_e32 v18, 0
	v_mov_b32_e32 v17, 0
	v_mov_b32_e32 v14, 0
	s_and_saveexec_b64 s[6:7], s[0:1]
	s_cbranch_execz .LBB206_15
; %bb.12:
	v_mad_u64_u32 v[8:9], s[0:1], v6, 24, 23
	v_mov_b32_e32 v10, 0
	s_mov_b64 s[0:1], 0
	v_mov_b32_e32 v13, s11
	v_mov_b32_e32 v19, s13
	;; [unrolled: 1-line block ×7, first 2 shown]
.LBB206_13:                             ; =>This Inner Loop Header: Depth=1
	v_ashrrev_i32_e32 v7, 31, v6
	v_lshlrev_b64 v[21:22], 2, v[6:7]
	v_subrev_u32_e32 v9, 23, v8
	v_lshlrev_b64 v[23:24], 3, v[9:10]
	v_add_co_u32_e32 v29, vcc, s10, v21
	v_addc_co_u32_e32 v30, vcc, v13, v22, vcc
	v_add_co_u32_e32 v37, vcc, s12, v23
	v_addc_co_u32_e32 v38, vcc, v19, v24, vcc
	global_load_dword v7, v[29:30], off
	global_load_dwordx4 v[21:24], v[37:38], off
	global_load_dwordx4 v[25:28], v[37:38], off offset:16
	v_mov_b32_e32 v12, v10
	v_add_u32_e32 v9, -10, v8
	v_add_u32_e32 v6, 64, v6
	s_waitcnt vmcnt(2)
	v_subrev_u32_e32 v7, s2, v7
	v_mul_lo_u32 v11, v7, 12
	v_lshlrev_b64 v[29:30], 3, v[11:12]
	v_add_co_u32_e32 v39, vcc, s14, v29
	v_addc_co_u32_e32 v40, vcc, v20, v30, vcc
	global_load_dwordx4 v[29:32], v[39:40], off
	global_load_dwordx4 v[33:36], v[39:40], off offset:16
	s_waitcnt vmcnt(1)
	v_fmac_f32_e32 v18, v21, v29
	v_fmac_f32_e32 v15, v22, v29
	v_fma_f32 v7, -v22, v30, v18
	v_fmac_f32_e32 v15, v21, v30
	v_add_u32_e32 v21, -11, v8
	v_mov_b32_e32 v22, v10
	v_lshlrev_b64 v[21:22], 3, v[21:22]
	v_fmac_f32_e32 v7, v23, v31
	v_fmac_f32_e32 v15, v24, v31
	v_fma_f32 v7, -v24, v32, v7
	v_fmac_f32_e32 v15, v23, v32
	v_add_co_u32_e32 v21, vcc, s12, v21
	v_lshlrev_b64 v[23:24], 3, v[9:10]
	v_addc_co_u32_e32 v22, vcc, v19, v22, vcc
	v_add_u32_e32 v9, -9, v8
	v_add_co_u32_e32 v23, vcc, s12, v23
	v_lshlrev_b64 v[39:40], 3, v[9:10]
	v_addc_co_u32_e32 v24, vcc, v19, v24, vcc
	v_add_u32_e32 v9, -8, v8
	v_add_co_u32_e32 v39, vcc, s12, v39
	v_lshlrev_b64 v[41:42], 3, v[9:10]
	v_addc_co_u32_e32 v40, vcc, v19, v40, vcc
	v_add_co_u32_e32 v41, vcc, s12, v41
	v_addc_co_u32_e32 v42, vcc, v19, v42, vcc
	global_load_dwordx2 v[43:44], v[21:22], off
	global_load_dwordx2 v[45:46], v[23:24], off
	;; [unrolled: 1-line block ×4, first 2 shown]
	s_waitcnt vmcnt(4)
	v_fmac_f32_e32 v7, v25, v33
	v_fmac_f32_e32 v15, v26, v33
	v_fma_f32 v7, -v26, v34, v7
	v_fmac_f32_e32 v15, v25, v34
	v_fmac_f32_e32 v7, v27, v35
	;; [unrolled: 1-line block ×3, first 2 shown]
	global_load_dwordx4 v[21:24], v[37:38], off offset:32
	v_fma_f32 v7, -v28, v36, v7
	v_fmac_f32_e32 v15, v27, v36
	global_load_dwordx4 v[25:28], v[37:38], off offset:48
	s_waitcnt vmcnt(5)
	v_fmac_f32_e32 v17, v43, v29
	v_fmac_f32_e32 v14, v44, v29
	v_fma_f32 v9, -v44, v30, v17
	v_fmac_f32_e32 v14, v43, v30
	s_waitcnt vmcnt(4)
	v_fmac_f32_e32 v9, v45, v31
	v_fmac_f32_e32 v14, v46, v31
	v_fma_f32 v12, -v46, v32, v9
	v_add_u32_e32 v9, 4, v11
	v_fmac_f32_e32 v14, v45, v32
	v_lshlrev_b64 v[17:18], 3, v[9:10]
	s_waitcnt vmcnt(3)
	v_fmac_f32_e32 v12, v47, v33
	v_fmac_f32_e32 v14, v48, v33
	v_add_co_u32_e32 v17, vcc, s14, v17
	v_fma_f32 v12, -v48, v34, v12
	v_fmac_f32_e32 v14, v47, v34
	v_addc_co_u32_e32 v18, vcc, v20, v18, vcc
	s_waitcnt vmcnt(2)
	v_fmac_f32_e32 v12, v49, v35
	v_fmac_f32_e32 v14, v50, v35
	v_fma_f32 v12, -v50, v36, v12
	v_fmac_f32_e32 v14, v49, v36
	global_load_dwordx4 v[29:32], v[17:18], off
	global_load_dwordx4 v[33:36], v[17:18], off offset:16
	v_add_u32_e32 v9, -7, v8
	v_lshlrev_b64 v[17:18], 3, v[9:10]
	v_add_u32_e32 v9, -6, v8
	v_add_co_u32_e32 v17, vcc, s12, v17
	v_addc_co_u32_e32 v18, vcc, v19, v18, vcc
	s_waitcnt vmcnt(1)
	v_fmac_f32_e32 v7, v21, v29
	v_fmac_f32_e32 v15, v22, v29
	v_fma_f32 v7, -v22, v30, v7
	v_fmac_f32_e32 v15, v21, v30
	v_lshlrev_b64 v[21:22], 3, v[9:10]
	v_fmac_f32_e32 v7, v23, v31
	v_fmac_f32_e32 v15, v24, v31
	v_add_u32_e32 v9, -5, v8
	v_fma_f32 v7, -v24, v32, v7
	v_fmac_f32_e32 v15, v23, v32
	v_add_co_u32_e32 v21, vcc, s12, v21
	v_lshlrev_b64 v[23:24], 3, v[9:10]
	v_addc_co_u32_e32 v22, vcc, v19, v22, vcc
	v_add_u32_e32 v9, -4, v8
	v_add_co_u32_e32 v23, vcc, s12, v23
	v_lshlrev_b64 v[37:38], 3, v[9:10]
	v_addc_co_u32_e32 v24, vcc, v19, v24, vcc
	v_add_co_u32_e32 v37, vcc, s12, v37
	v_addc_co_u32_e32 v38, vcc, v19, v38, vcc
	global_load_dwordx2 v[39:40], v[17:18], off
	global_load_dwordx2 v[41:42], v[21:22], off
	;; [unrolled: 1-line block ×4, first 2 shown]
	s_waitcnt vmcnt(4)
	v_fmac_f32_e32 v7, v25, v33
	v_fmac_f32_e32 v15, v26, v33
	v_fma_f32 v7, -v26, v34, v7
	v_fmac_f32_e32 v15, v25, v34
	v_fmac_f32_e32 v7, v27, v35
	;; [unrolled: 1-line block ×3, first 2 shown]
	v_fma_f32 v7, -v28, v36, v7
	v_fmac_f32_e32 v15, v27, v36
	s_waitcnt vmcnt(3)
	v_fmac_f32_e32 v12, v39, v29
	v_fma_f32 v9, -v40, v30, v12
	v_fmac_f32_e32 v14, v40, v29
	s_waitcnt vmcnt(2)
	v_fmac_f32_e32 v9, v41, v31
	v_fmac_f32_e32 v14, v39, v30
	v_fma_f32 v39, -v42, v32, v9
	v_mov_b32_e32 v9, v10
	v_lshlrev_b64 v[17:18], 3, v[8:9]
	v_add_u32_e32 v9, -15, v8
	v_add_co_u32_e32 v17, vcc, s12, v17
	v_lshlrev_b64 v[21:22], 3, v[9:10]
	v_addc_co_u32_e32 v18, vcc, v19, v18, vcc
	v_add_u32_e32 v9, 8, v11
	v_add_co_u32_e32 v11, vcc, s12, v21
	v_addc_co_u32_e32 v12, vcc, v19, v22, vcc
	v_lshlrev_b64 v[21:22], 3, v[9:10]
	v_add_u32_e32 v9, -3, v8
	v_lshlrev_b64 v[23:24], 3, v[9:10]
	v_add_co_u32_e32 v29, vcc, s14, v21
	v_add_u32_e32 v9, -14, v8
	v_addc_co_u32_e32 v30, vcc, v20, v22, vcc
	v_fmac_f32_e32 v14, v42, v31
	v_add_co_u32_e32 v31, vcc, s12, v23
	v_lshlrev_b64 v[21:22], 3, v[9:10]
	v_fmac_f32_e32 v14, v41, v32
	v_addc_co_u32_e32 v32, vcc, v19, v24, vcc
	v_add_co_u32_e32 v37, vcc, s12, v21
	v_add_u32_e32 v9, -2, v8
	s_waitcnt vmcnt(1)
	v_fmac_f32_e32 v39, v43, v33
	v_addc_co_u32_e32 v38, vcc, v19, v22, vcc
	v_fma_f32 v23, -v44, v34, v39
	v_lshlrev_b64 v[21:22], 3, v[9:10]
	v_add_u32_e32 v9, -13, v8
	s_waitcnt vmcnt(0)
	v_fmac_f32_e32 v23, v45, v35
	v_fmac_f32_e32 v14, v44, v33
	v_fma_f32 v47, -v46, v36, v23
	v_lshlrev_b64 v[23:24], 3, v[9:10]
	v_add_co_u32_e32 v33, vcc, s12, v21
	v_fmac_f32_e32 v14, v43, v34
	v_add_u32_e32 v9, -1, v8
	v_addc_co_u32_e32 v34, vcc, v19, v22, vcc
	v_fmac_f32_e32 v14, v46, v35
	v_lshlrev_b64 v[21:22], 3, v[9:10]
	v_add_co_u32_e32 v35, vcc, s12, v23
	v_fmac_f32_e32 v14, v45, v36
	v_addc_co_u32_e32 v36, vcc, v19, v24, vcc
	v_add_u32_e32 v9, -12, v8
	v_add_co_u32_e32 v39, vcc, s12, v21
	v_addc_co_u32_e32 v40, vcc, v19, v22, vcc
	v_lshlrev_b64 v[21:22], 3, v[9:10]
	v_add_u32_e32 v8, 0x600, v8
	v_add_co_u32_e32 v41, vcc, s12, v21
	v_addc_co_u32_e32 v42, vcc, v19, v22, vcc
	global_load_dwordx2 v[43:44], v[11:12], off
	global_load_dwordx4 v[21:24], v[29:30], off
	global_load_dwordx4 v[25:28], v[29:30], off offset:16
	v_cmp_ge_i32_e32 vcc, v6, v16
	s_or_b64 s[0:1], vcc, s[0:1]
	s_waitcnt vmcnt(1)
	v_fmac_f32_e32 v7, v43, v21
	v_fmac_f32_e32 v15, v44, v21
	v_fma_f32 v7, -v44, v22, v7
	v_fmac_f32_e32 v15, v43, v22
	global_load_dwordx2 v[11:12], v[31:32], off
	global_load_dwordx2 v[29:30], v[37:38], off
	;; [unrolled: 1-line block ×4, first 2 shown]
	s_waitcnt vmcnt(3)
	v_fmac_f32_e32 v47, v11, v21
	v_fmac_f32_e32 v14, v12, v21
	s_waitcnt vmcnt(2)
	v_fmac_f32_e32 v7, v29, v23
	v_fmac_f32_e32 v15, v30, v23
	v_fma_f32 v9, -v12, v22, v47
	v_fmac_f32_e32 v14, v11, v22
	v_fma_f32 v7, -v30, v24, v7
	v_fmac_f32_e32 v15, v29, v24
	global_load_dwordx2 v[11:12], v[39:40], off
	global_load_dwordx2 v[21:22], v[41:42], off
	;; [unrolled: 1-line block ×3, first 2 shown]
	s_waitcnt vmcnt(4)
	v_fmac_f32_e32 v9, v43, v23
	v_fmac_f32_e32 v14, v44, v23
	v_fma_f32 v9, -v44, v24, v9
	v_fmac_f32_e32 v14, v43, v24
	s_waitcnt vmcnt(3)
	v_fmac_f32_e32 v7, v45, v25
	v_fmac_f32_e32 v15, v46, v25
	v_fma_f32 v7, -v46, v26, v7
	v_fmac_f32_e32 v15, v45, v26
	s_waitcnt vmcnt(2)
	v_fmac_f32_e32 v9, v11, v25
	v_fmac_f32_e32 v14, v12, v25
	v_fma_f32 v9, -v12, v26, v9
	v_fmac_f32_e32 v14, v11, v26
	s_waitcnt vmcnt(1)
	v_fmac_f32_e32 v7, v21, v27
	v_fmac_f32_e32 v15, v22, v27
	s_waitcnt vmcnt(0)
	v_fmac_f32_e32 v9, v29, v27
	v_fmac_f32_e32 v14, v30, v27
	v_fma_f32 v18, -v22, v28, v7
	v_fmac_f32_e32 v15, v21, v28
	v_fma_f32 v17, -v30, v28, v9
	v_fmac_f32_e32 v14, v29, v28
	s_andn2_b64 exec, exec, s[0:1]
	s_cbranch_execnz .LBB206_13
; %bb.14:
	s_or_b64 exec, exec, s[0:1]
.LBB206_15:
	s_or_b64 exec, exec, s[6:7]
.LBB206_16:
	v_mov_b32_dpp v6, v18 row_shr:1 row_mask:0xf bank_mask:0xf
	v_mov_b32_dpp v8, v15 row_shr:1 row_mask:0xf bank_mask:0xf
	v_mov_b32_dpp v10, v17 row_shr:1 row_mask:0xf bank_mask:0xf
	v_mov_b32_dpp v12, v14 row_shr:1 row_mask:0xf bank_mask:0xf
	v_add_f32_e32 v6, v18, v6
	v_add_f32_e32 v8, v15, v8
	v_add_f32_e32 v10, v17, v10
	v_add_f32_e32 v12, v14, v12
	v_mov_b32_dpp v7, v6 row_shr:2 row_mask:0xf bank_mask:0xf
	v_mov_b32_dpp v9, v8 row_shr:2 row_mask:0xf bank_mask:0xf
	v_mov_b32_dpp v11, v10 row_shr:2 row_mask:0xf bank_mask:0xf
	v_mov_b32_dpp v13, v12 row_shr:2 row_mask:0xf bank_mask:0xf
	v_add_f32_e32 v6, v6, v7
	v_add_f32_e32 v8, v8, v9
	v_add_f32_e32 v10, v10, v11
	v_add_f32_e32 v12, v12, v13
	;; [unrolled: 8-line block ×4, first 2 shown]
	v_mov_b32_dpp v7, v6 row_bcast:15 row_mask:0xa bank_mask:0xf
	v_mov_b32_dpp v9, v8 row_bcast:15 row_mask:0xa bank_mask:0xf
	;; [unrolled: 1-line block ×4, first 2 shown]
	v_add_f32_e32 v6, v6, v7
	v_add_f32_e32 v8, v8, v9
	v_add_f32_e32 v10, v10, v11
	v_add_f32_e32 v12, v12, v13
	v_mov_b32_dpp v7, v6 row_bcast:31 row_mask:0xc bank_mask:0xf
	v_mov_b32_dpp v9, v8 row_bcast:31 row_mask:0xc bank_mask:0xf
	;; [unrolled: 1-line block ×4, first 2 shown]
	v_cmp_eq_u32_e32 vcc, 63, v0
	s_and_b64 exec, exec, vcc
	s_cbranch_execz .LBB206_21
; %bb.17:
	s_load_dwordx2 s[2:3], s[4:5], 0x38
	v_cmp_eq_f32_e32 vcc, 0, v3
	v_cmp_eq_f32_e64 s[0:1], 0, v4
	v_add_f32_e32 v7, v6, v7
	v_add_f32_e32 v8, v8, v9
	;; [unrolled: 1-line block ×4, first 2 shown]
	s_and_b64 s[0:1], vcc, s[0:1]
	s_and_saveexec_b64 s[4:5], s[0:1]
	s_xor_b64 s[0:1], exec, s[4:5]
	s_cbranch_execz .LBB206_19
; %bb.18:
	v_mul_f32_e64 v3, v8, -v2
	v_mul_f32_e32 v4, v1, v8
	v_fmac_f32_e32 v3, v1, v7
	v_fmac_f32_e32 v4, v2, v7
	v_lshlrev_b32_e32 v7, 1, v5
	v_ashrrev_i32_e32 v8, 31, v7
	v_lshlrev_b64 v[7:8], 3, v[7:8]
	s_waitcnt lgkmcnt(0)
	v_mov_b32_e32 v5, s3
	v_add_co_u32_e32 v7, vcc, s2, v7
	v_addc_co_u32_e32 v8, vcc, v5, v8, vcc
	v_mul_f32_e64 v5, v6, -v2
	v_mul_f32_e32 v6, v1, v6
	v_fmac_f32_e32 v5, v1, v0
	v_fmac_f32_e32 v6, v2, v0
	global_store_dwordx4 v[7:8], v[3:6], off
                                        ; implicit-def: $vgpr5
                                        ; implicit-def: $vgpr1_vgpr2
                                        ; implicit-def: $vgpr8
                                        ; implicit-def: $vgpr7
                                        ; implicit-def: $vgpr3_vgpr4
                                        ; implicit-def: $vgpr6
                                        ; implicit-def: $vgpr0
.LBB206_19:
	s_andn2_saveexec_b64 s[0:1], s[0:1]
	s_cbranch_execz .LBB206_21
; %bb.20:
	v_lshlrev_b32_e32 v9, 1, v5
	v_ashrrev_i32_e32 v10, 31, v9
	v_lshlrev_b64 v[9:10], 3, v[9:10]
	s_waitcnt lgkmcnt(0)
	v_mov_b32_e32 v5, s3
	v_add_co_u32_e32 v17, vcc, s2, v9
	v_addc_co_u32_e32 v18, vcc, v5, v10, vcc
	global_load_dwordx4 v[9:12], v[17:18], off
	v_mul_f32_e64 v5, v8, -v2
	v_mul_f32_e32 v14, v1, v8
	v_mul_f32_e64 v8, v6, -v2
	v_mul_f32_e32 v16, v1, v6
	v_fmac_f32_e32 v5, v1, v7
	v_fmac_f32_e32 v14, v2, v7
	;; [unrolled: 1-line block ×4, first 2 shown]
	s_waitcnt vmcnt(0)
	v_fmac_f32_e32 v5, v3, v9
	v_fmac_f32_e32 v14, v4, v9
	;; [unrolled: 1-line block ×4, first 2 shown]
	v_fma_f32 v13, -v4, v10, v5
	v_fmac_f32_e32 v14, v3, v10
	v_fma_f32 v15, -v4, v12, v8
	v_fmac_f32_e32 v16, v3, v12
	global_store_dwordx4 v[17:18], v[13:16], off
.LBB206_21:
	s_endpgm
	.section	.rodata,"a",@progbits
	.p2align	6, 0x0
	.amdhsa_kernel _ZN9rocsparseL19gebsrmvn_2xn_kernelILj128ELj12ELj64E21rocsparse_complex_numIfEEEvi20rocsparse_direction_NS_24const_host_device_scalarIT2_EEPKiS8_PKS5_SA_S6_PS5_21rocsparse_index_base_b
		.amdhsa_group_segment_fixed_size 0
		.amdhsa_private_segment_fixed_size 0
		.amdhsa_kernarg_size 72
		.amdhsa_user_sgpr_count 6
		.amdhsa_user_sgpr_private_segment_buffer 1
		.amdhsa_user_sgpr_dispatch_ptr 0
		.amdhsa_user_sgpr_queue_ptr 0
		.amdhsa_user_sgpr_kernarg_segment_ptr 1
		.amdhsa_user_sgpr_dispatch_id 0
		.amdhsa_user_sgpr_flat_scratch_init 0
		.amdhsa_user_sgpr_private_segment_size 0
		.amdhsa_uses_dynamic_stack 0
		.amdhsa_system_sgpr_private_segment_wavefront_offset 0
		.amdhsa_system_sgpr_workgroup_id_x 1
		.amdhsa_system_sgpr_workgroup_id_y 0
		.amdhsa_system_sgpr_workgroup_id_z 0
		.amdhsa_system_sgpr_workgroup_info 0
		.amdhsa_system_vgpr_workitem_id 0
		.amdhsa_next_free_vgpr 52
		.amdhsa_next_free_sgpr 16
		.amdhsa_reserve_vcc 1
		.amdhsa_reserve_flat_scratch 0
		.amdhsa_float_round_mode_32 0
		.amdhsa_float_round_mode_16_64 0
		.amdhsa_float_denorm_mode_32 3
		.amdhsa_float_denorm_mode_16_64 3
		.amdhsa_dx10_clamp 1
		.amdhsa_ieee_mode 1
		.amdhsa_fp16_overflow 0
		.amdhsa_exception_fp_ieee_invalid_op 0
		.amdhsa_exception_fp_denorm_src 0
		.amdhsa_exception_fp_ieee_div_zero 0
		.amdhsa_exception_fp_ieee_overflow 0
		.amdhsa_exception_fp_ieee_underflow 0
		.amdhsa_exception_fp_ieee_inexact 0
		.amdhsa_exception_int_div_zero 0
	.end_amdhsa_kernel
	.section	.text._ZN9rocsparseL19gebsrmvn_2xn_kernelILj128ELj12ELj64E21rocsparse_complex_numIfEEEvi20rocsparse_direction_NS_24const_host_device_scalarIT2_EEPKiS8_PKS5_SA_S6_PS5_21rocsparse_index_base_b,"axG",@progbits,_ZN9rocsparseL19gebsrmvn_2xn_kernelILj128ELj12ELj64E21rocsparse_complex_numIfEEEvi20rocsparse_direction_NS_24const_host_device_scalarIT2_EEPKiS8_PKS5_SA_S6_PS5_21rocsparse_index_base_b,comdat
.Lfunc_end206:
	.size	_ZN9rocsparseL19gebsrmvn_2xn_kernelILj128ELj12ELj64E21rocsparse_complex_numIfEEEvi20rocsparse_direction_NS_24const_host_device_scalarIT2_EEPKiS8_PKS5_SA_S6_PS5_21rocsparse_index_base_b, .Lfunc_end206-_ZN9rocsparseL19gebsrmvn_2xn_kernelILj128ELj12ELj64E21rocsparse_complex_numIfEEEvi20rocsparse_direction_NS_24const_host_device_scalarIT2_EEPKiS8_PKS5_SA_S6_PS5_21rocsparse_index_base_b
                                        ; -- End function
	.set _ZN9rocsparseL19gebsrmvn_2xn_kernelILj128ELj12ELj64E21rocsparse_complex_numIfEEEvi20rocsparse_direction_NS_24const_host_device_scalarIT2_EEPKiS8_PKS5_SA_S6_PS5_21rocsparse_index_base_b.num_vgpr, 52
	.set _ZN9rocsparseL19gebsrmvn_2xn_kernelILj128ELj12ELj64E21rocsparse_complex_numIfEEEvi20rocsparse_direction_NS_24const_host_device_scalarIT2_EEPKiS8_PKS5_SA_S6_PS5_21rocsparse_index_base_b.num_agpr, 0
	.set _ZN9rocsparseL19gebsrmvn_2xn_kernelILj128ELj12ELj64E21rocsparse_complex_numIfEEEvi20rocsparse_direction_NS_24const_host_device_scalarIT2_EEPKiS8_PKS5_SA_S6_PS5_21rocsparse_index_base_b.numbered_sgpr, 16
	.set _ZN9rocsparseL19gebsrmvn_2xn_kernelILj128ELj12ELj64E21rocsparse_complex_numIfEEEvi20rocsparse_direction_NS_24const_host_device_scalarIT2_EEPKiS8_PKS5_SA_S6_PS5_21rocsparse_index_base_b.num_named_barrier, 0
	.set _ZN9rocsparseL19gebsrmvn_2xn_kernelILj128ELj12ELj64E21rocsparse_complex_numIfEEEvi20rocsparse_direction_NS_24const_host_device_scalarIT2_EEPKiS8_PKS5_SA_S6_PS5_21rocsparse_index_base_b.private_seg_size, 0
	.set _ZN9rocsparseL19gebsrmvn_2xn_kernelILj128ELj12ELj64E21rocsparse_complex_numIfEEEvi20rocsparse_direction_NS_24const_host_device_scalarIT2_EEPKiS8_PKS5_SA_S6_PS5_21rocsparse_index_base_b.uses_vcc, 1
	.set _ZN9rocsparseL19gebsrmvn_2xn_kernelILj128ELj12ELj64E21rocsparse_complex_numIfEEEvi20rocsparse_direction_NS_24const_host_device_scalarIT2_EEPKiS8_PKS5_SA_S6_PS5_21rocsparse_index_base_b.uses_flat_scratch, 0
	.set _ZN9rocsparseL19gebsrmvn_2xn_kernelILj128ELj12ELj64E21rocsparse_complex_numIfEEEvi20rocsparse_direction_NS_24const_host_device_scalarIT2_EEPKiS8_PKS5_SA_S6_PS5_21rocsparse_index_base_b.has_dyn_sized_stack, 0
	.set _ZN9rocsparseL19gebsrmvn_2xn_kernelILj128ELj12ELj64E21rocsparse_complex_numIfEEEvi20rocsparse_direction_NS_24const_host_device_scalarIT2_EEPKiS8_PKS5_SA_S6_PS5_21rocsparse_index_base_b.has_recursion, 0
	.set _ZN9rocsparseL19gebsrmvn_2xn_kernelILj128ELj12ELj64E21rocsparse_complex_numIfEEEvi20rocsparse_direction_NS_24const_host_device_scalarIT2_EEPKiS8_PKS5_SA_S6_PS5_21rocsparse_index_base_b.has_indirect_call, 0
	.section	.AMDGPU.csdata,"",@progbits
; Kernel info:
; codeLenInByte = 3212
; TotalNumSgprs: 20
; NumVgprs: 52
; ScratchSize: 0
; MemoryBound: 0
; FloatMode: 240
; IeeeMode: 1
; LDSByteSize: 0 bytes/workgroup (compile time only)
; SGPRBlocks: 2
; VGPRBlocks: 12
; NumSGPRsForWavesPerEU: 20
; NumVGPRsForWavesPerEU: 52
; Occupancy: 4
; WaveLimiterHint : 1
; COMPUTE_PGM_RSRC2:SCRATCH_EN: 0
; COMPUTE_PGM_RSRC2:USER_SGPR: 6
; COMPUTE_PGM_RSRC2:TRAP_HANDLER: 0
; COMPUTE_PGM_RSRC2:TGID_X_EN: 1
; COMPUTE_PGM_RSRC2:TGID_Y_EN: 0
; COMPUTE_PGM_RSRC2:TGID_Z_EN: 0
; COMPUTE_PGM_RSRC2:TIDIG_COMP_CNT: 0
	.section	.text._ZN9rocsparseL19gebsrmvn_2xn_kernelILj128ELj13ELj4E21rocsparse_complex_numIfEEEvi20rocsparse_direction_NS_24const_host_device_scalarIT2_EEPKiS8_PKS5_SA_S6_PS5_21rocsparse_index_base_b,"axG",@progbits,_ZN9rocsparseL19gebsrmvn_2xn_kernelILj128ELj13ELj4E21rocsparse_complex_numIfEEEvi20rocsparse_direction_NS_24const_host_device_scalarIT2_EEPKiS8_PKS5_SA_S6_PS5_21rocsparse_index_base_b,comdat
	.globl	_ZN9rocsparseL19gebsrmvn_2xn_kernelILj128ELj13ELj4E21rocsparse_complex_numIfEEEvi20rocsparse_direction_NS_24const_host_device_scalarIT2_EEPKiS8_PKS5_SA_S6_PS5_21rocsparse_index_base_b ; -- Begin function _ZN9rocsparseL19gebsrmvn_2xn_kernelILj128ELj13ELj4E21rocsparse_complex_numIfEEEvi20rocsparse_direction_NS_24const_host_device_scalarIT2_EEPKiS8_PKS5_SA_S6_PS5_21rocsparse_index_base_b
	.p2align	8
	.type	_ZN9rocsparseL19gebsrmvn_2xn_kernelILj128ELj13ELj4E21rocsparse_complex_numIfEEEvi20rocsparse_direction_NS_24const_host_device_scalarIT2_EEPKiS8_PKS5_SA_S6_PS5_21rocsparse_index_base_b,@function
_ZN9rocsparseL19gebsrmvn_2xn_kernelILj128ELj13ELj4E21rocsparse_complex_numIfEEEvi20rocsparse_direction_NS_24const_host_device_scalarIT2_EEPKiS8_PKS5_SA_S6_PS5_21rocsparse_index_base_b: ; @_ZN9rocsparseL19gebsrmvn_2xn_kernelILj128ELj13ELj4E21rocsparse_complex_numIfEEEvi20rocsparse_direction_NS_24const_host_device_scalarIT2_EEPKiS8_PKS5_SA_S6_PS5_21rocsparse_index_base_b
; %bb.0:
	s_load_dwordx2 s[0:1], s[4:5], 0x8
	s_load_dwordx2 s[8:9], s[4:5], 0x30
	;; [unrolled: 1-line block ×3, first 2 shown]
	s_add_u32 s7, s4, 8
	s_addc_u32 s10, s5, 0
	s_add_u32 s11, s4, 48
	s_addc_u32 s12, s5, 0
	s_waitcnt lgkmcnt(0)
	s_bitcmp1_b32 s3, 0
	s_cselect_b32 s1, s10, s1
	s_cselect_b32 s0, s7, s0
	v_mov_b32_e32 v1, s0
	v_mov_b32_e32 v2, s1
	flat_load_dwordx2 v[1:2], v[1:2]
	s_cselect_b32 s0, s12, s9
	s_cselect_b32 s1, s11, s8
	v_mov_b32_e32 v3, s1
	v_mov_b32_e32 v4, s0
	flat_load_dwordx2 v[3:4], v[3:4]
	s_waitcnt vmcnt(0) lgkmcnt(0)
	v_cmp_eq_f32_e32 vcc, 0, v1
	v_cmp_eq_f32_e64 s[0:1], 0, v2
	s_and_b64 s[10:11], vcc, s[0:1]
	s_mov_b64 s[0:1], -1
	s_and_saveexec_b64 s[8:9], s[10:11]
; %bb.1:
	v_cmp_neq_f32_e32 vcc, 1.0, v3
	v_cmp_neq_f32_e64 s[0:1], 0, v4
	s_or_b64 s[0:1], vcc, s[0:1]
	s_orn2_b64 s[0:1], s[0:1], exec
; %bb.2:
	s_or_b64 exec, exec, s[8:9]
	s_and_saveexec_b64 s[8:9], s[0:1]
	s_cbranch_execz .LBB207_25
; %bb.3:
	s_load_dwordx2 s[0:1], s[4:5], 0x0
	v_lshrrev_b32_e32 v5, 2, v0
	v_lshl_or_b32 v5, s6, 5, v5
	s_waitcnt lgkmcnt(0)
	v_cmp_gt_i32_e32 vcc, s0, v5
	s_and_b64 exec, exec, vcc
	s_cbranch_execz .LBB207_25
; %bb.4:
	s_load_dwordx8 s[8:15], s[4:5], 0x10
	v_ashrrev_i32_e32 v6, 31, v5
	v_lshlrev_b64 v[6:7], 2, v[5:6]
	v_and_b32_e32 v0, 3, v0
	s_cmp_lg_u32 s1, 0
	s_waitcnt lgkmcnt(0)
	v_mov_b32_e32 v8, s9
	v_add_co_u32_e32 v6, vcc, s8, v6
	v_addc_co_u32_e32 v7, vcc, v8, v7, vcc
	global_load_dwordx2 v[7:8], v[6:7], off
	s_waitcnt vmcnt(0)
	v_subrev_u32_e32 v6, s2, v7
	v_subrev_u32_e32 v16, s2, v8
	v_add_u32_e32 v6, v6, v0
	v_cmp_lt_i32_e64 s[0:1], v6, v16
	s_cbranch_scc0 .LBB207_12
; %bb.5:
	v_mov_b32_e32 v17, 0
	v_mov_b32_e32 v19, 0
	v_mov_b32_e32 v20, 0
	v_mov_b32_e32 v18, 0
	s_and_saveexec_b64 s[6:7], s[0:1]
	s_cbranch_execz .LBB207_14
; %bb.6:
	v_mul_lo_u32 v7, v7, 26
	v_mul_lo_u32 v12, v6, 26
	s_mul_i32 s3, s2, 26
	v_mov_b32_e32 v8, 0
	v_mad_u32_u24 v7, v0, 26, v7
	v_subrev_u32_e32 v13, s3, v7
	s_mov_b64 s[8:9], 0
	v_mov_b32_e32 v14, s11
	v_mov_b32_e32 v15, s13
	v_mov_b32_e32 v21, s15
	v_mov_b32_e32 v9, v6
	v_mov_b32_e32 v17, 0
	v_mov_b32_e32 v19, 0
	v_mov_b32_e32 v20, 0
	v_mov_b32_e32 v18, 0
	s_branch .LBB207_8
.LBB207_7:                              ;   in Loop: Header=BB207_8 Depth=1
	v_add_u32_e32 v9, 4, v9
	v_cmp_ge_i32_e32 vcc, v9, v16
	v_add_u32_e32 v12, 0x68, v12
	s_or_b64 s[8:9], vcc, s[8:9]
	v_add_u32_e32 v13, 0x68, v13
	s_andn2_b64 exec, exec, s[8:9]
	s_cbranch_execz .LBB207_13
.LBB207_8:                              ; =>This Loop Header: Depth=1
                                        ;     Child Loop BB207_10 Depth 2
	v_ashrrev_i32_e32 v10, 31, v9
	v_lshlrev_b64 v[10:11], 2, v[9:10]
	s_mov_b32 s3, 0
	v_add_co_u32_e32 v10, vcc, s10, v10
	v_addc_co_u32_e32 v11, vcc, v14, v11, vcc
	global_load_dword v7, v[10:11], off
	v_mov_b32_e32 v22, v17
	v_mov_b32_e32 v24, v19
	;; [unrolled: 1-line block ×4, first 2 shown]
	s_waitcnt vmcnt(0)
	v_subrev_u32_e32 v7, s2, v7
	v_mul_lo_u32 v10, v7, 13
	s_branch .LBB207_10
.LBB207_9:                              ;   in Loop: Header=BB207_8 Depth=1
                                        ; implicit-def: $vgpr23
                                        ; implicit-def: $vgpr25
                                        ; implicit-def: $vgpr24
                                        ; implicit-def: $vgpr22
                                        ; implicit-def: $sgpr3
                                        ; implicit-def: $vgpr10
	s_branch .LBB207_7
.LBB207_10:                             ;   Parent Loop BB207_8 Depth=1
                                        ; =>  This Inner Loop Header: Depth=2
	v_add_u32_e32 v7, s3, v13
	v_lshlrev_b64 v[17:18], 3, v[7:8]
	v_mov_b32_e32 v11, v8
	v_add_co_u32_e32 v17, vcc, s12, v17
	v_addc_co_u32_e32 v18, vcc, v15, v18, vcc
	global_load_dwordx4 v[26:29], v[17:18], off
	v_lshlrev_b64 v[17:18], 3, v[10:11]
	s_cmp_eq_u32 s3, 24
	v_add_co_u32_e32 v17, vcc, s14, v17
	v_addc_co_u32_e32 v18, vcc, v21, v18, vcc
	global_load_dwordx2 v[30:31], v[17:18], off
	s_waitcnt vmcnt(0)
	v_fmac_f32_e32 v22, v27, v30
	v_fmac_f32_e32 v23, v29, v30
	;; [unrolled: 1-line block ×4, first 2 shown]
	v_mov_b32_e32 v17, v22
	v_mov_b32_e32 v18, v23
	v_fma_f32 v19, -v27, v31, v24
	v_fma_f32 v20, -v29, v31, v25
	v_fmac_f32_e32 v17, v26, v31
	v_fmac_f32_e32 v18, v28, v31
	s_cbranch_scc1 .LBB207_9
; %bb.11:                               ;   in Loop: Header=BB207_10 Depth=2
	v_add_u32_e32 v11, s3, v12
	v_add_u32_e32 v7, 2, v11
	v_lshlrev_b64 v[22:23], 3, v[7:8]
	v_mov_b32_e32 v34, s13
	v_add_co_u32_e32 v22, vcc, s12, v22
	v_addc_co_u32_e32 v23, vcc, v34, v23, vcc
	v_add_u32_e32 v7, 1, v10
	global_load_dwordx4 v[24:27], v[22:23], off
	v_lshlrev_b64 v[22:23], 3, v[7:8]
	v_mov_b32_e32 v35, s15
	v_add_co_u32_e32 v22, vcc, s14, v22
	v_addc_co_u32_e32 v23, vcc, v35, v23, vcc
	v_add_u32_e32 v7, 4, v11
	global_load_dwordx2 v[36:37], v[22:23], off
	v_lshlrev_b64 v[22:23], 3, v[7:8]
	v_add_u32_e32 v7, 2, v10
	v_lshlrev_b64 v[28:29], 3, v[7:8]
	v_add_co_u32_e32 v22, vcc, s12, v22
	v_addc_co_u32_e32 v23, vcc, v34, v23, vcc
	v_add_u32_e32 v7, 6, v11
	v_add_co_u32_e32 v32, vcc, s14, v28
	v_addc_co_u32_e32 v33, vcc, v35, v29, vcc
	global_load_dwordx4 v[28:31], v[22:23], off
	global_load_dwordx2 v[38:39], v[32:33], off
	v_lshlrev_b64 v[22:23], 3, v[7:8]
	v_add_u32_e32 v7, 3, v10
	v_lshlrev_b64 v[32:33], 3, v[7:8]
	v_add_co_u32_e32 v22, vcc, s12, v22
	v_addc_co_u32_e32 v23, vcc, v34, v23, vcc
	v_add_co_u32_e32 v40, vcc, s14, v32
	v_addc_co_u32_e32 v41, vcc, v35, v33, vcc
	global_load_dwordx4 v[32:35], v[22:23], off
	global_load_dwordx2 v[42:43], v[40:41], off
	s_add_i32 s3, s3, 8
	v_add_u32_e32 v10, 4, v10
	s_waitcnt vmcnt(4)
	v_fma_f32 v7, v24, v36, v19
	v_fma_f32 v22, v25, v36, v17
	v_fma_f32 v11, v26, v36, v20
	v_fma_f32 v23, v27, v36, v18
	v_fma_f32 v7, -v25, v37, v7
	v_fmac_f32_e32 v22, v24, v37
	v_fma_f32 v11, -v27, v37, v11
	v_fmac_f32_e32 v23, v26, v37
	s_waitcnt vmcnt(2)
	v_fmac_f32_e32 v7, v28, v38
	v_fmac_f32_e32 v22, v29, v38
	;; [unrolled: 1-line block ×4, first 2 shown]
	v_fma_f32 v7, -v29, v39, v7
	v_fmac_f32_e32 v22, v28, v39
	v_fma_f32 v11, -v31, v39, v11
	v_fmac_f32_e32 v23, v30, v39
	s_waitcnt vmcnt(0)
	v_fmac_f32_e32 v7, v32, v42
	v_fmac_f32_e32 v22, v33, v42
	;; [unrolled: 1-line block ×4, first 2 shown]
	v_fma_f32 v24, -v33, v43, v7
	v_fmac_f32_e32 v22, v32, v43
	v_fma_f32 v25, -v35, v43, v11
	v_fmac_f32_e32 v23, v34, v43
	s_cbranch_execnz .LBB207_10
	s_branch .LBB207_7
.LBB207_12:
                                        ; implicit-def: $vgpr17
                                        ; implicit-def: $vgpr19
                                        ; implicit-def: $vgpr20
                                        ; implicit-def: $vgpr18
	s_branch .LBB207_15
.LBB207_13:
	s_or_b64 exec, exec, s[8:9]
.LBB207_14:
	s_or_b64 exec, exec, s[6:7]
	s_cbranch_execnz .LBB207_20
.LBB207_15:
	v_mov_b32_e32 v17, 0
	v_mov_b32_e32 v19, 0
	;; [unrolled: 1-line block ×4, first 2 shown]
	s_and_saveexec_b64 s[6:7], s[0:1]
	s_cbranch_execz .LBB207_19
; %bb.16:
	v_mad_u64_u32 v[8:9], s[0:1], v6, 26, 25
	v_mov_b32_e32 v11, 0
	s_mov_b64 s[0:1], 0
	v_mov_b32_e32 v21, s11
	v_mov_b32_e32 v22, s13
	;; [unrolled: 1-line block ×7, first 2 shown]
.LBB207_17:                             ; =>This Inner Loop Header: Depth=1
	v_ashrrev_i32_e32 v7, 31, v6
	v_lshlrev_b64 v[24:25], 2, v[6:7]
	v_subrev_u32_e32 v10, 25, v8
	v_add_co_u32_e32 v24, vcc, s10, v24
	v_addc_co_u32_e32 v25, vcc, v21, v25, vcc
	global_load_dword v7, v[24:25], off
	v_lshlrev_b64 v[26:27], 3, v[10:11]
	v_add_u32_e32 v14, -12, v8
	v_mov_b32_e32 v15, v11
	v_lshlrev_b64 v[14:15], 3, v[14:15]
	v_add_co_u32_e32 v28, vcc, s12, v26
	v_mov_b32_e32 v9, v11
	v_addc_co_u32_e32 v29, vcc, v22, v27, vcc
	v_lshlrev_b64 v[9:10], 3, v[8:9]
	v_add_co_u32_e32 v14, vcc, s12, v14
	v_mov_b32_e32 v13, v11
	v_addc_co_u32_e32 v15, vcc, v22, v15, vcc
	v_add_co_u32_e32 v30, vcc, s12, v9
	v_addc_co_u32_e32 v31, vcc, v22, v10, vcc
	v_add_u32_e32 v6, 4, v6
	s_waitcnt vmcnt(0)
	v_subrev_u32_e32 v7, s2, v7
	v_mul_lo_u32 v12, v7, 13
	v_lshlrev_b64 v[24:25], 3, v[12:13]
	v_add_u32_e32 v10, 1, v12
	v_lshlrev_b64 v[26:27], 3, v[10:11]
	v_add_co_u32_e32 v24, vcc, s14, v24
	v_add_u32_e32 v10, -11, v8
	v_addc_co_u32_e32 v25, vcc, v23, v25, vcc
	v_lshlrev_b64 v[32:33], 3, v[10:11]
	v_add_co_u32_e32 v34, vcc, s14, v26
	v_subrev_u32_e32 v10, 23, v8
	v_addc_co_u32_e32 v35, vcc, v23, v27, vcc
	v_lshlrev_b64 v[26:27], 3, v[10:11]
	v_add_co_u32_e32 v32, vcc, s12, v32
	v_add_u32_e32 v10, 2, v12
	v_addc_co_u32_e32 v33, vcc, v22, v33, vcc
	v_add_co_u32_e32 v36, vcc, s12, v26
	v_lshlrev_b64 v[9:10], 3, v[10:11]
	v_addc_co_u32_e32 v37, vcc, v22, v27, vcc
	v_add_co_u32_e32 v38, vcc, s14, v9
	v_addc_co_u32_e32 v39, vcc, v23, v10, vcc
	global_load_dwordx2 v[9:10], v[14:15], off
	global_load_dwordx2 v[40:41], v[24:25], off
	s_nop 0
	global_load_dwordx4 v[24:27], v[28:29], off
	global_load_dwordx2 v[13:14], v[34:35], off
	s_waitcnt vmcnt(2)
	v_fmac_f32_e32 v20, v9, v40
	v_fmac_f32_e32 v18, v10, v40
	v_fma_f32 v7, -v10, v41, v20
	v_add_u32_e32 v10, -10, v8
	global_load_dwordx2 v[28:29], v[32:33], off
	s_waitcnt vmcnt(2)
	v_fmac_f32_e32 v19, v24, v40
	v_fmac_f32_e32 v17, v25, v40
	;; [unrolled: 1-line block ×3, first 2 shown]
	v_fma_f32 v9, -v25, v41, v19
	v_fmac_f32_e32 v17, v24, v41
	v_lshlrev_b64 v[19:20], 3, v[10:11]
	v_subrev_u32_e32 v10, 22, v8
	s_waitcnt vmcnt(1)
	v_fmac_f32_e32 v9, v26, v13
	v_fmac_f32_e32 v17, v27, v13
	v_fma_f32 v15, -v27, v14, v9
	v_fmac_f32_e32 v17, v26, v14
	v_lshlrev_b64 v[26:27], 3, v[10:11]
	v_add_co_u32_e32 v19, vcc, s12, v19
	v_addc_co_u32_e32 v20, vcc, v22, v20, vcc
	global_load_dwordx2 v[24:25], v[36:37], off
	v_add_co_u32_e32 v26, vcc, s12, v26
	v_addc_co_u32_e32 v27, vcc, v22, v27, vcc
	global_load_dwordx2 v[34:35], v[38:39], off
	global_load_dwordx2 v[36:37], v[19:20], off
	;; [unrolled: 1-line block ×3, first 2 shown]
	v_add_u32_e32 v10, 3, v12
	v_lshlrev_b64 v[32:33], 3, v[10:11]
	v_add_u32_e32 v10, -9, v8
	s_waitcnt vmcnt(4)
	v_fmac_f32_e32 v7, v28, v13
	v_fmac_f32_e32 v18, v29, v13
	v_fma_f32 v7, -v29, v14, v7
	v_fmac_f32_e32 v18, v28, v14
	v_lshlrev_b64 v[13:14], 3, v[10:11]
	v_add_co_u32_e32 v28, vcc, s14, v32
	v_subrev_u32_e32 v10, 21, v8
	v_addc_co_u32_e32 v29, vcc, v23, v33, vcc
	v_add_co_u32_e32 v13, vcc, s12, v13
	v_lshlrev_b64 v[9:10], 3, v[10:11]
	v_addc_co_u32_e32 v14, vcc, v22, v14, vcc
	v_add_co_u32_e32 v32, vcc, s12, v9
	v_addc_co_u32_e32 v33, vcc, v22, v10, vcc
	v_add_u32_e32 v10, 4, v12
	s_waitcnt vmcnt(2)
	v_fmac_f32_e32 v15, v24, v34
	v_fmac_f32_e32 v17, v25, v34
	s_waitcnt vmcnt(1)
	v_fmac_f32_e32 v7, v36, v34
	v_fmac_f32_e32 v18, v37, v34
	v_fma_f32 v15, -v25, v35, v15
	v_fmac_f32_e32 v17, v24, v35
	v_fma_f32 v7, -v37, v35, v7
	v_fmac_f32_e32 v18, v36, v35
	global_load_dwordx2 v[34:35], v[28:29], off
	global_load_dwordx2 v[36:37], v[13:14], off
	;; [unrolled: 1-line block ×3, first 2 shown]
	v_lshlrev_b64 v[19:20], 3, v[10:11]
	v_add_u32_e32 v10, -8, v8
	v_lshlrev_b64 v[24:25], 3, v[10:11]
	v_add_co_u32_e32 v19, vcc, s14, v19
	v_subrev_u32_e32 v10, 20, v8
	v_addc_co_u32_e32 v20, vcc, v23, v20, vcc
	v_add_co_u32_e32 v24, vcc, s12, v24
	v_lshlrev_b64 v[9:10], 3, v[10:11]
	v_addc_co_u32_e32 v25, vcc, v22, v25, vcc
	v_add_co_u32_e32 v26, vcc, s12, v9
	v_addc_co_u32_e32 v27, vcc, v22, v10, vcc
	v_add_u32_e32 v10, 5, v12
	v_lshlrev_b64 v[13:14], 3, v[10:11]
	v_add_u32_e32 v10, -7, v8
	v_lshlrev_b64 v[28:29], 3, v[10:11]
	v_add_co_u32_e32 v13, vcc, s14, v13
	v_subrev_u32_e32 v10, 19, v8
	v_addc_co_u32_e32 v14, vcc, v23, v14, vcc
	v_add_co_u32_e32 v28, vcc, s12, v28
	v_lshlrev_b64 v[9:10], 3, v[10:11]
	v_addc_co_u32_e32 v29, vcc, v22, v29, vcc
	v_add_co_u32_e32 v32, vcc, s12, v9
	v_addc_co_u32_e32 v33, vcc, v22, v10, vcc
	v_add_u32_e32 v10, 6, v12
	s_waitcnt vmcnt(2)
	v_fmac_f32_e32 v15, v40, v34
	v_fmac_f32_e32 v17, v41, v34
	s_waitcnt vmcnt(1)
	v_fmac_f32_e32 v7, v36, v34
	v_fmac_f32_e32 v18, v37, v34
	v_fma_f32 v15, -v41, v35, v15
	v_fmac_f32_e32 v17, v40, v35
	v_fma_f32 v7, -v37, v35, v7
	v_fmac_f32_e32 v18, v36, v35
	global_load_dwordx2 v[34:35], v[19:20], off
	global_load_dwordx2 v[36:37], v[24:25], off
	global_load_dwordx2 v[40:41], v[26:27], off
	v_lshlrev_b64 v[19:20], 3, v[10:11]
	v_add_u32_e32 v10, -6, v8
	v_lshlrev_b64 v[24:25], 3, v[10:11]
	v_add_co_u32_e32 v19, vcc, s14, v19
	v_subrev_u32_e32 v10, 18, v8
	v_addc_co_u32_e32 v20, vcc, v23, v20, vcc
	v_add_co_u32_e32 v24, vcc, s12, v24
	v_lshlrev_b64 v[9:10], 3, v[10:11]
	v_addc_co_u32_e32 v25, vcc, v22, v25, vcc
	v_add_co_u32_e32 v26, vcc, s12, v9
	v_addc_co_u32_e32 v27, vcc, v22, v10, vcc
	v_add_u32_e32 v10, 7, v12
	s_waitcnt vmcnt(2)
	v_fmac_f32_e32 v15, v38, v34
	v_fmac_f32_e32 v17, v39, v34
	s_waitcnt vmcnt(1)
	v_fmac_f32_e32 v7, v36, v34
	v_fmac_f32_e32 v18, v37, v34
	v_fma_f32 v15, -v39, v35, v15
	v_fmac_f32_e32 v17, v38, v35
	v_fma_f32 v7, -v37, v35, v7
	v_fmac_f32_e32 v18, v36, v35
	global_load_dwordx2 v[34:35], v[13:14], off
	global_load_dwordx2 v[36:37], v[28:29], off
	global_load_dwordx2 v[38:39], v[32:33], off
	;; [unrolled: 25-line block ×3, first 2 shown]
	v_lshlrev_b64 v[19:20], 3, v[10:11]
	v_add_u32_e32 v10, -4, v8
	v_lshlrev_b64 v[24:25], 3, v[10:11]
	v_add_co_u32_e32 v19, vcc, s14, v19
	v_add_u32_e32 v10, -16, v8
	v_addc_co_u32_e32 v20, vcc, v23, v20, vcc
	v_add_co_u32_e32 v24, vcc, s12, v24
	v_lshlrev_b64 v[9:10], 3, v[10:11]
	v_addc_co_u32_e32 v25, vcc, v22, v25, vcc
	v_add_co_u32_e32 v26, vcc, s12, v9
	v_addc_co_u32_e32 v27, vcc, v22, v10, vcc
	v_add_u32_e32 v10, 9, v12
	s_waitcnt vmcnt(2)
	v_fmac_f32_e32 v15, v38, v34
	v_fmac_f32_e32 v17, v39, v34
	s_waitcnt vmcnt(1)
	v_fmac_f32_e32 v7, v36, v34
	v_fmac_f32_e32 v18, v37, v34
	v_fma_f32 v15, -v39, v35, v15
	v_fmac_f32_e32 v17, v38, v35
	v_fma_f32 v7, -v37, v35, v7
	v_fmac_f32_e32 v18, v36, v35
	global_load_dwordx2 v[34:35], v[13:14], off
	global_load_dwordx2 v[36:37], v[28:29], off
	global_load_dwordx2 v[38:39], v[32:33], off
	v_lshlrev_b64 v[13:14], 3, v[10:11]
	v_add_u32_e32 v10, -3, v8
	v_lshlrev_b64 v[28:29], 3, v[10:11]
	v_add_co_u32_e32 v13, vcc, s14, v13
	v_add_u32_e32 v10, -15, v8
	v_addc_co_u32_e32 v14, vcc, v23, v14, vcc
	v_add_co_u32_e32 v28, vcc, s12, v28
	v_lshlrev_b64 v[9:10], 3, v[10:11]
	v_addc_co_u32_e32 v29, vcc, v22, v29, vcc
	v_add_co_u32_e32 v32, vcc, s12, v9
	v_addc_co_u32_e32 v33, vcc, v22, v10, vcc
	v_add_u32_e32 v10, 10, v12
	s_waitcnt vmcnt(2)
	v_fmac_f32_e32 v15, v40, v34
	v_fmac_f32_e32 v17, v41, v34
	s_waitcnt vmcnt(1)
	v_fmac_f32_e32 v7, v36, v34
	v_fmac_f32_e32 v18, v37, v34
	v_fma_f32 v15, -v41, v35, v15
	v_fmac_f32_e32 v17, v40, v35
	v_fma_f32 v7, -v37, v35, v7
	v_fmac_f32_e32 v18, v36, v35
	global_load_dwordx2 v[34:35], v[19:20], off
	global_load_dwordx2 v[36:37], v[24:25], off
	global_load_dwordx2 v[40:41], v[26:27], off
	;; [unrolled: 25-line block ×3, first 2 shown]
	v_lshlrev_b64 v[13:14], 3, v[10:11]
	v_add_u32_e32 v10, -1, v8
	v_lshlrev_b64 v[28:29], 3, v[10:11]
	v_add_co_u32_e32 v13, vcc, s14, v13
	v_add_u32_e32 v10, -13, v8
	v_addc_co_u32_e32 v14, vcc, v23, v14, vcc
	v_lshlrev_b64 v[32:33], 3, v[10:11]
	v_add_co_u32_e32 v28, vcc, s12, v28
	v_add_u32_e32 v10, 12, v12
	v_addc_co_u32_e32 v29, vcc, v22, v29, vcc
	v_add_co_u32_e32 v32, vcc, s12, v32
	v_lshlrev_b64 v[9:10], 3, v[10:11]
	v_addc_co_u32_e32 v33, vcc, v22, v33, vcc
	v_add_co_u32_e32 v9, vcc, s14, v9
	v_addc_co_u32_e32 v10, vcc, v23, v10, vcc
	v_cmp_ge_i32_e32 vcc, v6, v16
	s_or_b64 s[0:1], vcc, s[0:1]
	v_add_u32_e32 v8, 0x68, v8
	s_waitcnt vmcnt(2)
	v_fmac_f32_e32 v15, v40, v34
	v_fmac_f32_e32 v17, v41, v34
	s_waitcnt vmcnt(1)
	v_fmac_f32_e32 v7, v36, v34
	v_fmac_f32_e32 v18, v37, v34
	v_fma_f32 v15, -v41, v35, v15
	v_fmac_f32_e32 v17, v40, v35
	v_fma_f32 v7, -v37, v35, v7
	v_fmac_f32_e32 v18, v36, v35
	global_load_dwordx2 v[34:35], v[30:31], off
	global_load_dwordx2 v[36:37], v[19:20], off
	;; [unrolled: 1-line block ×8, first 2 shown]
	s_waitcnt vmcnt(6)
	v_fmac_f32_e32 v15, v38, v36
	v_fmac_f32_e32 v17, v39, v36
	s_waitcnt vmcnt(5)
	v_fmac_f32_e32 v7, v40, v36
	v_fmac_f32_e32 v18, v41, v36
	v_fma_f32 v9, -v39, v37, v15
	v_fmac_f32_e32 v17, v38, v37
	v_fma_f32 v7, -v41, v37, v7
	v_fmac_f32_e32 v18, v40, v37
	s_waitcnt vmcnt(3)
	v_fmac_f32_e32 v9, v42, v44
	v_fmac_f32_e32 v17, v43, v44
	s_waitcnt vmcnt(2)
	v_fmac_f32_e32 v7, v46, v44
	v_fmac_f32_e32 v18, v47, v44
	v_fma_f32 v9, -v43, v45, v9
	v_fmac_f32_e32 v17, v42, v45
	v_fma_f32 v7, -v47, v45, v7
	v_fmac_f32_e32 v18, v46, v45
	s_waitcnt vmcnt(0)
	v_fmac_f32_e32 v9, v48, v50
	v_fmac_f32_e32 v17, v49, v50
	;; [unrolled: 1-line block ×4, first 2 shown]
	v_fma_f32 v19, -v49, v51, v9
	v_fmac_f32_e32 v17, v48, v51
	v_fma_f32 v20, -v35, v51, v7
	v_fmac_f32_e32 v18, v34, v51
	s_andn2_b64 exec, exec, s[0:1]
	s_cbranch_execnz .LBB207_17
; %bb.18:
	s_or_b64 exec, exec, s[0:1]
.LBB207_19:
	s_or_b64 exec, exec, s[6:7]
.LBB207_20:
	v_mov_b32_dpp v6, v19 row_shr:1 row_mask:0xf bank_mask:0xf
	v_mov_b32_dpp v8, v17 row_shr:1 row_mask:0xf bank_mask:0xf
	;; [unrolled: 1-line block ×4, first 2 shown]
	v_add_f32_e32 v6, v19, v6
	v_add_f32_e32 v8, v17, v8
	;; [unrolled: 1-line block ×4, first 2 shown]
	v_mov_b32_dpp v7, v6 row_shr:2 row_mask:0xf bank_mask:0xf
	v_mov_b32_dpp v9, v8 row_shr:2 row_mask:0xf bank_mask:0xf
	;; [unrolled: 1-line block ×4, first 2 shown]
	v_cmp_eq_u32_e32 vcc, 3, v0
	s_and_b64 exec, exec, vcc
	s_cbranch_execz .LBB207_25
; %bb.21:
	s_load_dwordx2 s[2:3], s[4:5], 0x38
	v_cmp_eq_f32_e32 vcc, 0, v3
	v_cmp_eq_f32_e64 s[0:1], 0, v4
	v_add_f32_e32 v7, v6, v7
	v_add_f32_e32 v8, v8, v9
	;; [unrolled: 1-line block ×4, first 2 shown]
	s_and_b64 s[0:1], vcc, s[0:1]
	s_and_saveexec_b64 s[4:5], s[0:1]
	s_xor_b64 s[0:1], exec, s[4:5]
	s_cbranch_execz .LBB207_23
; %bb.22:
	v_mul_f32_e64 v3, v8, -v2
	v_mul_f32_e32 v4, v1, v8
	v_fmac_f32_e32 v3, v1, v7
	v_fmac_f32_e32 v4, v2, v7
	v_lshlrev_b32_e32 v7, 1, v5
	v_ashrrev_i32_e32 v8, 31, v7
	v_lshlrev_b64 v[7:8], 3, v[7:8]
	s_waitcnt lgkmcnt(0)
	v_mov_b32_e32 v5, s3
	v_add_co_u32_e32 v7, vcc, s2, v7
	v_addc_co_u32_e32 v8, vcc, v5, v8, vcc
	v_mul_f32_e64 v5, v6, -v2
	v_mul_f32_e32 v6, v1, v6
	v_fmac_f32_e32 v5, v1, v0
	v_fmac_f32_e32 v6, v2, v0
	global_store_dwordx4 v[7:8], v[3:6], off
                                        ; implicit-def: $vgpr5
                                        ; implicit-def: $vgpr1_vgpr2
                                        ; implicit-def: $vgpr8
                                        ; implicit-def: $vgpr7
                                        ; implicit-def: $vgpr3_vgpr4
                                        ; implicit-def: $vgpr6
                                        ; implicit-def: $vgpr0
.LBB207_23:
	s_andn2_saveexec_b64 s[0:1], s[0:1]
	s_cbranch_execz .LBB207_25
; %bb.24:
	v_lshlrev_b32_e32 v9, 1, v5
	v_ashrrev_i32_e32 v10, 31, v9
	v_lshlrev_b64 v[9:10], 3, v[9:10]
	s_waitcnt lgkmcnt(0)
	v_mov_b32_e32 v5, s3
	v_add_co_u32_e32 v17, vcc, s2, v9
	v_addc_co_u32_e32 v18, vcc, v5, v10, vcc
	global_load_dwordx4 v[9:12], v[17:18], off
	v_mul_f32_e64 v5, v8, -v2
	v_mul_f32_e32 v14, v1, v8
	v_mul_f32_e64 v8, v6, -v2
	v_mul_f32_e32 v16, v1, v6
	v_fmac_f32_e32 v5, v1, v7
	v_fmac_f32_e32 v14, v2, v7
	v_fmac_f32_e32 v8, v1, v0
	v_fmac_f32_e32 v16, v2, v0
	s_waitcnt vmcnt(0)
	v_fmac_f32_e32 v5, v3, v9
	v_fmac_f32_e32 v14, v4, v9
	;; [unrolled: 1-line block ×4, first 2 shown]
	v_fma_f32 v13, -v4, v10, v5
	v_fmac_f32_e32 v14, v3, v10
	v_fma_f32 v15, -v4, v12, v8
	v_fmac_f32_e32 v16, v3, v12
	global_store_dwordx4 v[17:18], v[13:16], off
.LBB207_25:
	s_endpgm
	.section	.rodata,"a",@progbits
	.p2align	6, 0x0
	.amdhsa_kernel _ZN9rocsparseL19gebsrmvn_2xn_kernelILj128ELj13ELj4E21rocsparse_complex_numIfEEEvi20rocsparse_direction_NS_24const_host_device_scalarIT2_EEPKiS8_PKS5_SA_S6_PS5_21rocsparse_index_base_b
		.amdhsa_group_segment_fixed_size 0
		.amdhsa_private_segment_fixed_size 0
		.amdhsa_kernarg_size 72
		.amdhsa_user_sgpr_count 6
		.amdhsa_user_sgpr_private_segment_buffer 1
		.amdhsa_user_sgpr_dispatch_ptr 0
		.amdhsa_user_sgpr_queue_ptr 0
		.amdhsa_user_sgpr_kernarg_segment_ptr 1
		.amdhsa_user_sgpr_dispatch_id 0
		.amdhsa_user_sgpr_flat_scratch_init 0
		.amdhsa_user_sgpr_private_segment_size 0
		.amdhsa_uses_dynamic_stack 0
		.amdhsa_system_sgpr_private_segment_wavefront_offset 0
		.amdhsa_system_sgpr_workgroup_id_x 1
		.amdhsa_system_sgpr_workgroup_id_y 0
		.amdhsa_system_sgpr_workgroup_id_z 0
		.amdhsa_system_sgpr_workgroup_info 0
		.amdhsa_system_vgpr_workitem_id 0
		.amdhsa_next_free_vgpr 52
		.amdhsa_next_free_sgpr 16
		.amdhsa_reserve_vcc 1
		.amdhsa_reserve_flat_scratch 0
		.amdhsa_float_round_mode_32 0
		.amdhsa_float_round_mode_16_64 0
		.amdhsa_float_denorm_mode_32 3
		.amdhsa_float_denorm_mode_16_64 3
		.amdhsa_dx10_clamp 1
		.amdhsa_ieee_mode 1
		.amdhsa_fp16_overflow 0
		.amdhsa_exception_fp_ieee_invalid_op 0
		.amdhsa_exception_fp_denorm_src 0
		.amdhsa_exception_fp_ieee_div_zero 0
		.amdhsa_exception_fp_ieee_overflow 0
		.amdhsa_exception_fp_ieee_underflow 0
		.amdhsa_exception_fp_ieee_inexact 0
		.amdhsa_exception_int_div_zero 0
	.end_amdhsa_kernel
	.section	.text._ZN9rocsparseL19gebsrmvn_2xn_kernelILj128ELj13ELj4E21rocsparse_complex_numIfEEEvi20rocsparse_direction_NS_24const_host_device_scalarIT2_EEPKiS8_PKS5_SA_S6_PS5_21rocsparse_index_base_b,"axG",@progbits,_ZN9rocsparseL19gebsrmvn_2xn_kernelILj128ELj13ELj4E21rocsparse_complex_numIfEEEvi20rocsparse_direction_NS_24const_host_device_scalarIT2_EEPKiS8_PKS5_SA_S6_PS5_21rocsparse_index_base_b,comdat
.Lfunc_end207:
	.size	_ZN9rocsparseL19gebsrmvn_2xn_kernelILj128ELj13ELj4E21rocsparse_complex_numIfEEEvi20rocsparse_direction_NS_24const_host_device_scalarIT2_EEPKiS8_PKS5_SA_S6_PS5_21rocsparse_index_base_b, .Lfunc_end207-_ZN9rocsparseL19gebsrmvn_2xn_kernelILj128ELj13ELj4E21rocsparse_complex_numIfEEEvi20rocsparse_direction_NS_24const_host_device_scalarIT2_EEPKiS8_PKS5_SA_S6_PS5_21rocsparse_index_base_b
                                        ; -- End function
	.set _ZN9rocsparseL19gebsrmvn_2xn_kernelILj128ELj13ELj4E21rocsparse_complex_numIfEEEvi20rocsparse_direction_NS_24const_host_device_scalarIT2_EEPKiS8_PKS5_SA_S6_PS5_21rocsparse_index_base_b.num_vgpr, 52
	.set _ZN9rocsparseL19gebsrmvn_2xn_kernelILj128ELj13ELj4E21rocsparse_complex_numIfEEEvi20rocsparse_direction_NS_24const_host_device_scalarIT2_EEPKiS8_PKS5_SA_S6_PS5_21rocsparse_index_base_b.num_agpr, 0
	.set _ZN9rocsparseL19gebsrmvn_2xn_kernelILj128ELj13ELj4E21rocsparse_complex_numIfEEEvi20rocsparse_direction_NS_24const_host_device_scalarIT2_EEPKiS8_PKS5_SA_S6_PS5_21rocsparse_index_base_b.numbered_sgpr, 16
	.set _ZN9rocsparseL19gebsrmvn_2xn_kernelILj128ELj13ELj4E21rocsparse_complex_numIfEEEvi20rocsparse_direction_NS_24const_host_device_scalarIT2_EEPKiS8_PKS5_SA_S6_PS5_21rocsparse_index_base_b.num_named_barrier, 0
	.set _ZN9rocsparseL19gebsrmvn_2xn_kernelILj128ELj13ELj4E21rocsparse_complex_numIfEEEvi20rocsparse_direction_NS_24const_host_device_scalarIT2_EEPKiS8_PKS5_SA_S6_PS5_21rocsparse_index_base_b.private_seg_size, 0
	.set _ZN9rocsparseL19gebsrmvn_2xn_kernelILj128ELj13ELj4E21rocsparse_complex_numIfEEEvi20rocsparse_direction_NS_24const_host_device_scalarIT2_EEPKiS8_PKS5_SA_S6_PS5_21rocsparse_index_base_b.uses_vcc, 1
	.set _ZN9rocsparseL19gebsrmvn_2xn_kernelILj128ELj13ELj4E21rocsparse_complex_numIfEEEvi20rocsparse_direction_NS_24const_host_device_scalarIT2_EEPKiS8_PKS5_SA_S6_PS5_21rocsparse_index_base_b.uses_flat_scratch, 0
	.set _ZN9rocsparseL19gebsrmvn_2xn_kernelILj128ELj13ELj4E21rocsparse_complex_numIfEEEvi20rocsparse_direction_NS_24const_host_device_scalarIT2_EEPKiS8_PKS5_SA_S6_PS5_21rocsparse_index_base_b.has_dyn_sized_stack, 0
	.set _ZN9rocsparseL19gebsrmvn_2xn_kernelILj128ELj13ELj4E21rocsparse_complex_numIfEEEvi20rocsparse_direction_NS_24const_host_device_scalarIT2_EEPKiS8_PKS5_SA_S6_PS5_21rocsparse_index_base_b.has_recursion, 0
	.set _ZN9rocsparseL19gebsrmvn_2xn_kernelILj128ELj13ELj4E21rocsparse_complex_numIfEEEvi20rocsparse_direction_NS_24const_host_device_scalarIT2_EEPKiS8_PKS5_SA_S6_PS5_21rocsparse_index_base_b.has_indirect_call, 0
	.section	.AMDGPU.csdata,"",@progbits
; Kernel info:
; codeLenInByte = 3164
; TotalNumSgprs: 20
; NumVgprs: 52
; ScratchSize: 0
; MemoryBound: 0
; FloatMode: 240
; IeeeMode: 1
; LDSByteSize: 0 bytes/workgroup (compile time only)
; SGPRBlocks: 2
; VGPRBlocks: 12
; NumSGPRsForWavesPerEU: 20
; NumVGPRsForWavesPerEU: 52
; Occupancy: 4
; WaveLimiterHint : 1
; COMPUTE_PGM_RSRC2:SCRATCH_EN: 0
; COMPUTE_PGM_RSRC2:USER_SGPR: 6
; COMPUTE_PGM_RSRC2:TRAP_HANDLER: 0
; COMPUTE_PGM_RSRC2:TGID_X_EN: 1
; COMPUTE_PGM_RSRC2:TGID_Y_EN: 0
; COMPUTE_PGM_RSRC2:TGID_Z_EN: 0
; COMPUTE_PGM_RSRC2:TIDIG_COMP_CNT: 0
	.section	.text._ZN9rocsparseL19gebsrmvn_2xn_kernelILj128ELj13ELj8E21rocsparse_complex_numIfEEEvi20rocsparse_direction_NS_24const_host_device_scalarIT2_EEPKiS8_PKS5_SA_S6_PS5_21rocsparse_index_base_b,"axG",@progbits,_ZN9rocsparseL19gebsrmvn_2xn_kernelILj128ELj13ELj8E21rocsparse_complex_numIfEEEvi20rocsparse_direction_NS_24const_host_device_scalarIT2_EEPKiS8_PKS5_SA_S6_PS5_21rocsparse_index_base_b,comdat
	.globl	_ZN9rocsparseL19gebsrmvn_2xn_kernelILj128ELj13ELj8E21rocsparse_complex_numIfEEEvi20rocsparse_direction_NS_24const_host_device_scalarIT2_EEPKiS8_PKS5_SA_S6_PS5_21rocsparse_index_base_b ; -- Begin function _ZN9rocsparseL19gebsrmvn_2xn_kernelILj128ELj13ELj8E21rocsparse_complex_numIfEEEvi20rocsparse_direction_NS_24const_host_device_scalarIT2_EEPKiS8_PKS5_SA_S6_PS5_21rocsparse_index_base_b
	.p2align	8
	.type	_ZN9rocsparseL19gebsrmvn_2xn_kernelILj128ELj13ELj8E21rocsparse_complex_numIfEEEvi20rocsparse_direction_NS_24const_host_device_scalarIT2_EEPKiS8_PKS5_SA_S6_PS5_21rocsparse_index_base_b,@function
_ZN9rocsparseL19gebsrmvn_2xn_kernelILj128ELj13ELj8E21rocsparse_complex_numIfEEEvi20rocsparse_direction_NS_24const_host_device_scalarIT2_EEPKiS8_PKS5_SA_S6_PS5_21rocsparse_index_base_b: ; @_ZN9rocsparseL19gebsrmvn_2xn_kernelILj128ELj13ELj8E21rocsparse_complex_numIfEEEvi20rocsparse_direction_NS_24const_host_device_scalarIT2_EEPKiS8_PKS5_SA_S6_PS5_21rocsparse_index_base_b
; %bb.0:
	s_load_dwordx2 s[0:1], s[4:5], 0x8
	s_load_dwordx2 s[8:9], s[4:5], 0x30
	;; [unrolled: 1-line block ×3, first 2 shown]
	s_add_u32 s7, s4, 8
	s_addc_u32 s10, s5, 0
	s_add_u32 s11, s4, 48
	s_addc_u32 s12, s5, 0
	s_waitcnt lgkmcnt(0)
	s_bitcmp1_b32 s3, 0
	s_cselect_b32 s1, s10, s1
	s_cselect_b32 s0, s7, s0
	v_mov_b32_e32 v1, s0
	v_mov_b32_e32 v2, s1
	flat_load_dwordx2 v[1:2], v[1:2]
	s_cselect_b32 s0, s12, s9
	s_cselect_b32 s1, s11, s8
	v_mov_b32_e32 v3, s1
	v_mov_b32_e32 v4, s0
	flat_load_dwordx2 v[3:4], v[3:4]
	s_waitcnt vmcnt(0) lgkmcnt(0)
	v_cmp_eq_f32_e32 vcc, 0, v1
	v_cmp_eq_f32_e64 s[0:1], 0, v2
	s_and_b64 s[10:11], vcc, s[0:1]
	s_mov_b64 s[0:1], -1
	s_and_saveexec_b64 s[8:9], s[10:11]
; %bb.1:
	v_cmp_neq_f32_e32 vcc, 1.0, v3
	v_cmp_neq_f32_e64 s[0:1], 0, v4
	s_or_b64 s[0:1], vcc, s[0:1]
	s_orn2_b64 s[0:1], s[0:1], exec
; %bb.2:
	s_or_b64 exec, exec, s[8:9]
	s_and_saveexec_b64 s[8:9], s[0:1]
	s_cbranch_execz .LBB208_25
; %bb.3:
	s_load_dwordx2 s[0:1], s[4:5], 0x0
	v_lshrrev_b32_e32 v5, 3, v0
	v_lshl_or_b32 v5, s6, 4, v5
	s_waitcnt lgkmcnt(0)
	v_cmp_gt_i32_e32 vcc, s0, v5
	s_and_b64 exec, exec, vcc
	s_cbranch_execz .LBB208_25
; %bb.4:
	s_load_dwordx8 s[8:15], s[4:5], 0x10
	v_ashrrev_i32_e32 v6, 31, v5
	v_lshlrev_b64 v[6:7], 2, v[5:6]
	v_and_b32_e32 v0, 7, v0
	s_cmp_lg_u32 s1, 0
	s_waitcnt lgkmcnt(0)
	v_mov_b32_e32 v8, s9
	v_add_co_u32_e32 v6, vcc, s8, v6
	v_addc_co_u32_e32 v7, vcc, v8, v7, vcc
	global_load_dwordx2 v[7:8], v[6:7], off
	s_waitcnt vmcnt(0)
	v_subrev_u32_e32 v6, s2, v7
	v_subrev_u32_e32 v16, s2, v8
	v_add_u32_e32 v6, v6, v0
	v_cmp_lt_i32_e64 s[0:1], v6, v16
	s_cbranch_scc0 .LBB208_12
; %bb.5:
	v_mov_b32_e32 v17, 0
	v_mov_b32_e32 v19, 0
	;; [unrolled: 1-line block ×4, first 2 shown]
	s_and_saveexec_b64 s[6:7], s[0:1]
	s_cbranch_execz .LBB208_14
; %bb.6:
	v_mul_lo_u32 v7, v7, 26
	v_mul_lo_u32 v12, v6, 26
	s_mul_i32 s3, s2, 26
	v_mov_b32_e32 v8, 0
	v_mad_u32_u24 v7, v0, 26, v7
	v_subrev_u32_e32 v13, s3, v7
	s_mov_b64 s[8:9], 0
	v_mov_b32_e32 v14, s11
	v_mov_b32_e32 v15, s13
	;; [unrolled: 1-line block ×8, first 2 shown]
	s_branch .LBB208_8
.LBB208_7:                              ;   in Loop: Header=BB208_8 Depth=1
	v_add_u32_e32 v9, 8, v9
	v_cmp_ge_i32_e32 vcc, v9, v16
	v_add_u32_e32 v12, 0xd0, v12
	s_or_b64 s[8:9], vcc, s[8:9]
	v_add_u32_e32 v13, 0xd0, v13
	s_andn2_b64 exec, exec, s[8:9]
	s_cbranch_execz .LBB208_13
.LBB208_8:                              ; =>This Loop Header: Depth=1
                                        ;     Child Loop BB208_10 Depth 2
	v_ashrrev_i32_e32 v10, 31, v9
	v_lshlrev_b64 v[10:11], 2, v[9:10]
	s_mov_b32 s3, 0
	v_add_co_u32_e32 v10, vcc, s10, v10
	v_addc_co_u32_e32 v11, vcc, v14, v11, vcc
	global_load_dword v7, v[10:11], off
	v_mov_b32_e32 v22, v17
	v_mov_b32_e32 v24, v19
	v_mov_b32_e32 v25, v20
	v_mov_b32_e32 v23, v18
	s_waitcnt vmcnt(0)
	v_subrev_u32_e32 v7, s2, v7
	v_mul_lo_u32 v10, v7, 13
	s_branch .LBB208_10
.LBB208_9:                              ;   in Loop: Header=BB208_8 Depth=1
                                        ; implicit-def: $vgpr23
                                        ; implicit-def: $vgpr25
                                        ; implicit-def: $vgpr24
                                        ; implicit-def: $vgpr22
                                        ; implicit-def: $sgpr3
                                        ; implicit-def: $vgpr10
	s_branch .LBB208_7
.LBB208_10:                             ;   Parent Loop BB208_8 Depth=1
                                        ; =>  This Inner Loop Header: Depth=2
	v_add_u32_e32 v7, s3, v13
	v_lshlrev_b64 v[17:18], 3, v[7:8]
	v_mov_b32_e32 v11, v8
	v_add_co_u32_e32 v17, vcc, s12, v17
	v_addc_co_u32_e32 v18, vcc, v15, v18, vcc
	global_load_dwordx4 v[26:29], v[17:18], off
	v_lshlrev_b64 v[17:18], 3, v[10:11]
	s_cmp_eq_u32 s3, 24
	v_add_co_u32_e32 v17, vcc, s14, v17
	v_addc_co_u32_e32 v18, vcc, v21, v18, vcc
	global_load_dwordx2 v[30:31], v[17:18], off
	s_waitcnt vmcnt(0)
	v_fmac_f32_e32 v22, v27, v30
	v_fmac_f32_e32 v23, v29, v30
	;; [unrolled: 1-line block ×4, first 2 shown]
	v_mov_b32_e32 v17, v22
	v_mov_b32_e32 v18, v23
	v_fma_f32 v19, -v27, v31, v24
	v_fma_f32 v20, -v29, v31, v25
	v_fmac_f32_e32 v17, v26, v31
	v_fmac_f32_e32 v18, v28, v31
	s_cbranch_scc1 .LBB208_9
; %bb.11:                               ;   in Loop: Header=BB208_10 Depth=2
	v_add_u32_e32 v11, s3, v12
	v_add_u32_e32 v7, 2, v11
	v_lshlrev_b64 v[22:23], 3, v[7:8]
	v_mov_b32_e32 v34, s13
	v_add_co_u32_e32 v22, vcc, s12, v22
	v_addc_co_u32_e32 v23, vcc, v34, v23, vcc
	v_add_u32_e32 v7, 1, v10
	global_load_dwordx4 v[24:27], v[22:23], off
	v_lshlrev_b64 v[22:23], 3, v[7:8]
	v_mov_b32_e32 v35, s15
	v_add_co_u32_e32 v22, vcc, s14, v22
	v_addc_co_u32_e32 v23, vcc, v35, v23, vcc
	v_add_u32_e32 v7, 4, v11
	global_load_dwordx2 v[36:37], v[22:23], off
	v_lshlrev_b64 v[22:23], 3, v[7:8]
	v_add_u32_e32 v7, 2, v10
	v_lshlrev_b64 v[28:29], 3, v[7:8]
	v_add_co_u32_e32 v22, vcc, s12, v22
	v_addc_co_u32_e32 v23, vcc, v34, v23, vcc
	v_add_u32_e32 v7, 6, v11
	v_add_co_u32_e32 v32, vcc, s14, v28
	v_addc_co_u32_e32 v33, vcc, v35, v29, vcc
	global_load_dwordx4 v[28:31], v[22:23], off
	global_load_dwordx2 v[38:39], v[32:33], off
	v_lshlrev_b64 v[22:23], 3, v[7:8]
	v_add_u32_e32 v7, 3, v10
	v_lshlrev_b64 v[32:33], 3, v[7:8]
	v_add_co_u32_e32 v22, vcc, s12, v22
	v_addc_co_u32_e32 v23, vcc, v34, v23, vcc
	v_add_co_u32_e32 v40, vcc, s14, v32
	v_addc_co_u32_e32 v41, vcc, v35, v33, vcc
	global_load_dwordx4 v[32:35], v[22:23], off
	global_load_dwordx2 v[42:43], v[40:41], off
	s_add_i32 s3, s3, 8
	v_add_u32_e32 v10, 4, v10
	s_waitcnt vmcnt(4)
	v_fma_f32 v7, v24, v36, v19
	v_fma_f32 v22, v25, v36, v17
	;; [unrolled: 1-line block ×4, first 2 shown]
	v_fma_f32 v7, -v25, v37, v7
	v_fmac_f32_e32 v22, v24, v37
	v_fma_f32 v11, -v27, v37, v11
	v_fmac_f32_e32 v23, v26, v37
	s_waitcnt vmcnt(2)
	v_fmac_f32_e32 v7, v28, v38
	v_fmac_f32_e32 v22, v29, v38
	;; [unrolled: 1-line block ×4, first 2 shown]
	v_fma_f32 v7, -v29, v39, v7
	v_fmac_f32_e32 v22, v28, v39
	v_fma_f32 v11, -v31, v39, v11
	v_fmac_f32_e32 v23, v30, v39
	s_waitcnt vmcnt(0)
	v_fmac_f32_e32 v7, v32, v42
	v_fmac_f32_e32 v22, v33, v42
	;; [unrolled: 1-line block ×4, first 2 shown]
	v_fma_f32 v24, -v33, v43, v7
	v_fmac_f32_e32 v22, v32, v43
	v_fma_f32 v25, -v35, v43, v11
	v_fmac_f32_e32 v23, v34, v43
	s_cbranch_execnz .LBB208_10
	s_branch .LBB208_7
.LBB208_12:
                                        ; implicit-def: $vgpr17
                                        ; implicit-def: $vgpr19
                                        ; implicit-def: $vgpr20
                                        ; implicit-def: $vgpr18
	s_branch .LBB208_15
.LBB208_13:
	s_or_b64 exec, exec, s[8:9]
.LBB208_14:
	s_or_b64 exec, exec, s[6:7]
	s_cbranch_execnz .LBB208_20
.LBB208_15:
	v_mov_b32_e32 v17, 0
	v_mov_b32_e32 v19, 0
	;; [unrolled: 1-line block ×4, first 2 shown]
	s_and_saveexec_b64 s[6:7], s[0:1]
	s_cbranch_execz .LBB208_19
; %bb.16:
	v_mad_u64_u32 v[8:9], s[0:1], v6, 26, 25
	v_mov_b32_e32 v11, 0
	s_mov_b64 s[0:1], 0
	v_mov_b32_e32 v21, s11
	v_mov_b32_e32 v22, s13
	;; [unrolled: 1-line block ×7, first 2 shown]
.LBB208_17:                             ; =>This Inner Loop Header: Depth=1
	v_ashrrev_i32_e32 v7, 31, v6
	v_lshlrev_b64 v[24:25], 2, v[6:7]
	v_subrev_u32_e32 v10, 25, v8
	v_add_co_u32_e32 v24, vcc, s10, v24
	v_addc_co_u32_e32 v25, vcc, v21, v25, vcc
	global_load_dword v7, v[24:25], off
	v_lshlrev_b64 v[26:27], 3, v[10:11]
	v_add_u32_e32 v14, -12, v8
	v_mov_b32_e32 v15, v11
	v_lshlrev_b64 v[14:15], 3, v[14:15]
	v_add_co_u32_e32 v28, vcc, s12, v26
	v_mov_b32_e32 v9, v11
	v_addc_co_u32_e32 v29, vcc, v22, v27, vcc
	v_lshlrev_b64 v[9:10], 3, v[8:9]
	v_add_co_u32_e32 v14, vcc, s12, v14
	v_mov_b32_e32 v13, v11
	v_addc_co_u32_e32 v15, vcc, v22, v15, vcc
	v_add_co_u32_e32 v30, vcc, s12, v9
	v_addc_co_u32_e32 v31, vcc, v22, v10, vcc
	v_add_u32_e32 v6, 8, v6
	s_waitcnt vmcnt(0)
	v_subrev_u32_e32 v7, s2, v7
	v_mul_lo_u32 v12, v7, 13
	v_lshlrev_b64 v[24:25], 3, v[12:13]
	v_add_u32_e32 v10, 1, v12
	v_lshlrev_b64 v[26:27], 3, v[10:11]
	v_add_co_u32_e32 v24, vcc, s14, v24
	v_add_u32_e32 v10, -11, v8
	v_addc_co_u32_e32 v25, vcc, v23, v25, vcc
	v_lshlrev_b64 v[32:33], 3, v[10:11]
	v_add_co_u32_e32 v34, vcc, s14, v26
	v_subrev_u32_e32 v10, 23, v8
	v_addc_co_u32_e32 v35, vcc, v23, v27, vcc
	v_lshlrev_b64 v[26:27], 3, v[10:11]
	v_add_co_u32_e32 v32, vcc, s12, v32
	v_add_u32_e32 v10, 2, v12
	v_addc_co_u32_e32 v33, vcc, v22, v33, vcc
	v_add_co_u32_e32 v36, vcc, s12, v26
	v_lshlrev_b64 v[9:10], 3, v[10:11]
	v_addc_co_u32_e32 v37, vcc, v22, v27, vcc
	v_add_co_u32_e32 v38, vcc, s14, v9
	v_addc_co_u32_e32 v39, vcc, v23, v10, vcc
	global_load_dwordx2 v[9:10], v[14:15], off
	global_load_dwordx2 v[40:41], v[24:25], off
	s_nop 0
	global_load_dwordx4 v[24:27], v[28:29], off
	global_load_dwordx2 v[13:14], v[34:35], off
	s_waitcnt vmcnt(2)
	v_fmac_f32_e32 v20, v9, v40
	v_fmac_f32_e32 v18, v10, v40
	v_fma_f32 v7, -v10, v41, v20
	v_add_u32_e32 v10, -10, v8
	global_load_dwordx2 v[28:29], v[32:33], off
	s_waitcnt vmcnt(2)
	v_fmac_f32_e32 v19, v24, v40
	v_fmac_f32_e32 v17, v25, v40
	v_fmac_f32_e32 v18, v9, v41
	v_fma_f32 v9, -v25, v41, v19
	v_fmac_f32_e32 v17, v24, v41
	v_lshlrev_b64 v[19:20], 3, v[10:11]
	v_subrev_u32_e32 v10, 22, v8
	s_waitcnt vmcnt(1)
	v_fmac_f32_e32 v9, v26, v13
	v_fmac_f32_e32 v17, v27, v13
	v_fma_f32 v15, -v27, v14, v9
	v_fmac_f32_e32 v17, v26, v14
	v_lshlrev_b64 v[26:27], 3, v[10:11]
	v_add_co_u32_e32 v19, vcc, s12, v19
	v_addc_co_u32_e32 v20, vcc, v22, v20, vcc
	global_load_dwordx2 v[24:25], v[36:37], off
	v_add_co_u32_e32 v26, vcc, s12, v26
	v_addc_co_u32_e32 v27, vcc, v22, v27, vcc
	global_load_dwordx2 v[34:35], v[38:39], off
	global_load_dwordx2 v[36:37], v[19:20], off
	global_load_dwordx2 v[40:41], v[26:27], off
	v_add_u32_e32 v10, 3, v12
	v_lshlrev_b64 v[32:33], 3, v[10:11]
	v_add_u32_e32 v10, -9, v8
	s_waitcnt vmcnt(4)
	v_fmac_f32_e32 v7, v28, v13
	v_fmac_f32_e32 v18, v29, v13
	v_fma_f32 v7, -v29, v14, v7
	v_fmac_f32_e32 v18, v28, v14
	v_lshlrev_b64 v[13:14], 3, v[10:11]
	v_add_co_u32_e32 v28, vcc, s14, v32
	v_subrev_u32_e32 v10, 21, v8
	v_addc_co_u32_e32 v29, vcc, v23, v33, vcc
	v_add_co_u32_e32 v13, vcc, s12, v13
	v_lshlrev_b64 v[9:10], 3, v[10:11]
	v_addc_co_u32_e32 v14, vcc, v22, v14, vcc
	v_add_co_u32_e32 v32, vcc, s12, v9
	v_addc_co_u32_e32 v33, vcc, v22, v10, vcc
	v_add_u32_e32 v10, 4, v12
	s_waitcnt vmcnt(2)
	v_fmac_f32_e32 v15, v24, v34
	v_fmac_f32_e32 v17, v25, v34
	s_waitcnt vmcnt(1)
	v_fmac_f32_e32 v7, v36, v34
	v_fmac_f32_e32 v18, v37, v34
	v_fma_f32 v15, -v25, v35, v15
	v_fmac_f32_e32 v17, v24, v35
	v_fma_f32 v7, -v37, v35, v7
	v_fmac_f32_e32 v18, v36, v35
	global_load_dwordx2 v[34:35], v[28:29], off
	global_load_dwordx2 v[36:37], v[13:14], off
	;; [unrolled: 1-line block ×3, first 2 shown]
	v_lshlrev_b64 v[19:20], 3, v[10:11]
	v_add_u32_e32 v10, -8, v8
	v_lshlrev_b64 v[24:25], 3, v[10:11]
	v_add_co_u32_e32 v19, vcc, s14, v19
	v_subrev_u32_e32 v10, 20, v8
	v_addc_co_u32_e32 v20, vcc, v23, v20, vcc
	v_add_co_u32_e32 v24, vcc, s12, v24
	v_lshlrev_b64 v[9:10], 3, v[10:11]
	v_addc_co_u32_e32 v25, vcc, v22, v25, vcc
	v_add_co_u32_e32 v26, vcc, s12, v9
	v_addc_co_u32_e32 v27, vcc, v22, v10, vcc
	v_add_u32_e32 v10, 5, v12
	v_lshlrev_b64 v[13:14], 3, v[10:11]
	v_add_u32_e32 v10, -7, v8
	v_lshlrev_b64 v[28:29], 3, v[10:11]
	v_add_co_u32_e32 v13, vcc, s14, v13
	v_subrev_u32_e32 v10, 19, v8
	v_addc_co_u32_e32 v14, vcc, v23, v14, vcc
	v_add_co_u32_e32 v28, vcc, s12, v28
	v_lshlrev_b64 v[9:10], 3, v[10:11]
	v_addc_co_u32_e32 v29, vcc, v22, v29, vcc
	v_add_co_u32_e32 v32, vcc, s12, v9
	v_addc_co_u32_e32 v33, vcc, v22, v10, vcc
	v_add_u32_e32 v10, 6, v12
	s_waitcnt vmcnt(2)
	v_fmac_f32_e32 v15, v40, v34
	v_fmac_f32_e32 v17, v41, v34
	s_waitcnt vmcnt(1)
	v_fmac_f32_e32 v7, v36, v34
	v_fmac_f32_e32 v18, v37, v34
	v_fma_f32 v15, -v41, v35, v15
	v_fmac_f32_e32 v17, v40, v35
	v_fma_f32 v7, -v37, v35, v7
	v_fmac_f32_e32 v18, v36, v35
	global_load_dwordx2 v[34:35], v[19:20], off
	global_load_dwordx2 v[36:37], v[24:25], off
	global_load_dwordx2 v[40:41], v[26:27], off
	v_lshlrev_b64 v[19:20], 3, v[10:11]
	v_add_u32_e32 v10, -6, v8
	v_lshlrev_b64 v[24:25], 3, v[10:11]
	v_add_co_u32_e32 v19, vcc, s14, v19
	v_subrev_u32_e32 v10, 18, v8
	v_addc_co_u32_e32 v20, vcc, v23, v20, vcc
	v_add_co_u32_e32 v24, vcc, s12, v24
	v_lshlrev_b64 v[9:10], 3, v[10:11]
	v_addc_co_u32_e32 v25, vcc, v22, v25, vcc
	v_add_co_u32_e32 v26, vcc, s12, v9
	v_addc_co_u32_e32 v27, vcc, v22, v10, vcc
	v_add_u32_e32 v10, 7, v12
	s_waitcnt vmcnt(2)
	v_fmac_f32_e32 v15, v38, v34
	v_fmac_f32_e32 v17, v39, v34
	s_waitcnt vmcnt(1)
	v_fmac_f32_e32 v7, v36, v34
	v_fmac_f32_e32 v18, v37, v34
	v_fma_f32 v15, -v39, v35, v15
	v_fmac_f32_e32 v17, v38, v35
	v_fma_f32 v7, -v37, v35, v7
	v_fmac_f32_e32 v18, v36, v35
	global_load_dwordx2 v[34:35], v[13:14], off
	global_load_dwordx2 v[36:37], v[28:29], off
	global_load_dwordx2 v[38:39], v[32:33], off
	;; [unrolled: 25-line block ×3, first 2 shown]
	v_lshlrev_b64 v[19:20], 3, v[10:11]
	v_add_u32_e32 v10, -4, v8
	v_lshlrev_b64 v[24:25], 3, v[10:11]
	v_add_co_u32_e32 v19, vcc, s14, v19
	v_add_u32_e32 v10, -16, v8
	v_addc_co_u32_e32 v20, vcc, v23, v20, vcc
	v_add_co_u32_e32 v24, vcc, s12, v24
	v_lshlrev_b64 v[9:10], 3, v[10:11]
	v_addc_co_u32_e32 v25, vcc, v22, v25, vcc
	v_add_co_u32_e32 v26, vcc, s12, v9
	v_addc_co_u32_e32 v27, vcc, v22, v10, vcc
	v_add_u32_e32 v10, 9, v12
	s_waitcnt vmcnt(2)
	v_fmac_f32_e32 v15, v38, v34
	v_fmac_f32_e32 v17, v39, v34
	s_waitcnt vmcnt(1)
	v_fmac_f32_e32 v7, v36, v34
	v_fmac_f32_e32 v18, v37, v34
	v_fma_f32 v15, -v39, v35, v15
	v_fmac_f32_e32 v17, v38, v35
	v_fma_f32 v7, -v37, v35, v7
	v_fmac_f32_e32 v18, v36, v35
	global_load_dwordx2 v[34:35], v[13:14], off
	global_load_dwordx2 v[36:37], v[28:29], off
	global_load_dwordx2 v[38:39], v[32:33], off
	v_lshlrev_b64 v[13:14], 3, v[10:11]
	v_add_u32_e32 v10, -3, v8
	v_lshlrev_b64 v[28:29], 3, v[10:11]
	v_add_co_u32_e32 v13, vcc, s14, v13
	v_add_u32_e32 v10, -15, v8
	v_addc_co_u32_e32 v14, vcc, v23, v14, vcc
	v_add_co_u32_e32 v28, vcc, s12, v28
	v_lshlrev_b64 v[9:10], 3, v[10:11]
	v_addc_co_u32_e32 v29, vcc, v22, v29, vcc
	v_add_co_u32_e32 v32, vcc, s12, v9
	v_addc_co_u32_e32 v33, vcc, v22, v10, vcc
	v_add_u32_e32 v10, 10, v12
	s_waitcnt vmcnt(2)
	v_fmac_f32_e32 v15, v40, v34
	v_fmac_f32_e32 v17, v41, v34
	s_waitcnt vmcnt(1)
	v_fmac_f32_e32 v7, v36, v34
	v_fmac_f32_e32 v18, v37, v34
	v_fma_f32 v15, -v41, v35, v15
	v_fmac_f32_e32 v17, v40, v35
	v_fma_f32 v7, -v37, v35, v7
	v_fmac_f32_e32 v18, v36, v35
	global_load_dwordx2 v[34:35], v[19:20], off
	global_load_dwordx2 v[36:37], v[24:25], off
	global_load_dwordx2 v[40:41], v[26:27], off
	;; [unrolled: 25-line block ×3, first 2 shown]
	v_lshlrev_b64 v[13:14], 3, v[10:11]
	v_add_u32_e32 v10, -1, v8
	v_lshlrev_b64 v[28:29], 3, v[10:11]
	v_add_co_u32_e32 v13, vcc, s14, v13
	v_add_u32_e32 v10, -13, v8
	v_addc_co_u32_e32 v14, vcc, v23, v14, vcc
	v_lshlrev_b64 v[32:33], 3, v[10:11]
	v_add_co_u32_e32 v28, vcc, s12, v28
	v_add_u32_e32 v10, 12, v12
	v_addc_co_u32_e32 v29, vcc, v22, v29, vcc
	v_add_co_u32_e32 v32, vcc, s12, v32
	v_lshlrev_b64 v[9:10], 3, v[10:11]
	v_addc_co_u32_e32 v33, vcc, v22, v33, vcc
	v_add_co_u32_e32 v9, vcc, s14, v9
	v_addc_co_u32_e32 v10, vcc, v23, v10, vcc
	v_cmp_ge_i32_e32 vcc, v6, v16
	s_or_b64 s[0:1], vcc, s[0:1]
	v_add_u32_e32 v8, 0xd0, v8
	s_waitcnt vmcnt(2)
	v_fmac_f32_e32 v15, v40, v34
	v_fmac_f32_e32 v17, v41, v34
	s_waitcnt vmcnt(1)
	v_fmac_f32_e32 v7, v36, v34
	v_fmac_f32_e32 v18, v37, v34
	v_fma_f32 v15, -v41, v35, v15
	v_fmac_f32_e32 v17, v40, v35
	v_fma_f32 v7, -v37, v35, v7
	v_fmac_f32_e32 v18, v36, v35
	global_load_dwordx2 v[34:35], v[30:31], off
	global_load_dwordx2 v[36:37], v[19:20], off
	;; [unrolled: 1-line block ×8, first 2 shown]
	s_waitcnt vmcnt(6)
	v_fmac_f32_e32 v15, v38, v36
	v_fmac_f32_e32 v17, v39, v36
	s_waitcnt vmcnt(5)
	v_fmac_f32_e32 v7, v40, v36
	v_fmac_f32_e32 v18, v41, v36
	v_fma_f32 v9, -v39, v37, v15
	v_fmac_f32_e32 v17, v38, v37
	v_fma_f32 v7, -v41, v37, v7
	v_fmac_f32_e32 v18, v40, v37
	s_waitcnt vmcnt(3)
	v_fmac_f32_e32 v9, v42, v44
	v_fmac_f32_e32 v17, v43, v44
	s_waitcnt vmcnt(2)
	v_fmac_f32_e32 v7, v46, v44
	v_fmac_f32_e32 v18, v47, v44
	v_fma_f32 v9, -v43, v45, v9
	v_fmac_f32_e32 v17, v42, v45
	v_fma_f32 v7, -v47, v45, v7
	v_fmac_f32_e32 v18, v46, v45
	s_waitcnt vmcnt(0)
	v_fmac_f32_e32 v9, v48, v50
	v_fmac_f32_e32 v17, v49, v50
	;; [unrolled: 1-line block ×4, first 2 shown]
	v_fma_f32 v19, -v49, v51, v9
	v_fmac_f32_e32 v17, v48, v51
	v_fma_f32 v20, -v35, v51, v7
	v_fmac_f32_e32 v18, v34, v51
	s_andn2_b64 exec, exec, s[0:1]
	s_cbranch_execnz .LBB208_17
; %bb.18:
	s_or_b64 exec, exec, s[0:1]
.LBB208_19:
	s_or_b64 exec, exec, s[6:7]
.LBB208_20:
	v_mov_b32_dpp v6, v19 row_shr:1 row_mask:0xf bank_mask:0xf
	v_mov_b32_dpp v8, v17 row_shr:1 row_mask:0xf bank_mask:0xf
	;; [unrolled: 1-line block ×4, first 2 shown]
	v_add_f32_e32 v6, v19, v6
	v_add_f32_e32 v8, v17, v8
	;; [unrolled: 1-line block ×4, first 2 shown]
	v_mov_b32_dpp v7, v6 row_shr:2 row_mask:0xf bank_mask:0xf
	v_mov_b32_dpp v9, v8 row_shr:2 row_mask:0xf bank_mask:0xf
	v_mov_b32_dpp v11, v10 row_shr:2 row_mask:0xf bank_mask:0xf
	v_mov_b32_dpp v13, v12 row_shr:2 row_mask:0xf bank_mask:0xf
	v_add_f32_e32 v6, v6, v7
	v_add_f32_e32 v8, v8, v9
	v_add_f32_e32 v10, v10, v11
	v_add_f32_e32 v12, v12, v13
	v_mov_b32_dpp v7, v6 row_shr:4 row_mask:0xf bank_mask:0xe
	v_mov_b32_dpp v9, v8 row_shr:4 row_mask:0xf bank_mask:0xe
	;; [unrolled: 1-line block ×4, first 2 shown]
	v_cmp_eq_u32_e32 vcc, 7, v0
	s_and_b64 exec, exec, vcc
	s_cbranch_execz .LBB208_25
; %bb.21:
	s_load_dwordx2 s[2:3], s[4:5], 0x38
	v_cmp_eq_f32_e32 vcc, 0, v3
	v_cmp_eq_f32_e64 s[0:1], 0, v4
	v_add_f32_e32 v7, v6, v7
	v_add_f32_e32 v8, v8, v9
	;; [unrolled: 1-line block ×4, first 2 shown]
	s_and_b64 s[0:1], vcc, s[0:1]
	s_and_saveexec_b64 s[4:5], s[0:1]
	s_xor_b64 s[0:1], exec, s[4:5]
	s_cbranch_execz .LBB208_23
; %bb.22:
	v_mul_f32_e64 v3, v8, -v2
	v_mul_f32_e32 v4, v1, v8
	v_fmac_f32_e32 v3, v1, v7
	v_fmac_f32_e32 v4, v2, v7
	v_lshlrev_b32_e32 v7, 1, v5
	v_ashrrev_i32_e32 v8, 31, v7
	v_lshlrev_b64 v[7:8], 3, v[7:8]
	s_waitcnt lgkmcnt(0)
	v_mov_b32_e32 v5, s3
	v_add_co_u32_e32 v7, vcc, s2, v7
	v_addc_co_u32_e32 v8, vcc, v5, v8, vcc
	v_mul_f32_e64 v5, v6, -v2
	v_mul_f32_e32 v6, v1, v6
	v_fmac_f32_e32 v5, v1, v0
	v_fmac_f32_e32 v6, v2, v0
	global_store_dwordx4 v[7:8], v[3:6], off
                                        ; implicit-def: $vgpr5
                                        ; implicit-def: $vgpr1_vgpr2
                                        ; implicit-def: $vgpr8
                                        ; implicit-def: $vgpr7
                                        ; implicit-def: $vgpr3_vgpr4
                                        ; implicit-def: $vgpr6
                                        ; implicit-def: $vgpr0
.LBB208_23:
	s_andn2_saveexec_b64 s[0:1], s[0:1]
	s_cbranch_execz .LBB208_25
; %bb.24:
	v_lshlrev_b32_e32 v9, 1, v5
	v_ashrrev_i32_e32 v10, 31, v9
	v_lshlrev_b64 v[9:10], 3, v[9:10]
	s_waitcnt lgkmcnt(0)
	v_mov_b32_e32 v5, s3
	v_add_co_u32_e32 v17, vcc, s2, v9
	v_addc_co_u32_e32 v18, vcc, v5, v10, vcc
	global_load_dwordx4 v[9:12], v[17:18], off
	v_mul_f32_e64 v5, v8, -v2
	v_mul_f32_e32 v14, v1, v8
	v_mul_f32_e64 v8, v6, -v2
	v_mul_f32_e32 v16, v1, v6
	v_fmac_f32_e32 v5, v1, v7
	v_fmac_f32_e32 v14, v2, v7
	;; [unrolled: 1-line block ×4, first 2 shown]
	s_waitcnt vmcnt(0)
	v_fmac_f32_e32 v5, v3, v9
	v_fmac_f32_e32 v14, v4, v9
	;; [unrolled: 1-line block ×4, first 2 shown]
	v_fma_f32 v13, -v4, v10, v5
	v_fmac_f32_e32 v14, v3, v10
	v_fma_f32 v15, -v4, v12, v8
	v_fmac_f32_e32 v16, v3, v12
	global_store_dwordx4 v[17:18], v[13:16], off
.LBB208_25:
	s_endpgm
	.section	.rodata,"a",@progbits
	.p2align	6, 0x0
	.amdhsa_kernel _ZN9rocsparseL19gebsrmvn_2xn_kernelILj128ELj13ELj8E21rocsparse_complex_numIfEEEvi20rocsparse_direction_NS_24const_host_device_scalarIT2_EEPKiS8_PKS5_SA_S6_PS5_21rocsparse_index_base_b
		.amdhsa_group_segment_fixed_size 0
		.amdhsa_private_segment_fixed_size 0
		.amdhsa_kernarg_size 72
		.amdhsa_user_sgpr_count 6
		.amdhsa_user_sgpr_private_segment_buffer 1
		.amdhsa_user_sgpr_dispatch_ptr 0
		.amdhsa_user_sgpr_queue_ptr 0
		.amdhsa_user_sgpr_kernarg_segment_ptr 1
		.amdhsa_user_sgpr_dispatch_id 0
		.amdhsa_user_sgpr_flat_scratch_init 0
		.amdhsa_user_sgpr_private_segment_size 0
		.amdhsa_uses_dynamic_stack 0
		.amdhsa_system_sgpr_private_segment_wavefront_offset 0
		.amdhsa_system_sgpr_workgroup_id_x 1
		.amdhsa_system_sgpr_workgroup_id_y 0
		.amdhsa_system_sgpr_workgroup_id_z 0
		.amdhsa_system_sgpr_workgroup_info 0
		.amdhsa_system_vgpr_workitem_id 0
		.amdhsa_next_free_vgpr 52
		.amdhsa_next_free_sgpr 16
		.amdhsa_reserve_vcc 1
		.amdhsa_reserve_flat_scratch 0
		.amdhsa_float_round_mode_32 0
		.amdhsa_float_round_mode_16_64 0
		.amdhsa_float_denorm_mode_32 3
		.amdhsa_float_denorm_mode_16_64 3
		.amdhsa_dx10_clamp 1
		.amdhsa_ieee_mode 1
		.amdhsa_fp16_overflow 0
		.amdhsa_exception_fp_ieee_invalid_op 0
		.amdhsa_exception_fp_denorm_src 0
		.amdhsa_exception_fp_ieee_div_zero 0
		.amdhsa_exception_fp_ieee_overflow 0
		.amdhsa_exception_fp_ieee_underflow 0
		.amdhsa_exception_fp_ieee_inexact 0
		.amdhsa_exception_int_div_zero 0
	.end_amdhsa_kernel
	.section	.text._ZN9rocsparseL19gebsrmvn_2xn_kernelILj128ELj13ELj8E21rocsparse_complex_numIfEEEvi20rocsparse_direction_NS_24const_host_device_scalarIT2_EEPKiS8_PKS5_SA_S6_PS5_21rocsparse_index_base_b,"axG",@progbits,_ZN9rocsparseL19gebsrmvn_2xn_kernelILj128ELj13ELj8E21rocsparse_complex_numIfEEEvi20rocsparse_direction_NS_24const_host_device_scalarIT2_EEPKiS8_PKS5_SA_S6_PS5_21rocsparse_index_base_b,comdat
.Lfunc_end208:
	.size	_ZN9rocsparseL19gebsrmvn_2xn_kernelILj128ELj13ELj8E21rocsparse_complex_numIfEEEvi20rocsparse_direction_NS_24const_host_device_scalarIT2_EEPKiS8_PKS5_SA_S6_PS5_21rocsparse_index_base_b, .Lfunc_end208-_ZN9rocsparseL19gebsrmvn_2xn_kernelILj128ELj13ELj8E21rocsparse_complex_numIfEEEvi20rocsparse_direction_NS_24const_host_device_scalarIT2_EEPKiS8_PKS5_SA_S6_PS5_21rocsparse_index_base_b
                                        ; -- End function
	.set _ZN9rocsparseL19gebsrmvn_2xn_kernelILj128ELj13ELj8E21rocsparse_complex_numIfEEEvi20rocsparse_direction_NS_24const_host_device_scalarIT2_EEPKiS8_PKS5_SA_S6_PS5_21rocsparse_index_base_b.num_vgpr, 52
	.set _ZN9rocsparseL19gebsrmvn_2xn_kernelILj128ELj13ELj8E21rocsparse_complex_numIfEEEvi20rocsparse_direction_NS_24const_host_device_scalarIT2_EEPKiS8_PKS5_SA_S6_PS5_21rocsparse_index_base_b.num_agpr, 0
	.set _ZN9rocsparseL19gebsrmvn_2xn_kernelILj128ELj13ELj8E21rocsparse_complex_numIfEEEvi20rocsparse_direction_NS_24const_host_device_scalarIT2_EEPKiS8_PKS5_SA_S6_PS5_21rocsparse_index_base_b.numbered_sgpr, 16
	.set _ZN9rocsparseL19gebsrmvn_2xn_kernelILj128ELj13ELj8E21rocsparse_complex_numIfEEEvi20rocsparse_direction_NS_24const_host_device_scalarIT2_EEPKiS8_PKS5_SA_S6_PS5_21rocsparse_index_base_b.num_named_barrier, 0
	.set _ZN9rocsparseL19gebsrmvn_2xn_kernelILj128ELj13ELj8E21rocsparse_complex_numIfEEEvi20rocsparse_direction_NS_24const_host_device_scalarIT2_EEPKiS8_PKS5_SA_S6_PS5_21rocsparse_index_base_b.private_seg_size, 0
	.set _ZN9rocsparseL19gebsrmvn_2xn_kernelILj128ELj13ELj8E21rocsparse_complex_numIfEEEvi20rocsparse_direction_NS_24const_host_device_scalarIT2_EEPKiS8_PKS5_SA_S6_PS5_21rocsparse_index_base_b.uses_vcc, 1
	.set _ZN9rocsparseL19gebsrmvn_2xn_kernelILj128ELj13ELj8E21rocsparse_complex_numIfEEEvi20rocsparse_direction_NS_24const_host_device_scalarIT2_EEPKiS8_PKS5_SA_S6_PS5_21rocsparse_index_base_b.uses_flat_scratch, 0
	.set _ZN9rocsparseL19gebsrmvn_2xn_kernelILj128ELj13ELj8E21rocsparse_complex_numIfEEEvi20rocsparse_direction_NS_24const_host_device_scalarIT2_EEPKiS8_PKS5_SA_S6_PS5_21rocsparse_index_base_b.has_dyn_sized_stack, 0
	.set _ZN9rocsparseL19gebsrmvn_2xn_kernelILj128ELj13ELj8E21rocsparse_complex_numIfEEEvi20rocsparse_direction_NS_24const_host_device_scalarIT2_EEPKiS8_PKS5_SA_S6_PS5_21rocsparse_index_base_b.has_recursion, 0
	.set _ZN9rocsparseL19gebsrmvn_2xn_kernelILj128ELj13ELj8E21rocsparse_complex_numIfEEEvi20rocsparse_direction_NS_24const_host_device_scalarIT2_EEPKiS8_PKS5_SA_S6_PS5_21rocsparse_index_base_b.has_indirect_call, 0
	.section	.AMDGPU.csdata,"",@progbits
; Kernel info:
; codeLenInByte = 3212
; TotalNumSgprs: 20
; NumVgprs: 52
; ScratchSize: 0
; MemoryBound: 0
; FloatMode: 240
; IeeeMode: 1
; LDSByteSize: 0 bytes/workgroup (compile time only)
; SGPRBlocks: 2
; VGPRBlocks: 12
; NumSGPRsForWavesPerEU: 20
; NumVGPRsForWavesPerEU: 52
; Occupancy: 4
; WaveLimiterHint : 1
; COMPUTE_PGM_RSRC2:SCRATCH_EN: 0
; COMPUTE_PGM_RSRC2:USER_SGPR: 6
; COMPUTE_PGM_RSRC2:TRAP_HANDLER: 0
; COMPUTE_PGM_RSRC2:TGID_X_EN: 1
; COMPUTE_PGM_RSRC2:TGID_Y_EN: 0
; COMPUTE_PGM_RSRC2:TGID_Z_EN: 0
; COMPUTE_PGM_RSRC2:TIDIG_COMP_CNT: 0
	.section	.text._ZN9rocsparseL19gebsrmvn_2xn_kernelILj128ELj13ELj16E21rocsparse_complex_numIfEEEvi20rocsparse_direction_NS_24const_host_device_scalarIT2_EEPKiS8_PKS5_SA_S6_PS5_21rocsparse_index_base_b,"axG",@progbits,_ZN9rocsparseL19gebsrmvn_2xn_kernelILj128ELj13ELj16E21rocsparse_complex_numIfEEEvi20rocsparse_direction_NS_24const_host_device_scalarIT2_EEPKiS8_PKS5_SA_S6_PS5_21rocsparse_index_base_b,comdat
	.globl	_ZN9rocsparseL19gebsrmvn_2xn_kernelILj128ELj13ELj16E21rocsparse_complex_numIfEEEvi20rocsparse_direction_NS_24const_host_device_scalarIT2_EEPKiS8_PKS5_SA_S6_PS5_21rocsparse_index_base_b ; -- Begin function _ZN9rocsparseL19gebsrmvn_2xn_kernelILj128ELj13ELj16E21rocsparse_complex_numIfEEEvi20rocsparse_direction_NS_24const_host_device_scalarIT2_EEPKiS8_PKS5_SA_S6_PS5_21rocsparse_index_base_b
	.p2align	8
	.type	_ZN9rocsparseL19gebsrmvn_2xn_kernelILj128ELj13ELj16E21rocsparse_complex_numIfEEEvi20rocsparse_direction_NS_24const_host_device_scalarIT2_EEPKiS8_PKS5_SA_S6_PS5_21rocsparse_index_base_b,@function
_ZN9rocsparseL19gebsrmvn_2xn_kernelILj128ELj13ELj16E21rocsparse_complex_numIfEEEvi20rocsparse_direction_NS_24const_host_device_scalarIT2_EEPKiS8_PKS5_SA_S6_PS5_21rocsparse_index_base_b: ; @_ZN9rocsparseL19gebsrmvn_2xn_kernelILj128ELj13ELj16E21rocsparse_complex_numIfEEEvi20rocsparse_direction_NS_24const_host_device_scalarIT2_EEPKiS8_PKS5_SA_S6_PS5_21rocsparse_index_base_b
; %bb.0:
	s_load_dwordx2 s[0:1], s[4:5], 0x8
	s_load_dwordx2 s[8:9], s[4:5], 0x30
	;; [unrolled: 1-line block ×3, first 2 shown]
	s_add_u32 s7, s4, 8
	s_addc_u32 s10, s5, 0
	s_add_u32 s11, s4, 48
	s_addc_u32 s12, s5, 0
	s_waitcnt lgkmcnt(0)
	s_bitcmp1_b32 s3, 0
	s_cselect_b32 s1, s10, s1
	s_cselect_b32 s0, s7, s0
	v_mov_b32_e32 v1, s0
	v_mov_b32_e32 v2, s1
	flat_load_dwordx2 v[1:2], v[1:2]
	s_cselect_b32 s0, s12, s9
	s_cselect_b32 s1, s11, s8
	v_mov_b32_e32 v3, s1
	v_mov_b32_e32 v4, s0
	flat_load_dwordx2 v[3:4], v[3:4]
	s_waitcnt vmcnt(0) lgkmcnt(0)
	v_cmp_eq_f32_e32 vcc, 0, v1
	v_cmp_eq_f32_e64 s[0:1], 0, v2
	s_and_b64 s[10:11], vcc, s[0:1]
	s_mov_b64 s[0:1], -1
	s_and_saveexec_b64 s[8:9], s[10:11]
; %bb.1:
	v_cmp_neq_f32_e32 vcc, 1.0, v3
	v_cmp_neq_f32_e64 s[0:1], 0, v4
	s_or_b64 s[0:1], vcc, s[0:1]
	s_orn2_b64 s[0:1], s[0:1], exec
; %bb.2:
	s_or_b64 exec, exec, s[8:9]
	s_and_saveexec_b64 s[8:9], s[0:1]
	s_cbranch_execz .LBB209_25
; %bb.3:
	s_load_dwordx2 s[0:1], s[4:5], 0x0
	v_lshrrev_b32_e32 v5, 4, v0
	v_lshl_or_b32 v5, s6, 3, v5
	s_waitcnt lgkmcnt(0)
	v_cmp_gt_i32_e32 vcc, s0, v5
	s_and_b64 exec, exec, vcc
	s_cbranch_execz .LBB209_25
; %bb.4:
	s_load_dwordx8 s[8:15], s[4:5], 0x10
	v_ashrrev_i32_e32 v6, 31, v5
	v_lshlrev_b64 v[6:7], 2, v[5:6]
	v_and_b32_e32 v0, 15, v0
	s_cmp_lg_u32 s1, 0
	s_waitcnt lgkmcnt(0)
	v_mov_b32_e32 v8, s9
	v_add_co_u32_e32 v6, vcc, s8, v6
	v_addc_co_u32_e32 v7, vcc, v8, v7, vcc
	global_load_dwordx2 v[7:8], v[6:7], off
	s_waitcnt vmcnt(0)
	v_subrev_u32_e32 v6, s2, v7
	v_subrev_u32_e32 v16, s2, v8
	v_add_u32_e32 v6, v6, v0
	v_cmp_lt_i32_e64 s[0:1], v6, v16
	s_cbranch_scc0 .LBB209_12
; %bb.5:
	v_mov_b32_e32 v17, 0
	v_mov_b32_e32 v19, 0
	;; [unrolled: 1-line block ×4, first 2 shown]
	s_and_saveexec_b64 s[6:7], s[0:1]
	s_cbranch_execz .LBB209_14
; %bb.6:
	v_mul_lo_u32 v7, v7, 26
	v_mul_lo_u32 v12, v6, 26
	s_mul_i32 s3, s2, 26
	v_mov_b32_e32 v8, 0
	v_mad_u32_u24 v7, v0, 26, v7
	v_subrev_u32_e32 v13, s3, v7
	s_mov_b64 s[8:9], 0
	v_mov_b32_e32 v14, s11
	v_mov_b32_e32 v15, s13
	;; [unrolled: 1-line block ×8, first 2 shown]
	s_branch .LBB209_8
.LBB209_7:                              ;   in Loop: Header=BB209_8 Depth=1
	v_add_u32_e32 v9, 16, v9
	v_cmp_ge_i32_e32 vcc, v9, v16
	v_add_u32_e32 v12, 0x1a0, v12
	s_or_b64 s[8:9], vcc, s[8:9]
	v_add_u32_e32 v13, 0x1a0, v13
	s_andn2_b64 exec, exec, s[8:9]
	s_cbranch_execz .LBB209_13
.LBB209_8:                              ; =>This Loop Header: Depth=1
                                        ;     Child Loop BB209_10 Depth 2
	v_ashrrev_i32_e32 v10, 31, v9
	v_lshlrev_b64 v[10:11], 2, v[9:10]
	s_mov_b32 s3, 0
	v_add_co_u32_e32 v10, vcc, s10, v10
	v_addc_co_u32_e32 v11, vcc, v14, v11, vcc
	global_load_dword v7, v[10:11], off
	v_mov_b32_e32 v22, v17
	v_mov_b32_e32 v24, v19
	;; [unrolled: 1-line block ×4, first 2 shown]
	s_waitcnt vmcnt(0)
	v_subrev_u32_e32 v7, s2, v7
	v_mul_lo_u32 v10, v7, 13
	s_branch .LBB209_10
.LBB209_9:                              ;   in Loop: Header=BB209_8 Depth=1
                                        ; implicit-def: $vgpr23
                                        ; implicit-def: $vgpr25
                                        ; implicit-def: $vgpr24
                                        ; implicit-def: $vgpr22
                                        ; implicit-def: $sgpr3
                                        ; implicit-def: $vgpr10
	s_branch .LBB209_7
.LBB209_10:                             ;   Parent Loop BB209_8 Depth=1
                                        ; =>  This Inner Loop Header: Depth=2
	v_add_u32_e32 v7, s3, v13
	v_lshlrev_b64 v[17:18], 3, v[7:8]
	v_mov_b32_e32 v11, v8
	v_add_co_u32_e32 v17, vcc, s12, v17
	v_addc_co_u32_e32 v18, vcc, v15, v18, vcc
	global_load_dwordx4 v[26:29], v[17:18], off
	v_lshlrev_b64 v[17:18], 3, v[10:11]
	s_cmp_eq_u32 s3, 24
	v_add_co_u32_e32 v17, vcc, s14, v17
	v_addc_co_u32_e32 v18, vcc, v21, v18, vcc
	global_load_dwordx2 v[30:31], v[17:18], off
	s_waitcnt vmcnt(0)
	v_fmac_f32_e32 v22, v27, v30
	v_fmac_f32_e32 v23, v29, v30
	;; [unrolled: 1-line block ×4, first 2 shown]
	v_mov_b32_e32 v17, v22
	v_mov_b32_e32 v18, v23
	v_fma_f32 v19, -v27, v31, v24
	v_fma_f32 v20, -v29, v31, v25
	v_fmac_f32_e32 v17, v26, v31
	v_fmac_f32_e32 v18, v28, v31
	s_cbranch_scc1 .LBB209_9
; %bb.11:                               ;   in Loop: Header=BB209_10 Depth=2
	v_add_u32_e32 v11, s3, v12
	v_add_u32_e32 v7, 2, v11
	v_lshlrev_b64 v[22:23], 3, v[7:8]
	v_mov_b32_e32 v34, s13
	v_add_co_u32_e32 v22, vcc, s12, v22
	v_addc_co_u32_e32 v23, vcc, v34, v23, vcc
	v_add_u32_e32 v7, 1, v10
	global_load_dwordx4 v[24:27], v[22:23], off
	v_lshlrev_b64 v[22:23], 3, v[7:8]
	v_mov_b32_e32 v35, s15
	v_add_co_u32_e32 v22, vcc, s14, v22
	v_addc_co_u32_e32 v23, vcc, v35, v23, vcc
	v_add_u32_e32 v7, 4, v11
	global_load_dwordx2 v[36:37], v[22:23], off
	v_lshlrev_b64 v[22:23], 3, v[7:8]
	v_add_u32_e32 v7, 2, v10
	v_lshlrev_b64 v[28:29], 3, v[7:8]
	v_add_co_u32_e32 v22, vcc, s12, v22
	v_addc_co_u32_e32 v23, vcc, v34, v23, vcc
	v_add_u32_e32 v7, 6, v11
	v_add_co_u32_e32 v32, vcc, s14, v28
	v_addc_co_u32_e32 v33, vcc, v35, v29, vcc
	global_load_dwordx4 v[28:31], v[22:23], off
	global_load_dwordx2 v[38:39], v[32:33], off
	v_lshlrev_b64 v[22:23], 3, v[7:8]
	v_add_u32_e32 v7, 3, v10
	v_lshlrev_b64 v[32:33], 3, v[7:8]
	v_add_co_u32_e32 v22, vcc, s12, v22
	v_addc_co_u32_e32 v23, vcc, v34, v23, vcc
	v_add_co_u32_e32 v40, vcc, s14, v32
	v_addc_co_u32_e32 v41, vcc, v35, v33, vcc
	global_load_dwordx4 v[32:35], v[22:23], off
	global_load_dwordx2 v[42:43], v[40:41], off
	s_add_i32 s3, s3, 8
	v_add_u32_e32 v10, 4, v10
	s_waitcnt vmcnt(4)
	v_fma_f32 v7, v24, v36, v19
	v_fma_f32 v22, v25, v36, v17
	;; [unrolled: 1-line block ×4, first 2 shown]
	v_fma_f32 v7, -v25, v37, v7
	v_fmac_f32_e32 v22, v24, v37
	v_fma_f32 v11, -v27, v37, v11
	v_fmac_f32_e32 v23, v26, v37
	s_waitcnt vmcnt(2)
	v_fmac_f32_e32 v7, v28, v38
	v_fmac_f32_e32 v22, v29, v38
	;; [unrolled: 1-line block ×4, first 2 shown]
	v_fma_f32 v7, -v29, v39, v7
	v_fmac_f32_e32 v22, v28, v39
	v_fma_f32 v11, -v31, v39, v11
	v_fmac_f32_e32 v23, v30, v39
	s_waitcnt vmcnt(0)
	v_fmac_f32_e32 v7, v32, v42
	v_fmac_f32_e32 v22, v33, v42
	;; [unrolled: 1-line block ×4, first 2 shown]
	v_fma_f32 v24, -v33, v43, v7
	v_fmac_f32_e32 v22, v32, v43
	v_fma_f32 v25, -v35, v43, v11
	v_fmac_f32_e32 v23, v34, v43
	s_cbranch_execnz .LBB209_10
	s_branch .LBB209_7
.LBB209_12:
                                        ; implicit-def: $vgpr17
                                        ; implicit-def: $vgpr19
                                        ; implicit-def: $vgpr20
                                        ; implicit-def: $vgpr18
	s_branch .LBB209_15
.LBB209_13:
	s_or_b64 exec, exec, s[8:9]
.LBB209_14:
	s_or_b64 exec, exec, s[6:7]
	s_cbranch_execnz .LBB209_20
.LBB209_15:
	v_mov_b32_e32 v17, 0
	v_mov_b32_e32 v19, 0
	;; [unrolled: 1-line block ×4, first 2 shown]
	s_and_saveexec_b64 s[6:7], s[0:1]
	s_cbranch_execz .LBB209_19
; %bb.16:
	v_mad_u64_u32 v[8:9], s[0:1], v6, 26, 25
	v_mov_b32_e32 v11, 0
	s_mov_b64 s[0:1], 0
	v_mov_b32_e32 v21, s11
	v_mov_b32_e32 v22, s13
	;; [unrolled: 1-line block ×7, first 2 shown]
.LBB209_17:                             ; =>This Inner Loop Header: Depth=1
	v_ashrrev_i32_e32 v7, 31, v6
	v_lshlrev_b64 v[24:25], 2, v[6:7]
	v_subrev_u32_e32 v10, 25, v8
	v_add_co_u32_e32 v24, vcc, s10, v24
	v_addc_co_u32_e32 v25, vcc, v21, v25, vcc
	global_load_dword v7, v[24:25], off
	v_lshlrev_b64 v[26:27], 3, v[10:11]
	v_add_u32_e32 v14, -12, v8
	v_mov_b32_e32 v15, v11
	v_lshlrev_b64 v[14:15], 3, v[14:15]
	v_add_co_u32_e32 v28, vcc, s12, v26
	v_mov_b32_e32 v9, v11
	v_addc_co_u32_e32 v29, vcc, v22, v27, vcc
	v_lshlrev_b64 v[9:10], 3, v[8:9]
	v_add_co_u32_e32 v14, vcc, s12, v14
	v_mov_b32_e32 v13, v11
	v_addc_co_u32_e32 v15, vcc, v22, v15, vcc
	v_add_co_u32_e32 v30, vcc, s12, v9
	v_addc_co_u32_e32 v31, vcc, v22, v10, vcc
	v_add_u32_e32 v6, 16, v6
	s_waitcnt vmcnt(0)
	v_subrev_u32_e32 v7, s2, v7
	v_mul_lo_u32 v12, v7, 13
	v_lshlrev_b64 v[24:25], 3, v[12:13]
	v_add_u32_e32 v10, 1, v12
	v_lshlrev_b64 v[26:27], 3, v[10:11]
	v_add_co_u32_e32 v24, vcc, s14, v24
	v_add_u32_e32 v10, -11, v8
	v_addc_co_u32_e32 v25, vcc, v23, v25, vcc
	v_lshlrev_b64 v[32:33], 3, v[10:11]
	v_add_co_u32_e32 v34, vcc, s14, v26
	v_subrev_u32_e32 v10, 23, v8
	v_addc_co_u32_e32 v35, vcc, v23, v27, vcc
	v_lshlrev_b64 v[26:27], 3, v[10:11]
	v_add_co_u32_e32 v32, vcc, s12, v32
	v_add_u32_e32 v10, 2, v12
	v_addc_co_u32_e32 v33, vcc, v22, v33, vcc
	v_add_co_u32_e32 v36, vcc, s12, v26
	v_lshlrev_b64 v[9:10], 3, v[10:11]
	v_addc_co_u32_e32 v37, vcc, v22, v27, vcc
	v_add_co_u32_e32 v38, vcc, s14, v9
	v_addc_co_u32_e32 v39, vcc, v23, v10, vcc
	global_load_dwordx2 v[9:10], v[14:15], off
	global_load_dwordx2 v[40:41], v[24:25], off
	s_nop 0
	global_load_dwordx4 v[24:27], v[28:29], off
	global_load_dwordx2 v[13:14], v[34:35], off
	s_waitcnt vmcnt(2)
	v_fmac_f32_e32 v20, v9, v40
	v_fmac_f32_e32 v18, v10, v40
	v_fma_f32 v7, -v10, v41, v20
	v_add_u32_e32 v10, -10, v8
	global_load_dwordx2 v[28:29], v[32:33], off
	s_waitcnt vmcnt(2)
	v_fmac_f32_e32 v19, v24, v40
	v_fmac_f32_e32 v17, v25, v40
	;; [unrolled: 1-line block ×3, first 2 shown]
	v_fma_f32 v9, -v25, v41, v19
	v_fmac_f32_e32 v17, v24, v41
	v_lshlrev_b64 v[19:20], 3, v[10:11]
	v_subrev_u32_e32 v10, 22, v8
	s_waitcnt vmcnt(1)
	v_fmac_f32_e32 v9, v26, v13
	v_fmac_f32_e32 v17, v27, v13
	v_fma_f32 v15, -v27, v14, v9
	v_fmac_f32_e32 v17, v26, v14
	v_lshlrev_b64 v[26:27], 3, v[10:11]
	v_add_co_u32_e32 v19, vcc, s12, v19
	v_addc_co_u32_e32 v20, vcc, v22, v20, vcc
	global_load_dwordx2 v[24:25], v[36:37], off
	v_add_co_u32_e32 v26, vcc, s12, v26
	v_addc_co_u32_e32 v27, vcc, v22, v27, vcc
	global_load_dwordx2 v[34:35], v[38:39], off
	global_load_dwordx2 v[36:37], v[19:20], off
	;; [unrolled: 1-line block ×3, first 2 shown]
	v_add_u32_e32 v10, 3, v12
	v_lshlrev_b64 v[32:33], 3, v[10:11]
	v_add_u32_e32 v10, -9, v8
	s_waitcnt vmcnt(4)
	v_fmac_f32_e32 v7, v28, v13
	v_fmac_f32_e32 v18, v29, v13
	v_fma_f32 v7, -v29, v14, v7
	v_fmac_f32_e32 v18, v28, v14
	v_lshlrev_b64 v[13:14], 3, v[10:11]
	v_add_co_u32_e32 v28, vcc, s14, v32
	v_subrev_u32_e32 v10, 21, v8
	v_addc_co_u32_e32 v29, vcc, v23, v33, vcc
	v_add_co_u32_e32 v13, vcc, s12, v13
	v_lshlrev_b64 v[9:10], 3, v[10:11]
	v_addc_co_u32_e32 v14, vcc, v22, v14, vcc
	v_add_co_u32_e32 v32, vcc, s12, v9
	v_addc_co_u32_e32 v33, vcc, v22, v10, vcc
	v_add_u32_e32 v10, 4, v12
	s_waitcnt vmcnt(2)
	v_fmac_f32_e32 v15, v24, v34
	v_fmac_f32_e32 v17, v25, v34
	s_waitcnt vmcnt(1)
	v_fmac_f32_e32 v7, v36, v34
	v_fmac_f32_e32 v18, v37, v34
	v_fma_f32 v15, -v25, v35, v15
	v_fmac_f32_e32 v17, v24, v35
	v_fma_f32 v7, -v37, v35, v7
	v_fmac_f32_e32 v18, v36, v35
	global_load_dwordx2 v[34:35], v[28:29], off
	global_load_dwordx2 v[36:37], v[13:14], off
	;; [unrolled: 1-line block ×3, first 2 shown]
	v_lshlrev_b64 v[19:20], 3, v[10:11]
	v_add_u32_e32 v10, -8, v8
	v_lshlrev_b64 v[24:25], 3, v[10:11]
	v_add_co_u32_e32 v19, vcc, s14, v19
	v_subrev_u32_e32 v10, 20, v8
	v_addc_co_u32_e32 v20, vcc, v23, v20, vcc
	v_add_co_u32_e32 v24, vcc, s12, v24
	v_lshlrev_b64 v[9:10], 3, v[10:11]
	v_addc_co_u32_e32 v25, vcc, v22, v25, vcc
	v_add_co_u32_e32 v26, vcc, s12, v9
	v_addc_co_u32_e32 v27, vcc, v22, v10, vcc
	v_add_u32_e32 v10, 5, v12
	v_lshlrev_b64 v[13:14], 3, v[10:11]
	v_add_u32_e32 v10, -7, v8
	v_lshlrev_b64 v[28:29], 3, v[10:11]
	v_add_co_u32_e32 v13, vcc, s14, v13
	v_subrev_u32_e32 v10, 19, v8
	v_addc_co_u32_e32 v14, vcc, v23, v14, vcc
	v_add_co_u32_e32 v28, vcc, s12, v28
	v_lshlrev_b64 v[9:10], 3, v[10:11]
	v_addc_co_u32_e32 v29, vcc, v22, v29, vcc
	v_add_co_u32_e32 v32, vcc, s12, v9
	v_addc_co_u32_e32 v33, vcc, v22, v10, vcc
	v_add_u32_e32 v10, 6, v12
	s_waitcnt vmcnt(2)
	v_fmac_f32_e32 v15, v40, v34
	v_fmac_f32_e32 v17, v41, v34
	s_waitcnt vmcnt(1)
	v_fmac_f32_e32 v7, v36, v34
	v_fmac_f32_e32 v18, v37, v34
	v_fma_f32 v15, -v41, v35, v15
	v_fmac_f32_e32 v17, v40, v35
	v_fma_f32 v7, -v37, v35, v7
	v_fmac_f32_e32 v18, v36, v35
	global_load_dwordx2 v[34:35], v[19:20], off
	global_load_dwordx2 v[36:37], v[24:25], off
	global_load_dwordx2 v[40:41], v[26:27], off
	v_lshlrev_b64 v[19:20], 3, v[10:11]
	v_add_u32_e32 v10, -6, v8
	v_lshlrev_b64 v[24:25], 3, v[10:11]
	v_add_co_u32_e32 v19, vcc, s14, v19
	v_subrev_u32_e32 v10, 18, v8
	v_addc_co_u32_e32 v20, vcc, v23, v20, vcc
	v_add_co_u32_e32 v24, vcc, s12, v24
	v_lshlrev_b64 v[9:10], 3, v[10:11]
	v_addc_co_u32_e32 v25, vcc, v22, v25, vcc
	v_add_co_u32_e32 v26, vcc, s12, v9
	v_addc_co_u32_e32 v27, vcc, v22, v10, vcc
	v_add_u32_e32 v10, 7, v12
	s_waitcnt vmcnt(2)
	v_fmac_f32_e32 v15, v38, v34
	v_fmac_f32_e32 v17, v39, v34
	s_waitcnt vmcnt(1)
	v_fmac_f32_e32 v7, v36, v34
	v_fmac_f32_e32 v18, v37, v34
	v_fma_f32 v15, -v39, v35, v15
	v_fmac_f32_e32 v17, v38, v35
	v_fma_f32 v7, -v37, v35, v7
	v_fmac_f32_e32 v18, v36, v35
	global_load_dwordx2 v[34:35], v[13:14], off
	global_load_dwordx2 v[36:37], v[28:29], off
	global_load_dwordx2 v[38:39], v[32:33], off
	;; [unrolled: 25-line block ×3, first 2 shown]
	v_lshlrev_b64 v[19:20], 3, v[10:11]
	v_add_u32_e32 v10, -4, v8
	v_lshlrev_b64 v[24:25], 3, v[10:11]
	v_add_co_u32_e32 v19, vcc, s14, v19
	v_add_u32_e32 v10, -16, v8
	v_addc_co_u32_e32 v20, vcc, v23, v20, vcc
	v_add_co_u32_e32 v24, vcc, s12, v24
	v_lshlrev_b64 v[9:10], 3, v[10:11]
	v_addc_co_u32_e32 v25, vcc, v22, v25, vcc
	v_add_co_u32_e32 v26, vcc, s12, v9
	v_addc_co_u32_e32 v27, vcc, v22, v10, vcc
	v_add_u32_e32 v10, 9, v12
	s_waitcnt vmcnt(2)
	v_fmac_f32_e32 v15, v38, v34
	v_fmac_f32_e32 v17, v39, v34
	s_waitcnt vmcnt(1)
	v_fmac_f32_e32 v7, v36, v34
	v_fmac_f32_e32 v18, v37, v34
	v_fma_f32 v15, -v39, v35, v15
	v_fmac_f32_e32 v17, v38, v35
	v_fma_f32 v7, -v37, v35, v7
	v_fmac_f32_e32 v18, v36, v35
	global_load_dwordx2 v[34:35], v[13:14], off
	global_load_dwordx2 v[36:37], v[28:29], off
	global_load_dwordx2 v[38:39], v[32:33], off
	v_lshlrev_b64 v[13:14], 3, v[10:11]
	v_add_u32_e32 v10, -3, v8
	v_lshlrev_b64 v[28:29], 3, v[10:11]
	v_add_co_u32_e32 v13, vcc, s14, v13
	v_add_u32_e32 v10, -15, v8
	v_addc_co_u32_e32 v14, vcc, v23, v14, vcc
	v_add_co_u32_e32 v28, vcc, s12, v28
	v_lshlrev_b64 v[9:10], 3, v[10:11]
	v_addc_co_u32_e32 v29, vcc, v22, v29, vcc
	v_add_co_u32_e32 v32, vcc, s12, v9
	v_addc_co_u32_e32 v33, vcc, v22, v10, vcc
	v_add_u32_e32 v10, 10, v12
	s_waitcnt vmcnt(2)
	v_fmac_f32_e32 v15, v40, v34
	v_fmac_f32_e32 v17, v41, v34
	s_waitcnt vmcnt(1)
	v_fmac_f32_e32 v7, v36, v34
	v_fmac_f32_e32 v18, v37, v34
	v_fma_f32 v15, -v41, v35, v15
	v_fmac_f32_e32 v17, v40, v35
	v_fma_f32 v7, -v37, v35, v7
	v_fmac_f32_e32 v18, v36, v35
	global_load_dwordx2 v[34:35], v[19:20], off
	global_load_dwordx2 v[36:37], v[24:25], off
	global_load_dwordx2 v[40:41], v[26:27], off
	;; [unrolled: 25-line block ×3, first 2 shown]
	v_lshlrev_b64 v[13:14], 3, v[10:11]
	v_add_u32_e32 v10, -1, v8
	v_lshlrev_b64 v[28:29], 3, v[10:11]
	v_add_co_u32_e32 v13, vcc, s14, v13
	v_add_u32_e32 v10, -13, v8
	v_addc_co_u32_e32 v14, vcc, v23, v14, vcc
	v_lshlrev_b64 v[32:33], 3, v[10:11]
	v_add_co_u32_e32 v28, vcc, s12, v28
	v_add_u32_e32 v10, 12, v12
	v_addc_co_u32_e32 v29, vcc, v22, v29, vcc
	v_add_co_u32_e32 v32, vcc, s12, v32
	v_lshlrev_b64 v[9:10], 3, v[10:11]
	v_addc_co_u32_e32 v33, vcc, v22, v33, vcc
	v_add_co_u32_e32 v9, vcc, s14, v9
	v_addc_co_u32_e32 v10, vcc, v23, v10, vcc
	v_cmp_ge_i32_e32 vcc, v6, v16
	s_or_b64 s[0:1], vcc, s[0:1]
	v_add_u32_e32 v8, 0x1a0, v8
	s_waitcnt vmcnt(2)
	v_fmac_f32_e32 v15, v40, v34
	v_fmac_f32_e32 v17, v41, v34
	s_waitcnt vmcnt(1)
	v_fmac_f32_e32 v7, v36, v34
	v_fmac_f32_e32 v18, v37, v34
	v_fma_f32 v15, -v41, v35, v15
	v_fmac_f32_e32 v17, v40, v35
	v_fma_f32 v7, -v37, v35, v7
	v_fmac_f32_e32 v18, v36, v35
	global_load_dwordx2 v[34:35], v[30:31], off
	global_load_dwordx2 v[36:37], v[19:20], off
	;; [unrolled: 1-line block ×8, first 2 shown]
	s_waitcnt vmcnt(6)
	v_fmac_f32_e32 v15, v38, v36
	v_fmac_f32_e32 v17, v39, v36
	s_waitcnt vmcnt(5)
	v_fmac_f32_e32 v7, v40, v36
	v_fmac_f32_e32 v18, v41, v36
	v_fma_f32 v9, -v39, v37, v15
	v_fmac_f32_e32 v17, v38, v37
	v_fma_f32 v7, -v41, v37, v7
	v_fmac_f32_e32 v18, v40, v37
	s_waitcnt vmcnt(3)
	v_fmac_f32_e32 v9, v42, v44
	v_fmac_f32_e32 v17, v43, v44
	s_waitcnt vmcnt(2)
	v_fmac_f32_e32 v7, v46, v44
	v_fmac_f32_e32 v18, v47, v44
	v_fma_f32 v9, -v43, v45, v9
	v_fmac_f32_e32 v17, v42, v45
	v_fma_f32 v7, -v47, v45, v7
	v_fmac_f32_e32 v18, v46, v45
	s_waitcnt vmcnt(0)
	v_fmac_f32_e32 v9, v48, v50
	v_fmac_f32_e32 v17, v49, v50
	;; [unrolled: 1-line block ×4, first 2 shown]
	v_fma_f32 v19, -v49, v51, v9
	v_fmac_f32_e32 v17, v48, v51
	v_fma_f32 v20, -v35, v51, v7
	v_fmac_f32_e32 v18, v34, v51
	s_andn2_b64 exec, exec, s[0:1]
	s_cbranch_execnz .LBB209_17
; %bb.18:
	s_or_b64 exec, exec, s[0:1]
.LBB209_19:
	s_or_b64 exec, exec, s[6:7]
.LBB209_20:
	v_mov_b32_dpp v6, v19 row_shr:1 row_mask:0xf bank_mask:0xf
	v_mov_b32_dpp v8, v17 row_shr:1 row_mask:0xf bank_mask:0xf
	v_mov_b32_dpp v10, v20 row_shr:1 row_mask:0xf bank_mask:0xf
	v_mov_b32_dpp v12, v18 row_shr:1 row_mask:0xf bank_mask:0xf
	v_add_f32_e32 v6, v19, v6
	v_add_f32_e32 v8, v17, v8
	v_add_f32_e32 v10, v20, v10
	v_add_f32_e32 v12, v18, v12
	v_mov_b32_dpp v7, v6 row_shr:2 row_mask:0xf bank_mask:0xf
	v_mov_b32_dpp v9, v8 row_shr:2 row_mask:0xf bank_mask:0xf
	v_mov_b32_dpp v11, v10 row_shr:2 row_mask:0xf bank_mask:0xf
	v_mov_b32_dpp v13, v12 row_shr:2 row_mask:0xf bank_mask:0xf
	v_add_f32_e32 v6, v6, v7
	v_add_f32_e32 v8, v8, v9
	v_add_f32_e32 v10, v10, v11
	v_add_f32_e32 v12, v12, v13
	;; [unrolled: 8-line block ×3, first 2 shown]
	v_mov_b32_dpp v7, v6 row_shr:8 row_mask:0xf bank_mask:0xc
	v_mov_b32_dpp v9, v8 row_shr:8 row_mask:0xf bank_mask:0xc
	;; [unrolled: 1-line block ×4, first 2 shown]
	v_cmp_eq_u32_e32 vcc, 15, v0
	s_and_b64 exec, exec, vcc
	s_cbranch_execz .LBB209_25
; %bb.21:
	s_load_dwordx2 s[2:3], s[4:5], 0x38
	v_cmp_eq_f32_e32 vcc, 0, v3
	v_cmp_eq_f32_e64 s[0:1], 0, v4
	v_add_f32_e32 v7, v6, v7
	v_add_f32_e32 v8, v8, v9
	v_add_f32_e32 v0, v10, v11
	v_add_f32_e32 v6, v12, v13
	s_and_b64 s[0:1], vcc, s[0:1]
	s_and_saveexec_b64 s[4:5], s[0:1]
	s_xor_b64 s[0:1], exec, s[4:5]
	s_cbranch_execz .LBB209_23
; %bb.22:
	v_mul_f32_e64 v3, v8, -v2
	v_mul_f32_e32 v4, v1, v8
	v_fmac_f32_e32 v3, v1, v7
	v_fmac_f32_e32 v4, v2, v7
	v_lshlrev_b32_e32 v7, 1, v5
	v_ashrrev_i32_e32 v8, 31, v7
	v_lshlrev_b64 v[7:8], 3, v[7:8]
	s_waitcnt lgkmcnt(0)
	v_mov_b32_e32 v5, s3
	v_add_co_u32_e32 v7, vcc, s2, v7
	v_addc_co_u32_e32 v8, vcc, v5, v8, vcc
	v_mul_f32_e64 v5, v6, -v2
	v_mul_f32_e32 v6, v1, v6
	v_fmac_f32_e32 v5, v1, v0
	v_fmac_f32_e32 v6, v2, v0
	global_store_dwordx4 v[7:8], v[3:6], off
                                        ; implicit-def: $vgpr5
                                        ; implicit-def: $vgpr1_vgpr2
                                        ; implicit-def: $vgpr8
                                        ; implicit-def: $vgpr7
                                        ; implicit-def: $vgpr3_vgpr4
                                        ; implicit-def: $vgpr6
                                        ; implicit-def: $vgpr0
.LBB209_23:
	s_andn2_saveexec_b64 s[0:1], s[0:1]
	s_cbranch_execz .LBB209_25
; %bb.24:
	v_lshlrev_b32_e32 v9, 1, v5
	v_ashrrev_i32_e32 v10, 31, v9
	v_lshlrev_b64 v[9:10], 3, v[9:10]
	s_waitcnt lgkmcnt(0)
	v_mov_b32_e32 v5, s3
	v_add_co_u32_e32 v17, vcc, s2, v9
	v_addc_co_u32_e32 v18, vcc, v5, v10, vcc
	global_load_dwordx4 v[9:12], v[17:18], off
	v_mul_f32_e64 v5, v8, -v2
	v_mul_f32_e32 v14, v1, v8
	v_mul_f32_e64 v8, v6, -v2
	v_mul_f32_e32 v16, v1, v6
	v_fmac_f32_e32 v5, v1, v7
	v_fmac_f32_e32 v14, v2, v7
	;; [unrolled: 1-line block ×4, first 2 shown]
	s_waitcnt vmcnt(0)
	v_fmac_f32_e32 v5, v3, v9
	v_fmac_f32_e32 v14, v4, v9
	v_fmac_f32_e32 v8, v3, v11
	v_fmac_f32_e32 v16, v4, v11
	v_fma_f32 v13, -v4, v10, v5
	v_fmac_f32_e32 v14, v3, v10
	v_fma_f32 v15, -v4, v12, v8
	v_fmac_f32_e32 v16, v3, v12
	global_store_dwordx4 v[17:18], v[13:16], off
.LBB209_25:
	s_endpgm
	.section	.rodata,"a",@progbits
	.p2align	6, 0x0
	.amdhsa_kernel _ZN9rocsparseL19gebsrmvn_2xn_kernelILj128ELj13ELj16E21rocsparse_complex_numIfEEEvi20rocsparse_direction_NS_24const_host_device_scalarIT2_EEPKiS8_PKS5_SA_S6_PS5_21rocsparse_index_base_b
		.amdhsa_group_segment_fixed_size 0
		.amdhsa_private_segment_fixed_size 0
		.amdhsa_kernarg_size 72
		.amdhsa_user_sgpr_count 6
		.amdhsa_user_sgpr_private_segment_buffer 1
		.amdhsa_user_sgpr_dispatch_ptr 0
		.amdhsa_user_sgpr_queue_ptr 0
		.amdhsa_user_sgpr_kernarg_segment_ptr 1
		.amdhsa_user_sgpr_dispatch_id 0
		.amdhsa_user_sgpr_flat_scratch_init 0
		.amdhsa_user_sgpr_private_segment_size 0
		.amdhsa_uses_dynamic_stack 0
		.amdhsa_system_sgpr_private_segment_wavefront_offset 0
		.amdhsa_system_sgpr_workgroup_id_x 1
		.amdhsa_system_sgpr_workgroup_id_y 0
		.amdhsa_system_sgpr_workgroup_id_z 0
		.amdhsa_system_sgpr_workgroup_info 0
		.amdhsa_system_vgpr_workitem_id 0
		.amdhsa_next_free_vgpr 52
		.amdhsa_next_free_sgpr 16
		.amdhsa_reserve_vcc 1
		.amdhsa_reserve_flat_scratch 0
		.amdhsa_float_round_mode_32 0
		.amdhsa_float_round_mode_16_64 0
		.amdhsa_float_denorm_mode_32 3
		.amdhsa_float_denorm_mode_16_64 3
		.amdhsa_dx10_clamp 1
		.amdhsa_ieee_mode 1
		.amdhsa_fp16_overflow 0
		.amdhsa_exception_fp_ieee_invalid_op 0
		.amdhsa_exception_fp_denorm_src 0
		.amdhsa_exception_fp_ieee_div_zero 0
		.amdhsa_exception_fp_ieee_overflow 0
		.amdhsa_exception_fp_ieee_underflow 0
		.amdhsa_exception_fp_ieee_inexact 0
		.amdhsa_exception_int_div_zero 0
	.end_amdhsa_kernel
	.section	.text._ZN9rocsparseL19gebsrmvn_2xn_kernelILj128ELj13ELj16E21rocsparse_complex_numIfEEEvi20rocsparse_direction_NS_24const_host_device_scalarIT2_EEPKiS8_PKS5_SA_S6_PS5_21rocsparse_index_base_b,"axG",@progbits,_ZN9rocsparseL19gebsrmvn_2xn_kernelILj128ELj13ELj16E21rocsparse_complex_numIfEEEvi20rocsparse_direction_NS_24const_host_device_scalarIT2_EEPKiS8_PKS5_SA_S6_PS5_21rocsparse_index_base_b,comdat
.Lfunc_end209:
	.size	_ZN9rocsparseL19gebsrmvn_2xn_kernelILj128ELj13ELj16E21rocsparse_complex_numIfEEEvi20rocsparse_direction_NS_24const_host_device_scalarIT2_EEPKiS8_PKS5_SA_S6_PS5_21rocsparse_index_base_b, .Lfunc_end209-_ZN9rocsparseL19gebsrmvn_2xn_kernelILj128ELj13ELj16E21rocsparse_complex_numIfEEEvi20rocsparse_direction_NS_24const_host_device_scalarIT2_EEPKiS8_PKS5_SA_S6_PS5_21rocsparse_index_base_b
                                        ; -- End function
	.set _ZN9rocsparseL19gebsrmvn_2xn_kernelILj128ELj13ELj16E21rocsparse_complex_numIfEEEvi20rocsparse_direction_NS_24const_host_device_scalarIT2_EEPKiS8_PKS5_SA_S6_PS5_21rocsparse_index_base_b.num_vgpr, 52
	.set _ZN9rocsparseL19gebsrmvn_2xn_kernelILj128ELj13ELj16E21rocsparse_complex_numIfEEEvi20rocsparse_direction_NS_24const_host_device_scalarIT2_EEPKiS8_PKS5_SA_S6_PS5_21rocsparse_index_base_b.num_agpr, 0
	.set _ZN9rocsparseL19gebsrmvn_2xn_kernelILj128ELj13ELj16E21rocsparse_complex_numIfEEEvi20rocsparse_direction_NS_24const_host_device_scalarIT2_EEPKiS8_PKS5_SA_S6_PS5_21rocsparse_index_base_b.numbered_sgpr, 16
	.set _ZN9rocsparseL19gebsrmvn_2xn_kernelILj128ELj13ELj16E21rocsparse_complex_numIfEEEvi20rocsparse_direction_NS_24const_host_device_scalarIT2_EEPKiS8_PKS5_SA_S6_PS5_21rocsparse_index_base_b.num_named_barrier, 0
	.set _ZN9rocsparseL19gebsrmvn_2xn_kernelILj128ELj13ELj16E21rocsparse_complex_numIfEEEvi20rocsparse_direction_NS_24const_host_device_scalarIT2_EEPKiS8_PKS5_SA_S6_PS5_21rocsparse_index_base_b.private_seg_size, 0
	.set _ZN9rocsparseL19gebsrmvn_2xn_kernelILj128ELj13ELj16E21rocsparse_complex_numIfEEEvi20rocsparse_direction_NS_24const_host_device_scalarIT2_EEPKiS8_PKS5_SA_S6_PS5_21rocsparse_index_base_b.uses_vcc, 1
	.set _ZN9rocsparseL19gebsrmvn_2xn_kernelILj128ELj13ELj16E21rocsparse_complex_numIfEEEvi20rocsparse_direction_NS_24const_host_device_scalarIT2_EEPKiS8_PKS5_SA_S6_PS5_21rocsparse_index_base_b.uses_flat_scratch, 0
	.set _ZN9rocsparseL19gebsrmvn_2xn_kernelILj128ELj13ELj16E21rocsparse_complex_numIfEEEvi20rocsparse_direction_NS_24const_host_device_scalarIT2_EEPKiS8_PKS5_SA_S6_PS5_21rocsparse_index_base_b.has_dyn_sized_stack, 0
	.set _ZN9rocsparseL19gebsrmvn_2xn_kernelILj128ELj13ELj16E21rocsparse_complex_numIfEEEvi20rocsparse_direction_NS_24const_host_device_scalarIT2_EEPKiS8_PKS5_SA_S6_PS5_21rocsparse_index_base_b.has_recursion, 0
	.set _ZN9rocsparseL19gebsrmvn_2xn_kernelILj128ELj13ELj16E21rocsparse_complex_numIfEEEvi20rocsparse_direction_NS_24const_host_device_scalarIT2_EEPKiS8_PKS5_SA_S6_PS5_21rocsparse_index_base_b.has_indirect_call, 0
	.section	.AMDGPU.csdata,"",@progbits
; Kernel info:
; codeLenInByte = 3260
; TotalNumSgprs: 20
; NumVgprs: 52
; ScratchSize: 0
; MemoryBound: 0
; FloatMode: 240
; IeeeMode: 1
; LDSByteSize: 0 bytes/workgroup (compile time only)
; SGPRBlocks: 2
; VGPRBlocks: 12
; NumSGPRsForWavesPerEU: 20
; NumVGPRsForWavesPerEU: 52
; Occupancy: 4
; WaveLimiterHint : 1
; COMPUTE_PGM_RSRC2:SCRATCH_EN: 0
; COMPUTE_PGM_RSRC2:USER_SGPR: 6
; COMPUTE_PGM_RSRC2:TRAP_HANDLER: 0
; COMPUTE_PGM_RSRC2:TGID_X_EN: 1
; COMPUTE_PGM_RSRC2:TGID_Y_EN: 0
; COMPUTE_PGM_RSRC2:TGID_Z_EN: 0
; COMPUTE_PGM_RSRC2:TIDIG_COMP_CNT: 0
	.section	.text._ZN9rocsparseL19gebsrmvn_2xn_kernelILj128ELj13ELj32E21rocsparse_complex_numIfEEEvi20rocsparse_direction_NS_24const_host_device_scalarIT2_EEPKiS8_PKS5_SA_S6_PS5_21rocsparse_index_base_b,"axG",@progbits,_ZN9rocsparseL19gebsrmvn_2xn_kernelILj128ELj13ELj32E21rocsparse_complex_numIfEEEvi20rocsparse_direction_NS_24const_host_device_scalarIT2_EEPKiS8_PKS5_SA_S6_PS5_21rocsparse_index_base_b,comdat
	.globl	_ZN9rocsparseL19gebsrmvn_2xn_kernelILj128ELj13ELj32E21rocsparse_complex_numIfEEEvi20rocsparse_direction_NS_24const_host_device_scalarIT2_EEPKiS8_PKS5_SA_S6_PS5_21rocsparse_index_base_b ; -- Begin function _ZN9rocsparseL19gebsrmvn_2xn_kernelILj128ELj13ELj32E21rocsparse_complex_numIfEEEvi20rocsparse_direction_NS_24const_host_device_scalarIT2_EEPKiS8_PKS5_SA_S6_PS5_21rocsparse_index_base_b
	.p2align	8
	.type	_ZN9rocsparseL19gebsrmvn_2xn_kernelILj128ELj13ELj32E21rocsparse_complex_numIfEEEvi20rocsparse_direction_NS_24const_host_device_scalarIT2_EEPKiS8_PKS5_SA_S6_PS5_21rocsparse_index_base_b,@function
_ZN9rocsparseL19gebsrmvn_2xn_kernelILj128ELj13ELj32E21rocsparse_complex_numIfEEEvi20rocsparse_direction_NS_24const_host_device_scalarIT2_EEPKiS8_PKS5_SA_S6_PS5_21rocsparse_index_base_b: ; @_ZN9rocsparseL19gebsrmvn_2xn_kernelILj128ELj13ELj32E21rocsparse_complex_numIfEEEvi20rocsparse_direction_NS_24const_host_device_scalarIT2_EEPKiS8_PKS5_SA_S6_PS5_21rocsparse_index_base_b
; %bb.0:
	s_load_dwordx2 s[0:1], s[4:5], 0x8
	s_load_dwordx2 s[8:9], s[4:5], 0x30
	;; [unrolled: 1-line block ×3, first 2 shown]
	s_add_u32 s7, s4, 8
	s_addc_u32 s10, s5, 0
	s_add_u32 s11, s4, 48
	s_addc_u32 s12, s5, 0
	s_waitcnt lgkmcnt(0)
	s_bitcmp1_b32 s3, 0
	s_cselect_b32 s1, s10, s1
	s_cselect_b32 s0, s7, s0
	v_mov_b32_e32 v1, s0
	v_mov_b32_e32 v2, s1
	flat_load_dwordx2 v[1:2], v[1:2]
	s_cselect_b32 s0, s12, s9
	s_cselect_b32 s1, s11, s8
	v_mov_b32_e32 v3, s1
	v_mov_b32_e32 v4, s0
	flat_load_dwordx2 v[3:4], v[3:4]
	s_waitcnt vmcnt(0) lgkmcnt(0)
	v_cmp_eq_f32_e32 vcc, 0, v1
	v_cmp_eq_f32_e64 s[0:1], 0, v2
	s_and_b64 s[10:11], vcc, s[0:1]
	s_mov_b64 s[0:1], -1
	s_and_saveexec_b64 s[8:9], s[10:11]
; %bb.1:
	v_cmp_neq_f32_e32 vcc, 1.0, v3
	v_cmp_neq_f32_e64 s[0:1], 0, v4
	s_or_b64 s[0:1], vcc, s[0:1]
	s_orn2_b64 s[0:1], s[0:1], exec
; %bb.2:
	s_or_b64 exec, exec, s[8:9]
	s_and_saveexec_b64 s[8:9], s[0:1]
	s_cbranch_execz .LBB210_25
; %bb.3:
	s_load_dwordx2 s[0:1], s[4:5], 0x0
	v_lshrrev_b32_e32 v5, 5, v0
	v_lshl_or_b32 v5, s6, 2, v5
	s_waitcnt lgkmcnt(0)
	v_cmp_gt_i32_e32 vcc, s0, v5
	s_and_b64 exec, exec, vcc
	s_cbranch_execz .LBB210_25
; %bb.4:
	s_load_dwordx8 s[8:15], s[4:5], 0x10
	v_ashrrev_i32_e32 v6, 31, v5
	v_lshlrev_b64 v[6:7], 2, v[5:6]
	v_and_b32_e32 v0, 31, v0
	s_cmp_lg_u32 s1, 0
	s_waitcnt lgkmcnt(0)
	v_mov_b32_e32 v8, s9
	v_add_co_u32_e32 v6, vcc, s8, v6
	v_addc_co_u32_e32 v7, vcc, v8, v7, vcc
	global_load_dwordx2 v[7:8], v[6:7], off
	s_waitcnt vmcnt(0)
	v_subrev_u32_e32 v6, s2, v7
	v_subrev_u32_e32 v16, s2, v8
	v_add_u32_e32 v6, v6, v0
	v_cmp_lt_i32_e64 s[0:1], v6, v16
	s_cbranch_scc0 .LBB210_12
; %bb.5:
	v_mov_b32_e32 v18, 0
	v_mov_b32_e32 v20, 0
	;; [unrolled: 1-line block ×4, first 2 shown]
	s_and_saveexec_b64 s[6:7], s[0:1]
	s_cbranch_execz .LBB210_14
; %bb.6:
	v_mul_lo_u32 v7, v7, 26
	v_mul_lo_u32 v12, v6, 26
	s_mul_i32 s3, s2, 26
	v_mov_b32_e32 v8, 0
	v_mad_u32_u24 v7, v0, 26, v7
	v_subrev_u32_e32 v13, s3, v7
	s_mov_b64 s[8:9], 0
	v_mov_b32_e32 v14, s11
	v_mov_b32_e32 v15, s13
	v_mov_b32_e32 v21, s15
	v_mov_b32_e32 v9, v6
	v_mov_b32_e32 v18, 0
	v_mov_b32_e32 v20, 0
	v_mov_b32_e32 v19, 0
	v_mov_b32_e32 v17, 0
	s_branch .LBB210_8
.LBB210_7:                              ;   in Loop: Header=BB210_8 Depth=1
	v_add_u32_e32 v9, 32, v9
	v_cmp_ge_i32_e32 vcc, v9, v16
	v_add_u32_e32 v12, 0x340, v12
	s_or_b64 s[8:9], vcc, s[8:9]
	v_add_u32_e32 v13, 0x340, v13
	s_andn2_b64 exec, exec, s[8:9]
	s_cbranch_execz .LBB210_13
.LBB210_8:                              ; =>This Loop Header: Depth=1
                                        ;     Child Loop BB210_10 Depth 2
	v_ashrrev_i32_e32 v10, 31, v9
	v_lshlrev_b64 v[10:11], 2, v[9:10]
	s_mov_b32 s3, 0
	v_add_co_u32_e32 v10, vcc, s10, v10
	v_addc_co_u32_e32 v11, vcc, v14, v11, vcc
	global_load_dword v7, v[10:11], off
	v_mov_b32_e32 v22, v18
	v_mov_b32_e32 v24, v20
	;; [unrolled: 1-line block ×4, first 2 shown]
	s_waitcnt vmcnt(0)
	v_subrev_u32_e32 v7, s2, v7
	v_mul_lo_u32 v10, v7, 13
	s_branch .LBB210_10
.LBB210_9:                              ;   in Loop: Header=BB210_8 Depth=1
                                        ; implicit-def: $vgpr23
                                        ; implicit-def: $vgpr25
                                        ; implicit-def: $vgpr24
                                        ; implicit-def: $vgpr22
                                        ; implicit-def: $sgpr3
                                        ; implicit-def: $vgpr10
	s_branch .LBB210_7
.LBB210_10:                             ;   Parent Loop BB210_8 Depth=1
                                        ; =>  This Inner Loop Header: Depth=2
	v_add_u32_e32 v7, s3, v13
	v_lshlrev_b64 v[17:18], 3, v[7:8]
	v_mov_b32_e32 v11, v8
	v_add_co_u32_e32 v17, vcc, s12, v17
	v_addc_co_u32_e32 v18, vcc, v15, v18, vcc
	global_load_dwordx4 v[26:29], v[17:18], off
	v_lshlrev_b64 v[17:18], 3, v[10:11]
	s_cmp_eq_u32 s3, 24
	v_add_co_u32_e32 v17, vcc, s14, v17
	v_addc_co_u32_e32 v18, vcc, v21, v18, vcc
	global_load_dwordx2 v[30:31], v[17:18], off
	s_waitcnt vmcnt(0)
	v_fmac_f32_e32 v22, v27, v30
	v_fmac_f32_e32 v23, v29, v30
	;; [unrolled: 1-line block ×4, first 2 shown]
	v_mov_b32_e32 v18, v22
	v_mov_b32_e32 v17, v23
	v_fma_f32 v20, -v27, v31, v24
	v_fma_f32 v19, -v29, v31, v25
	v_fmac_f32_e32 v18, v26, v31
	v_fmac_f32_e32 v17, v28, v31
	s_cbranch_scc1 .LBB210_9
; %bb.11:                               ;   in Loop: Header=BB210_10 Depth=2
	v_add_u32_e32 v11, s3, v12
	v_add_u32_e32 v7, 2, v11
	v_lshlrev_b64 v[22:23], 3, v[7:8]
	v_mov_b32_e32 v34, s13
	v_add_co_u32_e32 v22, vcc, s12, v22
	v_addc_co_u32_e32 v23, vcc, v34, v23, vcc
	v_add_u32_e32 v7, 1, v10
	global_load_dwordx4 v[24:27], v[22:23], off
	v_lshlrev_b64 v[22:23], 3, v[7:8]
	v_mov_b32_e32 v35, s15
	v_add_co_u32_e32 v22, vcc, s14, v22
	v_addc_co_u32_e32 v23, vcc, v35, v23, vcc
	v_add_u32_e32 v7, 4, v11
	global_load_dwordx2 v[36:37], v[22:23], off
	v_lshlrev_b64 v[22:23], 3, v[7:8]
	v_add_u32_e32 v7, 2, v10
	v_lshlrev_b64 v[28:29], 3, v[7:8]
	v_add_co_u32_e32 v22, vcc, s12, v22
	v_addc_co_u32_e32 v23, vcc, v34, v23, vcc
	v_add_u32_e32 v7, 6, v11
	v_add_co_u32_e32 v32, vcc, s14, v28
	v_addc_co_u32_e32 v33, vcc, v35, v29, vcc
	global_load_dwordx4 v[28:31], v[22:23], off
	global_load_dwordx2 v[38:39], v[32:33], off
	v_lshlrev_b64 v[22:23], 3, v[7:8]
	v_add_u32_e32 v7, 3, v10
	v_lshlrev_b64 v[32:33], 3, v[7:8]
	v_add_co_u32_e32 v22, vcc, s12, v22
	v_addc_co_u32_e32 v23, vcc, v34, v23, vcc
	v_add_co_u32_e32 v40, vcc, s14, v32
	v_addc_co_u32_e32 v41, vcc, v35, v33, vcc
	global_load_dwordx4 v[32:35], v[22:23], off
	global_load_dwordx2 v[42:43], v[40:41], off
	s_add_i32 s3, s3, 8
	v_add_u32_e32 v10, 4, v10
	s_waitcnt vmcnt(4)
	v_fma_f32 v7, v24, v36, v20
	v_fma_f32 v22, v25, v36, v18
	;; [unrolled: 1-line block ×4, first 2 shown]
	v_fma_f32 v7, -v25, v37, v7
	v_fmac_f32_e32 v22, v24, v37
	v_fma_f32 v11, -v27, v37, v11
	v_fmac_f32_e32 v23, v26, v37
	s_waitcnt vmcnt(2)
	v_fmac_f32_e32 v7, v28, v38
	v_fmac_f32_e32 v22, v29, v38
	;; [unrolled: 1-line block ×4, first 2 shown]
	v_fma_f32 v7, -v29, v39, v7
	v_fmac_f32_e32 v22, v28, v39
	v_fma_f32 v11, -v31, v39, v11
	v_fmac_f32_e32 v23, v30, v39
	s_waitcnt vmcnt(0)
	v_fmac_f32_e32 v7, v32, v42
	v_fmac_f32_e32 v22, v33, v42
	;; [unrolled: 1-line block ×4, first 2 shown]
	v_fma_f32 v24, -v33, v43, v7
	v_fmac_f32_e32 v22, v32, v43
	v_fma_f32 v25, -v35, v43, v11
	v_fmac_f32_e32 v23, v34, v43
	s_cbranch_execnz .LBB210_10
	s_branch .LBB210_7
.LBB210_12:
                                        ; implicit-def: $vgpr18
                                        ; implicit-def: $vgpr20
                                        ; implicit-def: $vgpr19
                                        ; implicit-def: $vgpr17
	s_branch .LBB210_15
.LBB210_13:
	s_or_b64 exec, exec, s[8:9]
.LBB210_14:
	s_or_b64 exec, exec, s[6:7]
	s_cbranch_execnz .LBB210_20
.LBB210_15:
	v_mov_b32_e32 v18, 0
	v_mov_b32_e32 v20, 0
	v_mov_b32_e32 v19, 0
	v_mov_b32_e32 v17, 0
	s_and_saveexec_b64 s[6:7], s[0:1]
	s_cbranch_execz .LBB210_19
; %bb.16:
	v_mad_u64_u32 v[8:9], s[0:1], v6, 26, 25
	v_mov_b32_e32 v11, 0
	s_mov_b64 s[0:1], 0
	v_mov_b32_e32 v21, s11
	v_mov_b32_e32 v22, s13
	;; [unrolled: 1-line block ×7, first 2 shown]
.LBB210_17:                             ; =>This Inner Loop Header: Depth=1
	v_ashrrev_i32_e32 v7, 31, v6
	v_lshlrev_b64 v[24:25], 2, v[6:7]
	v_subrev_u32_e32 v10, 25, v8
	v_add_co_u32_e32 v24, vcc, s10, v24
	v_addc_co_u32_e32 v25, vcc, v21, v25, vcc
	global_load_dword v7, v[24:25], off
	v_lshlrev_b64 v[26:27], 3, v[10:11]
	v_add_u32_e32 v14, -12, v8
	v_mov_b32_e32 v15, v11
	v_lshlrev_b64 v[14:15], 3, v[14:15]
	v_add_co_u32_e32 v28, vcc, s12, v26
	v_mov_b32_e32 v9, v11
	v_addc_co_u32_e32 v29, vcc, v22, v27, vcc
	v_lshlrev_b64 v[9:10], 3, v[8:9]
	v_add_co_u32_e32 v14, vcc, s12, v14
	v_mov_b32_e32 v13, v11
	v_addc_co_u32_e32 v15, vcc, v22, v15, vcc
	v_add_co_u32_e32 v30, vcc, s12, v9
	v_addc_co_u32_e32 v31, vcc, v22, v10, vcc
	v_add_u32_e32 v6, 32, v6
	s_waitcnt vmcnt(0)
	v_subrev_u32_e32 v7, s2, v7
	v_mul_lo_u32 v12, v7, 13
	v_lshlrev_b64 v[24:25], 3, v[12:13]
	v_add_u32_e32 v10, 1, v12
	v_lshlrev_b64 v[26:27], 3, v[10:11]
	v_add_co_u32_e32 v24, vcc, s14, v24
	v_add_u32_e32 v10, -11, v8
	v_addc_co_u32_e32 v25, vcc, v23, v25, vcc
	v_lshlrev_b64 v[32:33], 3, v[10:11]
	v_add_co_u32_e32 v34, vcc, s14, v26
	v_subrev_u32_e32 v10, 23, v8
	v_addc_co_u32_e32 v35, vcc, v23, v27, vcc
	v_lshlrev_b64 v[26:27], 3, v[10:11]
	v_add_co_u32_e32 v32, vcc, s12, v32
	v_add_u32_e32 v10, 2, v12
	v_addc_co_u32_e32 v33, vcc, v22, v33, vcc
	v_add_co_u32_e32 v36, vcc, s12, v26
	v_lshlrev_b64 v[9:10], 3, v[10:11]
	v_addc_co_u32_e32 v37, vcc, v22, v27, vcc
	v_add_co_u32_e32 v38, vcc, s14, v9
	v_addc_co_u32_e32 v39, vcc, v23, v10, vcc
	global_load_dwordx2 v[9:10], v[14:15], off
	global_load_dwordx2 v[40:41], v[24:25], off
	s_nop 0
	global_load_dwordx4 v[24:27], v[28:29], off
	global_load_dwordx2 v[13:14], v[34:35], off
	s_waitcnt vmcnt(2)
	v_fmac_f32_e32 v19, v9, v40
	v_fmac_f32_e32 v17, v10, v40
	v_fma_f32 v7, -v10, v41, v19
	v_add_u32_e32 v10, -10, v8
	global_load_dwordx2 v[28:29], v[32:33], off
	s_waitcnt vmcnt(2)
	v_fmac_f32_e32 v20, v24, v40
	v_fmac_f32_e32 v18, v25, v40
	;; [unrolled: 1-line block ×3, first 2 shown]
	v_fma_f32 v9, -v25, v41, v20
	v_fmac_f32_e32 v18, v24, v41
	v_lshlrev_b64 v[19:20], 3, v[10:11]
	v_subrev_u32_e32 v10, 22, v8
	s_waitcnt vmcnt(1)
	v_fmac_f32_e32 v9, v26, v13
	v_fmac_f32_e32 v18, v27, v13
	v_fma_f32 v15, -v27, v14, v9
	v_fmac_f32_e32 v18, v26, v14
	v_lshlrev_b64 v[26:27], 3, v[10:11]
	v_add_co_u32_e32 v19, vcc, s12, v19
	v_addc_co_u32_e32 v20, vcc, v22, v20, vcc
	global_load_dwordx2 v[24:25], v[36:37], off
	v_add_co_u32_e32 v26, vcc, s12, v26
	v_addc_co_u32_e32 v27, vcc, v22, v27, vcc
	global_load_dwordx2 v[34:35], v[38:39], off
	global_load_dwordx2 v[36:37], v[19:20], off
	;; [unrolled: 1-line block ×3, first 2 shown]
	v_add_u32_e32 v10, 3, v12
	v_lshlrev_b64 v[32:33], 3, v[10:11]
	v_add_u32_e32 v10, -9, v8
	s_waitcnt vmcnt(4)
	v_fmac_f32_e32 v7, v28, v13
	v_fmac_f32_e32 v17, v29, v13
	v_fma_f32 v7, -v29, v14, v7
	v_fmac_f32_e32 v17, v28, v14
	v_lshlrev_b64 v[13:14], 3, v[10:11]
	v_add_co_u32_e32 v28, vcc, s14, v32
	v_subrev_u32_e32 v10, 21, v8
	v_addc_co_u32_e32 v29, vcc, v23, v33, vcc
	v_add_co_u32_e32 v13, vcc, s12, v13
	v_lshlrev_b64 v[9:10], 3, v[10:11]
	v_addc_co_u32_e32 v14, vcc, v22, v14, vcc
	v_add_co_u32_e32 v32, vcc, s12, v9
	v_addc_co_u32_e32 v33, vcc, v22, v10, vcc
	v_add_u32_e32 v10, 4, v12
	s_waitcnt vmcnt(2)
	v_fmac_f32_e32 v15, v24, v34
	v_fmac_f32_e32 v18, v25, v34
	s_waitcnt vmcnt(1)
	v_fmac_f32_e32 v7, v36, v34
	v_fmac_f32_e32 v17, v37, v34
	v_fma_f32 v15, -v25, v35, v15
	v_fmac_f32_e32 v18, v24, v35
	v_fma_f32 v7, -v37, v35, v7
	v_fmac_f32_e32 v17, v36, v35
	global_load_dwordx2 v[34:35], v[28:29], off
	global_load_dwordx2 v[36:37], v[13:14], off
	;; [unrolled: 1-line block ×3, first 2 shown]
	v_lshlrev_b64 v[19:20], 3, v[10:11]
	v_add_u32_e32 v10, -8, v8
	v_lshlrev_b64 v[24:25], 3, v[10:11]
	v_add_co_u32_e32 v19, vcc, s14, v19
	v_subrev_u32_e32 v10, 20, v8
	v_addc_co_u32_e32 v20, vcc, v23, v20, vcc
	v_add_co_u32_e32 v24, vcc, s12, v24
	v_lshlrev_b64 v[9:10], 3, v[10:11]
	v_addc_co_u32_e32 v25, vcc, v22, v25, vcc
	v_add_co_u32_e32 v26, vcc, s12, v9
	v_addc_co_u32_e32 v27, vcc, v22, v10, vcc
	v_add_u32_e32 v10, 5, v12
	v_lshlrev_b64 v[13:14], 3, v[10:11]
	v_add_u32_e32 v10, -7, v8
	v_lshlrev_b64 v[28:29], 3, v[10:11]
	v_add_co_u32_e32 v13, vcc, s14, v13
	v_subrev_u32_e32 v10, 19, v8
	v_addc_co_u32_e32 v14, vcc, v23, v14, vcc
	v_add_co_u32_e32 v28, vcc, s12, v28
	v_lshlrev_b64 v[9:10], 3, v[10:11]
	v_addc_co_u32_e32 v29, vcc, v22, v29, vcc
	v_add_co_u32_e32 v32, vcc, s12, v9
	v_addc_co_u32_e32 v33, vcc, v22, v10, vcc
	v_add_u32_e32 v10, 6, v12
	s_waitcnt vmcnt(2)
	v_fmac_f32_e32 v15, v40, v34
	v_fmac_f32_e32 v18, v41, v34
	s_waitcnt vmcnt(1)
	v_fmac_f32_e32 v7, v36, v34
	v_fmac_f32_e32 v17, v37, v34
	v_fma_f32 v15, -v41, v35, v15
	v_fmac_f32_e32 v18, v40, v35
	v_fma_f32 v7, -v37, v35, v7
	v_fmac_f32_e32 v17, v36, v35
	global_load_dwordx2 v[34:35], v[19:20], off
	global_load_dwordx2 v[36:37], v[24:25], off
	global_load_dwordx2 v[40:41], v[26:27], off
	v_lshlrev_b64 v[19:20], 3, v[10:11]
	v_add_u32_e32 v10, -6, v8
	v_lshlrev_b64 v[24:25], 3, v[10:11]
	v_add_co_u32_e32 v19, vcc, s14, v19
	v_subrev_u32_e32 v10, 18, v8
	v_addc_co_u32_e32 v20, vcc, v23, v20, vcc
	v_add_co_u32_e32 v24, vcc, s12, v24
	v_lshlrev_b64 v[9:10], 3, v[10:11]
	v_addc_co_u32_e32 v25, vcc, v22, v25, vcc
	v_add_co_u32_e32 v26, vcc, s12, v9
	v_addc_co_u32_e32 v27, vcc, v22, v10, vcc
	v_add_u32_e32 v10, 7, v12
	s_waitcnt vmcnt(2)
	v_fmac_f32_e32 v15, v38, v34
	v_fmac_f32_e32 v18, v39, v34
	s_waitcnt vmcnt(1)
	v_fmac_f32_e32 v7, v36, v34
	v_fmac_f32_e32 v17, v37, v34
	v_fma_f32 v15, -v39, v35, v15
	v_fmac_f32_e32 v18, v38, v35
	v_fma_f32 v7, -v37, v35, v7
	v_fmac_f32_e32 v17, v36, v35
	global_load_dwordx2 v[34:35], v[13:14], off
	global_load_dwordx2 v[36:37], v[28:29], off
	global_load_dwordx2 v[38:39], v[32:33], off
	;; [unrolled: 25-line block ×3, first 2 shown]
	v_lshlrev_b64 v[19:20], 3, v[10:11]
	v_add_u32_e32 v10, -4, v8
	v_lshlrev_b64 v[24:25], 3, v[10:11]
	v_add_co_u32_e32 v19, vcc, s14, v19
	v_add_u32_e32 v10, -16, v8
	v_addc_co_u32_e32 v20, vcc, v23, v20, vcc
	v_add_co_u32_e32 v24, vcc, s12, v24
	v_lshlrev_b64 v[9:10], 3, v[10:11]
	v_addc_co_u32_e32 v25, vcc, v22, v25, vcc
	v_add_co_u32_e32 v26, vcc, s12, v9
	v_addc_co_u32_e32 v27, vcc, v22, v10, vcc
	v_add_u32_e32 v10, 9, v12
	s_waitcnt vmcnt(2)
	v_fmac_f32_e32 v15, v38, v34
	v_fmac_f32_e32 v18, v39, v34
	s_waitcnt vmcnt(1)
	v_fmac_f32_e32 v7, v36, v34
	v_fmac_f32_e32 v17, v37, v34
	v_fma_f32 v15, -v39, v35, v15
	v_fmac_f32_e32 v18, v38, v35
	v_fma_f32 v7, -v37, v35, v7
	v_fmac_f32_e32 v17, v36, v35
	global_load_dwordx2 v[34:35], v[13:14], off
	global_load_dwordx2 v[36:37], v[28:29], off
	global_load_dwordx2 v[38:39], v[32:33], off
	v_lshlrev_b64 v[13:14], 3, v[10:11]
	v_add_u32_e32 v10, -3, v8
	v_lshlrev_b64 v[28:29], 3, v[10:11]
	v_add_co_u32_e32 v13, vcc, s14, v13
	v_add_u32_e32 v10, -15, v8
	v_addc_co_u32_e32 v14, vcc, v23, v14, vcc
	v_add_co_u32_e32 v28, vcc, s12, v28
	v_lshlrev_b64 v[9:10], 3, v[10:11]
	v_addc_co_u32_e32 v29, vcc, v22, v29, vcc
	v_add_co_u32_e32 v32, vcc, s12, v9
	v_addc_co_u32_e32 v33, vcc, v22, v10, vcc
	v_add_u32_e32 v10, 10, v12
	s_waitcnt vmcnt(2)
	v_fmac_f32_e32 v15, v40, v34
	v_fmac_f32_e32 v18, v41, v34
	s_waitcnt vmcnt(1)
	v_fmac_f32_e32 v7, v36, v34
	v_fmac_f32_e32 v17, v37, v34
	v_fma_f32 v15, -v41, v35, v15
	v_fmac_f32_e32 v18, v40, v35
	v_fma_f32 v7, -v37, v35, v7
	v_fmac_f32_e32 v17, v36, v35
	global_load_dwordx2 v[34:35], v[19:20], off
	global_load_dwordx2 v[36:37], v[24:25], off
	global_load_dwordx2 v[40:41], v[26:27], off
	;; [unrolled: 25-line block ×3, first 2 shown]
	v_lshlrev_b64 v[13:14], 3, v[10:11]
	v_add_u32_e32 v10, -1, v8
	v_lshlrev_b64 v[28:29], 3, v[10:11]
	v_add_co_u32_e32 v13, vcc, s14, v13
	v_add_u32_e32 v10, -13, v8
	v_addc_co_u32_e32 v14, vcc, v23, v14, vcc
	v_lshlrev_b64 v[32:33], 3, v[10:11]
	v_add_co_u32_e32 v28, vcc, s12, v28
	v_add_u32_e32 v10, 12, v12
	v_addc_co_u32_e32 v29, vcc, v22, v29, vcc
	v_add_co_u32_e32 v32, vcc, s12, v32
	v_lshlrev_b64 v[9:10], 3, v[10:11]
	v_addc_co_u32_e32 v33, vcc, v22, v33, vcc
	v_add_co_u32_e32 v9, vcc, s14, v9
	v_addc_co_u32_e32 v10, vcc, v23, v10, vcc
	v_cmp_ge_i32_e32 vcc, v6, v16
	s_or_b64 s[0:1], vcc, s[0:1]
	v_add_u32_e32 v8, 0x340, v8
	s_waitcnt vmcnt(2)
	v_fmac_f32_e32 v15, v40, v34
	v_fmac_f32_e32 v18, v41, v34
	s_waitcnt vmcnt(1)
	v_fmac_f32_e32 v7, v36, v34
	v_fmac_f32_e32 v17, v37, v34
	v_fma_f32 v15, -v41, v35, v15
	v_fmac_f32_e32 v18, v40, v35
	v_fma_f32 v7, -v37, v35, v7
	v_fmac_f32_e32 v17, v36, v35
	global_load_dwordx2 v[34:35], v[30:31], off
	global_load_dwordx2 v[36:37], v[19:20], off
	;; [unrolled: 1-line block ×8, first 2 shown]
	s_waitcnt vmcnt(6)
	v_fmac_f32_e32 v15, v38, v36
	v_fmac_f32_e32 v18, v39, v36
	s_waitcnt vmcnt(5)
	v_fmac_f32_e32 v7, v40, v36
	v_fmac_f32_e32 v17, v41, v36
	v_fma_f32 v9, -v39, v37, v15
	v_fmac_f32_e32 v18, v38, v37
	v_fma_f32 v7, -v41, v37, v7
	v_fmac_f32_e32 v17, v40, v37
	s_waitcnt vmcnt(3)
	v_fmac_f32_e32 v9, v42, v44
	v_fmac_f32_e32 v18, v43, v44
	s_waitcnt vmcnt(2)
	v_fmac_f32_e32 v7, v46, v44
	v_fmac_f32_e32 v17, v47, v44
	v_fma_f32 v9, -v43, v45, v9
	v_fmac_f32_e32 v18, v42, v45
	v_fma_f32 v7, -v47, v45, v7
	v_fmac_f32_e32 v17, v46, v45
	s_waitcnt vmcnt(0)
	v_fmac_f32_e32 v9, v48, v50
	v_fmac_f32_e32 v18, v49, v50
	;; [unrolled: 1-line block ×4, first 2 shown]
	v_fma_f32 v20, -v49, v51, v9
	v_fmac_f32_e32 v18, v48, v51
	v_fma_f32 v19, -v35, v51, v7
	v_fmac_f32_e32 v17, v34, v51
	s_andn2_b64 exec, exec, s[0:1]
	s_cbranch_execnz .LBB210_17
; %bb.18:
	s_or_b64 exec, exec, s[0:1]
.LBB210_19:
	s_or_b64 exec, exec, s[6:7]
.LBB210_20:
	v_mov_b32_dpp v6, v20 row_shr:1 row_mask:0xf bank_mask:0xf
	v_mov_b32_dpp v8, v18 row_shr:1 row_mask:0xf bank_mask:0xf
	v_mov_b32_dpp v10, v19 row_shr:1 row_mask:0xf bank_mask:0xf
	v_mov_b32_dpp v12, v17 row_shr:1 row_mask:0xf bank_mask:0xf
	v_add_f32_e32 v6, v20, v6
	v_add_f32_e32 v8, v18, v8
	v_add_f32_e32 v10, v19, v10
	v_add_f32_e32 v12, v17, v12
	v_mov_b32_dpp v7, v6 row_shr:2 row_mask:0xf bank_mask:0xf
	v_mov_b32_dpp v9, v8 row_shr:2 row_mask:0xf bank_mask:0xf
	v_mov_b32_dpp v11, v10 row_shr:2 row_mask:0xf bank_mask:0xf
	v_mov_b32_dpp v13, v12 row_shr:2 row_mask:0xf bank_mask:0xf
	v_add_f32_e32 v6, v6, v7
	v_add_f32_e32 v8, v8, v9
	v_add_f32_e32 v10, v10, v11
	v_add_f32_e32 v12, v12, v13
	;; [unrolled: 8-line block ×4, first 2 shown]
	v_mov_b32_dpp v7, v6 row_bcast:15 row_mask:0xa bank_mask:0xf
	v_mov_b32_dpp v9, v8 row_bcast:15 row_mask:0xa bank_mask:0xf
	;; [unrolled: 1-line block ×4, first 2 shown]
	v_cmp_eq_u32_e32 vcc, 31, v0
	s_and_b64 exec, exec, vcc
	s_cbranch_execz .LBB210_25
; %bb.21:
	s_load_dwordx2 s[2:3], s[4:5], 0x38
	v_cmp_eq_f32_e32 vcc, 0, v3
	v_cmp_eq_f32_e64 s[0:1], 0, v4
	v_add_f32_e32 v7, v6, v7
	v_add_f32_e32 v8, v8, v9
	;; [unrolled: 1-line block ×4, first 2 shown]
	s_and_b64 s[0:1], vcc, s[0:1]
	s_and_saveexec_b64 s[4:5], s[0:1]
	s_xor_b64 s[0:1], exec, s[4:5]
	s_cbranch_execz .LBB210_23
; %bb.22:
	v_mul_f32_e64 v3, v8, -v2
	v_mul_f32_e32 v4, v1, v8
	v_fmac_f32_e32 v3, v1, v7
	v_fmac_f32_e32 v4, v2, v7
	v_lshlrev_b32_e32 v7, 1, v5
	v_ashrrev_i32_e32 v8, 31, v7
	v_lshlrev_b64 v[7:8], 3, v[7:8]
	s_waitcnt lgkmcnt(0)
	v_mov_b32_e32 v5, s3
	v_add_co_u32_e32 v7, vcc, s2, v7
	v_addc_co_u32_e32 v8, vcc, v5, v8, vcc
	v_mul_f32_e64 v5, v6, -v2
	v_mul_f32_e32 v6, v1, v6
	v_fmac_f32_e32 v5, v1, v0
	v_fmac_f32_e32 v6, v2, v0
	global_store_dwordx4 v[7:8], v[3:6], off
                                        ; implicit-def: $vgpr5
                                        ; implicit-def: $vgpr1_vgpr2
                                        ; implicit-def: $vgpr8
                                        ; implicit-def: $vgpr7
                                        ; implicit-def: $vgpr3_vgpr4
                                        ; implicit-def: $vgpr6
                                        ; implicit-def: $vgpr0
.LBB210_23:
	s_andn2_saveexec_b64 s[0:1], s[0:1]
	s_cbranch_execz .LBB210_25
; %bb.24:
	v_lshlrev_b32_e32 v9, 1, v5
	v_ashrrev_i32_e32 v10, 31, v9
	v_lshlrev_b64 v[9:10], 3, v[9:10]
	s_waitcnt lgkmcnt(0)
	v_mov_b32_e32 v5, s3
	v_add_co_u32_e32 v17, vcc, s2, v9
	v_addc_co_u32_e32 v18, vcc, v5, v10, vcc
	global_load_dwordx4 v[9:12], v[17:18], off
	v_mul_f32_e64 v5, v8, -v2
	v_mul_f32_e32 v14, v1, v8
	v_mul_f32_e64 v8, v6, -v2
	v_mul_f32_e32 v16, v1, v6
	v_fmac_f32_e32 v5, v1, v7
	v_fmac_f32_e32 v14, v2, v7
	;; [unrolled: 1-line block ×4, first 2 shown]
	s_waitcnt vmcnt(0)
	v_fmac_f32_e32 v5, v3, v9
	v_fmac_f32_e32 v14, v4, v9
	;; [unrolled: 1-line block ×4, first 2 shown]
	v_fma_f32 v13, -v4, v10, v5
	v_fmac_f32_e32 v14, v3, v10
	v_fma_f32 v15, -v4, v12, v8
	v_fmac_f32_e32 v16, v3, v12
	global_store_dwordx4 v[17:18], v[13:16], off
.LBB210_25:
	s_endpgm
	.section	.rodata,"a",@progbits
	.p2align	6, 0x0
	.amdhsa_kernel _ZN9rocsparseL19gebsrmvn_2xn_kernelILj128ELj13ELj32E21rocsparse_complex_numIfEEEvi20rocsparse_direction_NS_24const_host_device_scalarIT2_EEPKiS8_PKS5_SA_S6_PS5_21rocsparse_index_base_b
		.amdhsa_group_segment_fixed_size 0
		.amdhsa_private_segment_fixed_size 0
		.amdhsa_kernarg_size 72
		.amdhsa_user_sgpr_count 6
		.amdhsa_user_sgpr_private_segment_buffer 1
		.amdhsa_user_sgpr_dispatch_ptr 0
		.amdhsa_user_sgpr_queue_ptr 0
		.amdhsa_user_sgpr_kernarg_segment_ptr 1
		.amdhsa_user_sgpr_dispatch_id 0
		.amdhsa_user_sgpr_flat_scratch_init 0
		.amdhsa_user_sgpr_private_segment_size 0
		.amdhsa_uses_dynamic_stack 0
		.amdhsa_system_sgpr_private_segment_wavefront_offset 0
		.amdhsa_system_sgpr_workgroup_id_x 1
		.amdhsa_system_sgpr_workgroup_id_y 0
		.amdhsa_system_sgpr_workgroup_id_z 0
		.amdhsa_system_sgpr_workgroup_info 0
		.amdhsa_system_vgpr_workitem_id 0
		.amdhsa_next_free_vgpr 52
		.amdhsa_next_free_sgpr 16
		.amdhsa_reserve_vcc 1
		.amdhsa_reserve_flat_scratch 0
		.amdhsa_float_round_mode_32 0
		.amdhsa_float_round_mode_16_64 0
		.amdhsa_float_denorm_mode_32 3
		.amdhsa_float_denorm_mode_16_64 3
		.amdhsa_dx10_clamp 1
		.amdhsa_ieee_mode 1
		.amdhsa_fp16_overflow 0
		.amdhsa_exception_fp_ieee_invalid_op 0
		.amdhsa_exception_fp_denorm_src 0
		.amdhsa_exception_fp_ieee_div_zero 0
		.amdhsa_exception_fp_ieee_overflow 0
		.amdhsa_exception_fp_ieee_underflow 0
		.amdhsa_exception_fp_ieee_inexact 0
		.amdhsa_exception_int_div_zero 0
	.end_amdhsa_kernel
	.section	.text._ZN9rocsparseL19gebsrmvn_2xn_kernelILj128ELj13ELj32E21rocsparse_complex_numIfEEEvi20rocsparse_direction_NS_24const_host_device_scalarIT2_EEPKiS8_PKS5_SA_S6_PS5_21rocsparse_index_base_b,"axG",@progbits,_ZN9rocsparseL19gebsrmvn_2xn_kernelILj128ELj13ELj32E21rocsparse_complex_numIfEEEvi20rocsparse_direction_NS_24const_host_device_scalarIT2_EEPKiS8_PKS5_SA_S6_PS5_21rocsparse_index_base_b,comdat
.Lfunc_end210:
	.size	_ZN9rocsparseL19gebsrmvn_2xn_kernelILj128ELj13ELj32E21rocsparse_complex_numIfEEEvi20rocsparse_direction_NS_24const_host_device_scalarIT2_EEPKiS8_PKS5_SA_S6_PS5_21rocsparse_index_base_b, .Lfunc_end210-_ZN9rocsparseL19gebsrmvn_2xn_kernelILj128ELj13ELj32E21rocsparse_complex_numIfEEEvi20rocsparse_direction_NS_24const_host_device_scalarIT2_EEPKiS8_PKS5_SA_S6_PS5_21rocsparse_index_base_b
                                        ; -- End function
	.set _ZN9rocsparseL19gebsrmvn_2xn_kernelILj128ELj13ELj32E21rocsparse_complex_numIfEEEvi20rocsparse_direction_NS_24const_host_device_scalarIT2_EEPKiS8_PKS5_SA_S6_PS5_21rocsparse_index_base_b.num_vgpr, 52
	.set _ZN9rocsparseL19gebsrmvn_2xn_kernelILj128ELj13ELj32E21rocsparse_complex_numIfEEEvi20rocsparse_direction_NS_24const_host_device_scalarIT2_EEPKiS8_PKS5_SA_S6_PS5_21rocsparse_index_base_b.num_agpr, 0
	.set _ZN9rocsparseL19gebsrmvn_2xn_kernelILj128ELj13ELj32E21rocsparse_complex_numIfEEEvi20rocsparse_direction_NS_24const_host_device_scalarIT2_EEPKiS8_PKS5_SA_S6_PS5_21rocsparse_index_base_b.numbered_sgpr, 16
	.set _ZN9rocsparseL19gebsrmvn_2xn_kernelILj128ELj13ELj32E21rocsparse_complex_numIfEEEvi20rocsparse_direction_NS_24const_host_device_scalarIT2_EEPKiS8_PKS5_SA_S6_PS5_21rocsparse_index_base_b.num_named_barrier, 0
	.set _ZN9rocsparseL19gebsrmvn_2xn_kernelILj128ELj13ELj32E21rocsparse_complex_numIfEEEvi20rocsparse_direction_NS_24const_host_device_scalarIT2_EEPKiS8_PKS5_SA_S6_PS5_21rocsparse_index_base_b.private_seg_size, 0
	.set _ZN9rocsparseL19gebsrmvn_2xn_kernelILj128ELj13ELj32E21rocsparse_complex_numIfEEEvi20rocsparse_direction_NS_24const_host_device_scalarIT2_EEPKiS8_PKS5_SA_S6_PS5_21rocsparse_index_base_b.uses_vcc, 1
	.set _ZN9rocsparseL19gebsrmvn_2xn_kernelILj128ELj13ELj32E21rocsparse_complex_numIfEEEvi20rocsparse_direction_NS_24const_host_device_scalarIT2_EEPKiS8_PKS5_SA_S6_PS5_21rocsparse_index_base_b.uses_flat_scratch, 0
	.set _ZN9rocsparseL19gebsrmvn_2xn_kernelILj128ELj13ELj32E21rocsparse_complex_numIfEEEvi20rocsparse_direction_NS_24const_host_device_scalarIT2_EEPKiS8_PKS5_SA_S6_PS5_21rocsparse_index_base_b.has_dyn_sized_stack, 0
	.set _ZN9rocsparseL19gebsrmvn_2xn_kernelILj128ELj13ELj32E21rocsparse_complex_numIfEEEvi20rocsparse_direction_NS_24const_host_device_scalarIT2_EEPKiS8_PKS5_SA_S6_PS5_21rocsparse_index_base_b.has_recursion, 0
	.set _ZN9rocsparseL19gebsrmvn_2xn_kernelILj128ELj13ELj32E21rocsparse_complex_numIfEEEvi20rocsparse_direction_NS_24const_host_device_scalarIT2_EEPKiS8_PKS5_SA_S6_PS5_21rocsparse_index_base_b.has_indirect_call, 0
	.section	.AMDGPU.csdata,"",@progbits
; Kernel info:
; codeLenInByte = 3308
; TotalNumSgprs: 20
; NumVgprs: 52
; ScratchSize: 0
; MemoryBound: 0
; FloatMode: 240
; IeeeMode: 1
; LDSByteSize: 0 bytes/workgroup (compile time only)
; SGPRBlocks: 2
; VGPRBlocks: 12
; NumSGPRsForWavesPerEU: 20
; NumVGPRsForWavesPerEU: 52
; Occupancy: 4
; WaveLimiterHint : 1
; COMPUTE_PGM_RSRC2:SCRATCH_EN: 0
; COMPUTE_PGM_RSRC2:USER_SGPR: 6
; COMPUTE_PGM_RSRC2:TRAP_HANDLER: 0
; COMPUTE_PGM_RSRC2:TGID_X_EN: 1
; COMPUTE_PGM_RSRC2:TGID_Y_EN: 0
; COMPUTE_PGM_RSRC2:TGID_Z_EN: 0
; COMPUTE_PGM_RSRC2:TIDIG_COMP_CNT: 0
	.section	.text._ZN9rocsparseL19gebsrmvn_2xn_kernelILj128ELj13ELj64E21rocsparse_complex_numIfEEEvi20rocsparse_direction_NS_24const_host_device_scalarIT2_EEPKiS8_PKS5_SA_S6_PS5_21rocsparse_index_base_b,"axG",@progbits,_ZN9rocsparseL19gebsrmvn_2xn_kernelILj128ELj13ELj64E21rocsparse_complex_numIfEEEvi20rocsparse_direction_NS_24const_host_device_scalarIT2_EEPKiS8_PKS5_SA_S6_PS5_21rocsparse_index_base_b,comdat
	.globl	_ZN9rocsparseL19gebsrmvn_2xn_kernelILj128ELj13ELj64E21rocsparse_complex_numIfEEEvi20rocsparse_direction_NS_24const_host_device_scalarIT2_EEPKiS8_PKS5_SA_S6_PS5_21rocsparse_index_base_b ; -- Begin function _ZN9rocsparseL19gebsrmvn_2xn_kernelILj128ELj13ELj64E21rocsparse_complex_numIfEEEvi20rocsparse_direction_NS_24const_host_device_scalarIT2_EEPKiS8_PKS5_SA_S6_PS5_21rocsparse_index_base_b
	.p2align	8
	.type	_ZN9rocsparseL19gebsrmvn_2xn_kernelILj128ELj13ELj64E21rocsparse_complex_numIfEEEvi20rocsparse_direction_NS_24const_host_device_scalarIT2_EEPKiS8_PKS5_SA_S6_PS5_21rocsparse_index_base_b,@function
_ZN9rocsparseL19gebsrmvn_2xn_kernelILj128ELj13ELj64E21rocsparse_complex_numIfEEEvi20rocsparse_direction_NS_24const_host_device_scalarIT2_EEPKiS8_PKS5_SA_S6_PS5_21rocsparse_index_base_b: ; @_ZN9rocsparseL19gebsrmvn_2xn_kernelILj128ELj13ELj64E21rocsparse_complex_numIfEEEvi20rocsparse_direction_NS_24const_host_device_scalarIT2_EEPKiS8_PKS5_SA_S6_PS5_21rocsparse_index_base_b
; %bb.0:
	s_load_dwordx2 s[0:1], s[4:5], 0x8
	s_load_dwordx2 s[8:9], s[4:5], 0x30
	;; [unrolled: 1-line block ×3, first 2 shown]
	s_add_u32 s7, s4, 8
	s_addc_u32 s10, s5, 0
	s_add_u32 s11, s4, 48
	s_addc_u32 s12, s5, 0
	s_waitcnt lgkmcnt(0)
	s_bitcmp1_b32 s3, 0
	s_cselect_b32 s1, s10, s1
	s_cselect_b32 s0, s7, s0
	v_mov_b32_e32 v1, s0
	v_mov_b32_e32 v2, s1
	flat_load_dwordx2 v[1:2], v[1:2]
	s_cselect_b32 s0, s12, s9
	s_cselect_b32 s1, s11, s8
	v_mov_b32_e32 v3, s1
	v_mov_b32_e32 v4, s0
	flat_load_dwordx2 v[3:4], v[3:4]
	s_waitcnt vmcnt(0) lgkmcnt(0)
	v_cmp_eq_f32_e32 vcc, 0, v1
	v_cmp_eq_f32_e64 s[0:1], 0, v2
	s_and_b64 s[10:11], vcc, s[0:1]
	s_mov_b64 s[0:1], -1
	s_and_saveexec_b64 s[8:9], s[10:11]
; %bb.1:
	v_cmp_neq_f32_e32 vcc, 1.0, v3
	v_cmp_neq_f32_e64 s[0:1], 0, v4
	s_or_b64 s[0:1], vcc, s[0:1]
	s_orn2_b64 s[0:1], s[0:1], exec
; %bb.2:
	s_or_b64 exec, exec, s[8:9]
	s_and_saveexec_b64 s[8:9], s[0:1]
	s_cbranch_execz .LBB211_25
; %bb.3:
	s_load_dwordx2 s[0:1], s[4:5], 0x0
	v_lshrrev_b32_e32 v5, 6, v0
	v_lshl_or_b32 v5, s6, 1, v5
	s_waitcnt lgkmcnt(0)
	v_cmp_gt_i32_e32 vcc, s0, v5
	s_and_b64 exec, exec, vcc
	s_cbranch_execz .LBB211_25
; %bb.4:
	s_load_dwordx8 s[8:15], s[4:5], 0x10
	v_ashrrev_i32_e32 v6, 31, v5
	v_lshlrev_b64 v[6:7], 2, v[5:6]
	v_and_b32_e32 v0, 63, v0
	s_cmp_lg_u32 s1, 0
	s_waitcnt lgkmcnt(0)
	v_mov_b32_e32 v8, s9
	v_add_co_u32_e32 v6, vcc, s8, v6
	v_addc_co_u32_e32 v7, vcc, v8, v7, vcc
	global_load_dwordx2 v[7:8], v[6:7], off
	s_waitcnt vmcnt(0)
	v_subrev_u32_e32 v6, s2, v7
	v_subrev_u32_e32 v16, s2, v8
	v_add_u32_e32 v6, v6, v0
	v_cmp_lt_i32_e64 s[0:1], v6, v16
	s_cbranch_scc0 .LBB211_12
; %bb.5:
	v_mov_b32_e32 v18, 0
	v_mov_b32_e32 v20, 0
	;; [unrolled: 1-line block ×4, first 2 shown]
	s_and_saveexec_b64 s[6:7], s[0:1]
	s_cbranch_execz .LBB211_14
; %bb.6:
	v_mul_lo_u32 v7, v7, 26
	v_mul_lo_u32 v12, v6, 26
	s_mul_i32 s3, s2, 26
	v_mov_b32_e32 v8, 0
	v_mad_u32_u24 v7, v0, 26, v7
	v_subrev_u32_e32 v13, s3, v7
	s_mov_b64 s[8:9], 0
	v_mov_b32_e32 v14, s11
	v_mov_b32_e32 v15, s13
	;; [unrolled: 1-line block ×8, first 2 shown]
	s_branch .LBB211_8
.LBB211_7:                              ;   in Loop: Header=BB211_8 Depth=1
	v_add_u32_e32 v9, 64, v9
	v_cmp_ge_i32_e32 vcc, v9, v16
	v_add_u32_e32 v12, 0x680, v12
	s_or_b64 s[8:9], vcc, s[8:9]
	v_add_u32_e32 v13, 0x680, v13
	s_andn2_b64 exec, exec, s[8:9]
	s_cbranch_execz .LBB211_13
.LBB211_8:                              ; =>This Loop Header: Depth=1
                                        ;     Child Loop BB211_10 Depth 2
	v_ashrrev_i32_e32 v10, 31, v9
	v_lshlrev_b64 v[10:11], 2, v[9:10]
	s_mov_b32 s3, 0
	v_add_co_u32_e32 v10, vcc, s10, v10
	v_addc_co_u32_e32 v11, vcc, v14, v11, vcc
	global_load_dword v7, v[10:11], off
	v_mov_b32_e32 v22, v18
	v_mov_b32_e32 v24, v20
	;; [unrolled: 1-line block ×4, first 2 shown]
	s_waitcnt vmcnt(0)
	v_subrev_u32_e32 v7, s2, v7
	v_mul_lo_u32 v10, v7, 13
	s_branch .LBB211_10
.LBB211_9:                              ;   in Loop: Header=BB211_8 Depth=1
                                        ; implicit-def: $vgpr23
                                        ; implicit-def: $vgpr25
                                        ; implicit-def: $vgpr24
                                        ; implicit-def: $vgpr22
                                        ; implicit-def: $sgpr3
                                        ; implicit-def: $vgpr10
	s_branch .LBB211_7
.LBB211_10:                             ;   Parent Loop BB211_8 Depth=1
                                        ; =>  This Inner Loop Header: Depth=2
	v_add_u32_e32 v7, s3, v13
	v_lshlrev_b64 v[17:18], 3, v[7:8]
	v_mov_b32_e32 v11, v8
	v_add_co_u32_e32 v17, vcc, s12, v17
	v_addc_co_u32_e32 v18, vcc, v15, v18, vcc
	global_load_dwordx4 v[26:29], v[17:18], off
	v_lshlrev_b64 v[17:18], 3, v[10:11]
	s_cmp_eq_u32 s3, 24
	v_add_co_u32_e32 v17, vcc, s14, v17
	v_addc_co_u32_e32 v18, vcc, v21, v18, vcc
	global_load_dwordx2 v[30:31], v[17:18], off
	s_waitcnt vmcnt(0)
	v_fmac_f32_e32 v22, v27, v30
	v_fmac_f32_e32 v23, v29, v30
	;; [unrolled: 1-line block ×4, first 2 shown]
	v_mov_b32_e32 v18, v22
	v_mov_b32_e32 v17, v23
	v_fma_f32 v20, -v27, v31, v24
	v_fma_f32 v19, -v29, v31, v25
	v_fmac_f32_e32 v18, v26, v31
	v_fmac_f32_e32 v17, v28, v31
	s_cbranch_scc1 .LBB211_9
; %bb.11:                               ;   in Loop: Header=BB211_10 Depth=2
	v_add_u32_e32 v11, s3, v12
	v_add_u32_e32 v7, 2, v11
	v_lshlrev_b64 v[22:23], 3, v[7:8]
	v_mov_b32_e32 v34, s13
	v_add_co_u32_e32 v22, vcc, s12, v22
	v_addc_co_u32_e32 v23, vcc, v34, v23, vcc
	v_add_u32_e32 v7, 1, v10
	global_load_dwordx4 v[24:27], v[22:23], off
	v_lshlrev_b64 v[22:23], 3, v[7:8]
	v_mov_b32_e32 v35, s15
	v_add_co_u32_e32 v22, vcc, s14, v22
	v_addc_co_u32_e32 v23, vcc, v35, v23, vcc
	v_add_u32_e32 v7, 4, v11
	global_load_dwordx2 v[36:37], v[22:23], off
	v_lshlrev_b64 v[22:23], 3, v[7:8]
	v_add_u32_e32 v7, 2, v10
	v_lshlrev_b64 v[28:29], 3, v[7:8]
	v_add_co_u32_e32 v22, vcc, s12, v22
	v_addc_co_u32_e32 v23, vcc, v34, v23, vcc
	v_add_u32_e32 v7, 6, v11
	v_add_co_u32_e32 v32, vcc, s14, v28
	v_addc_co_u32_e32 v33, vcc, v35, v29, vcc
	global_load_dwordx4 v[28:31], v[22:23], off
	global_load_dwordx2 v[38:39], v[32:33], off
	v_lshlrev_b64 v[22:23], 3, v[7:8]
	v_add_u32_e32 v7, 3, v10
	v_lshlrev_b64 v[32:33], 3, v[7:8]
	v_add_co_u32_e32 v22, vcc, s12, v22
	v_addc_co_u32_e32 v23, vcc, v34, v23, vcc
	v_add_co_u32_e32 v40, vcc, s14, v32
	v_addc_co_u32_e32 v41, vcc, v35, v33, vcc
	global_load_dwordx4 v[32:35], v[22:23], off
	global_load_dwordx2 v[42:43], v[40:41], off
	s_add_i32 s3, s3, 8
	v_add_u32_e32 v10, 4, v10
	s_waitcnt vmcnt(4)
	v_fma_f32 v7, v24, v36, v20
	v_fma_f32 v22, v25, v36, v18
	;; [unrolled: 1-line block ×4, first 2 shown]
	v_fma_f32 v7, -v25, v37, v7
	v_fmac_f32_e32 v22, v24, v37
	v_fma_f32 v11, -v27, v37, v11
	v_fmac_f32_e32 v23, v26, v37
	s_waitcnt vmcnt(2)
	v_fmac_f32_e32 v7, v28, v38
	v_fmac_f32_e32 v22, v29, v38
	;; [unrolled: 1-line block ×4, first 2 shown]
	v_fma_f32 v7, -v29, v39, v7
	v_fmac_f32_e32 v22, v28, v39
	v_fma_f32 v11, -v31, v39, v11
	v_fmac_f32_e32 v23, v30, v39
	s_waitcnt vmcnt(0)
	v_fmac_f32_e32 v7, v32, v42
	v_fmac_f32_e32 v22, v33, v42
	v_fmac_f32_e32 v11, v34, v42
	v_fmac_f32_e32 v23, v35, v42
	v_fma_f32 v24, -v33, v43, v7
	v_fmac_f32_e32 v22, v32, v43
	v_fma_f32 v25, -v35, v43, v11
	v_fmac_f32_e32 v23, v34, v43
	s_cbranch_execnz .LBB211_10
	s_branch .LBB211_7
.LBB211_12:
                                        ; implicit-def: $vgpr18
                                        ; implicit-def: $vgpr20
                                        ; implicit-def: $vgpr19
                                        ; implicit-def: $vgpr17
	s_branch .LBB211_15
.LBB211_13:
	s_or_b64 exec, exec, s[8:9]
.LBB211_14:
	s_or_b64 exec, exec, s[6:7]
	s_cbranch_execnz .LBB211_20
.LBB211_15:
	v_mov_b32_e32 v18, 0
	v_mov_b32_e32 v20, 0
	;; [unrolled: 1-line block ×4, first 2 shown]
	s_and_saveexec_b64 s[6:7], s[0:1]
	s_cbranch_execz .LBB211_19
; %bb.16:
	v_mad_u64_u32 v[8:9], s[0:1], v6, 26, 25
	v_mov_b32_e32 v11, 0
	s_mov_b64 s[0:1], 0
	v_mov_b32_e32 v21, s11
	v_mov_b32_e32 v22, s13
	;; [unrolled: 1-line block ×7, first 2 shown]
.LBB211_17:                             ; =>This Inner Loop Header: Depth=1
	v_ashrrev_i32_e32 v7, 31, v6
	v_lshlrev_b64 v[24:25], 2, v[6:7]
	v_subrev_u32_e32 v10, 25, v8
	v_add_co_u32_e32 v24, vcc, s10, v24
	v_addc_co_u32_e32 v25, vcc, v21, v25, vcc
	global_load_dword v7, v[24:25], off
	v_lshlrev_b64 v[26:27], 3, v[10:11]
	v_add_u32_e32 v14, -12, v8
	v_mov_b32_e32 v15, v11
	v_lshlrev_b64 v[14:15], 3, v[14:15]
	v_add_co_u32_e32 v28, vcc, s12, v26
	v_mov_b32_e32 v9, v11
	v_addc_co_u32_e32 v29, vcc, v22, v27, vcc
	v_lshlrev_b64 v[9:10], 3, v[8:9]
	v_add_co_u32_e32 v14, vcc, s12, v14
	v_mov_b32_e32 v13, v11
	v_addc_co_u32_e32 v15, vcc, v22, v15, vcc
	v_add_co_u32_e32 v30, vcc, s12, v9
	v_addc_co_u32_e32 v31, vcc, v22, v10, vcc
	v_add_u32_e32 v6, 64, v6
	s_waitcnt vmcnt(0)
	v_subrev_u32_e32 v7, s2, v7
	v_mul_lo_u32 v12, v7, 13
	v_lshlrev_b64 v[24:25], 3, v[12:13]
	v_add_u32_e32 v10, 1, v12
	v_lshlrev_b64 v[26:27], 3, v[10:11]
	v_add_co_u32_e32 v24, vcc, s14, v24
	v_add_u32_e32 v10, -11, v8
	v_addc_co_u32_e32 v25, vcc, v23, v25, vcc
	v_lshlrev_b64 v[32:33], 3, v[10:11]
	v_add_co_u32_e32 v34, vcc, s14, v26
	v_subrev_u32_e32 v10, 23, v8
	v_addc_co_u32_e32 v35, vcc, v23, v27, vcc
	v_lshlrev_b64 v[26:27], 3, v[10:11]
	v_add_co_u32_e32 v32, vcc, s12, v32
	v_add_u32_e32 v10, 2, v12
	v_addc_co_u32_e32 v33, vcc, v22, v33, vcc
	v_add_co_u32_e32 v36, vcc, s12, v26
	v_lshlrev_b64 v[9:10], 3, v[10:11]
	v_addc_co_u32_e32 v37, vcc, v22, v27, vcc
	v_add_co_u32_e32 v38, vcc, s14, v9
	v_addc_co_u32_e32 v39, vcc, v23, v10, vcc
	global_load_dwordx2 v[9:10], v[14:15], off
	global_load_dwordx2 v[40:41], v[24:25], off
	s_nop 0
	global_load_dwordx4 v[24:27], v[28:29], off
	global_load_dwordx2 v[13:14], v[34:35], off
	s_waitcnt vmcnt(2)
	v_fmac_f32_e32 v19, v9, v40
	v_fmac_f32_e32 v17, v10, v40
	v_fma_f32 v7, -v10, v41, v19
	v_add_u32_e32 v10, -10, v8
	global_load_dwordx2 v[28:29], v[32:33], off
	s_waitcnt vmcnt(2)
	v_fmac_f32_e32 v20, v24, v40
	v_fmac_f32_e32 v18, v25, v40
	;; [unrolled: 1-line block ×3, first 2 shown]
	v_fma_f32 v9, -v25, v41, v20
	v_fmac_f32_e32 v18, v24, v41
	v_lshlrev_b64 v[19:20], 3, v[10:11]
	v_subrev_u32_e32 v10, 22, v8
	s_waitcnt vmcnt(1)
	v_fmac_f32_e32 v9, v26, v13
	v_fmac_f32_e32 v18, v27, v13
	v_fma_f32 v15, -v27, v14, v9
	v_fmac_f32_e32 v18, v26, v14
	v_lshlrev_b64 v[26:27], 3, v[10:11]
	v_add_co_u32_e32 v19, vcc, s12, v19
	v_addc_co_u32_e32 v20, vcc, v22, v20, vcc
	global_load_dwordx2 v[24:25], v[36:37], off
	v_add_co_u32_e32 v26, vcc, s12, v26
	v_addc_co_u32_e32 v27, vcc, v22, v27, vcc
	global_load_dwordx2 v[34:35], v[38:39], off
	global_load_dwordx2 v[36:37], v[19:20], off
	;; [unrolled: 1-line block ×3, first 2 shown]
	v_add_u32_e32 v10, 3, v12
	v_lshlrev_b64 v[32:33], 3, v[10:11]
	v_add_u32_e32 v10, -9, v8
	s_waitcnt vmcnt(4)
	v_fmac_f32_e32 v7, v28, v13
	v_fmac_f32_e32 v17, v29, v13
	v_fma_f32 v7, -v29, v14, v7
	v_fmac_f32_e32 v17, v28, v14
	v_lshlrev_b64 v[13:14], 3, v[10:11]
	v_add_co_u32_e32 v28, vcc, s14, v32
	v_subrev_u32_e32 v10, 21, v8
	v_addc_co_u32_e32 v29, vcc, v23, v33, vcc
	v_add_co_u32_e32 v13, vcc, s12, v13
	v_lshlrev_b64 v[9:10], 3, v[10:11]
	v_addc_co_u32_e32 v14, vcc, v22, v14, vcc
	v_add_co_u32_e32 v32, vcc, s12, v9
	v_addc_co_u32_e32 v33, vcc, v22, v10, vcc
	v_add_u32_e32 v10, 4, v12
	s_waitcnt vmcnt(2)
	v_fmac_f32_e32 v15, v24, v34
	v_fmac_f32_e32 v18, v25, v34
	s_waitcnt vmcnt(1)
	v_fmac_f32_e32 v7, v36, v34
	v_fmac_f32_e32 v17, v37, v34
	v_fma_f32 v15, -v25, v35, v15
	v_fmac_f32_e32 v18, v24, v35
	v_fma_f32 v7, -v37, v35, v7
	v_fmac_f32_e32 v17, v36, v35
	global_load_dwordx2 v[34:35], v[28:29], off
	global_load_dwordx2 v[36:37], v[13:14], off
	global_load_dwordx2 v[38:39], v[32:33], off
	v_lshlrev_b64 v[19:20], 3, v[10:11]
	v_add_u32_e32 v10, -8, v8
	v_lshlrev_b64 v[24:25], 3, v[10:11]
	v_add_co_u32_e32 v19, vcc, s14, v19
	v_subrev_u32_e32 v10, 20, v8
	v_addc_co_u32_e32 v20, vcc, v23, v20, vcc
	v_add_co_u32_e32 v24, vcc, s12, v24
	v_lshlrev_b64 v[9:10], 3, v[10:11]
	v_addc_co_u32_e32 v25, vcc, v22, v25, vcc
	v_add_co_u32_e32 v26, vcc, s12, v9
	v_addc_co_u32_e32 v27, vcc, v22, v10, vcc
	v_add_u32_e32 v10, 5, v12
	v_lshlrev_b64 v[13:14], 3, v[10:11]
	v_add_u32_e32 v10, -7, v8
	v_lshlrev_b64 v[28:29], 3, v[10:11]
	v_add_co_u32_e32 v13, vcc, s14, v13
	v_subrev_u32_e32 v10, 19, v8
	v_addc_co_u32_e32 v14, vcc, v23, v14, vcc
	v_add_co_u32_e32 v28, vcc, s12, v28
	v_lshlrev_b64 v[9:10], 3, v[10:11]
	v_addc_co_u32_e32 v29, vcc, v22, v29, vcc
	v_add_co_u32_e32 v32, vcc, s12, v9
	v_addc_co_u32_e32 v33, vcc, v22, v10, vcc
	v_add_u32_e32 v10, 6, v12
	s_waitcnt vmcnt(2)
	v_fmac_f32_e32 v15, v40, v34
	v_fmac_f32_e32 v18, v41, v34
	s_waitcnt vmcnt(1)
	v_fmac_f32_e32 v7, v36, v34
	v_fmac_f32_e32 v17, v37, v34
	v_fma_f32 v15, -v41, v35, v15
	v_fmac_f32_e32 v18, v40, v35
	v_fma_f32 v7, -v37, v35, v7
	v_fmac_f32_e32 v17, v36, v35
	global_load_dwordx2 v[34:35], v[19:20], off
	global_load_dwordx2 v[36:37], v[24:25], off
	global_load_dwordx2 v[40:41], v[26:27], off
	v_lshlrev_b64 v[19:20], 3, v[10:11]
	v_add_u32_e32 v10, -6, v8
	v_lshlrev_b64 v[24:25], 3, v[10:11]
	v_add_co_u32_e32 v19, vcc, s14, v19
	v_subrev_u32_e32 v10, 18, v8
	v_addc_co_u32_e32 v20, vcc, v23, v20, vcc
	v_add_co_u32_e32 v24, vcc, s12, v24
	v_lshlrev_b64 v[9:10], 3, v[10:11]
	v_addc_co_u32_e32 v25, vcc, v22, v25, vcc
	v_add_co_u32_e32 v26, vcc, s12, v9
	v_addc_co_u32_e32 v27, vcc, v22, v10, vcc
	v_add_u32_e32 v10, 7, v12
	s_waitcnt vmcnt(2)
	v_fmac_f32_e32 v15, v38, v34
	v_fmac_f32_e32 v18, v39, v34
	s_waitcnt vmcnt(1)
	v_fmac_f32_e32 v7, v36, v34
	v_fmac_f32_e32 v17, v37, v34
	v_fma_f32 v15, -v39, v35, v15
	v_fmac_f32_e32 v18, v38, v35
	v_fma_f32 v7, -v37, v35, v7
	v_fmac_f32_e32 v17, v36, v35
	global_load_dwordx2 v[34:35], v[13:14], off
	global_load_dwordx2 v[36:37], v[28:29], off
	global_load_dwordx2 v[38:39], v[32:33], off
	v_lshlrev_b64 v[13:14], 3, v[10:11]
	v_add_u32_e32 v10, -5, v8
	v_lshlrev_b64 v[28:29], 3, v[10:11]
	v_add_co_u32_e32 v13, vcc, s14, v13
	v_subrev_u32_e32 v10, 17, v8
	v_addc_co_u32_e32 v14, vcc, v23, v14, vcc
	v_add_co_u32_e32 v28, vcc, s12, v28
	v_lshlrev_b64 v[9:10], 3, v[10:11]
	v_addc_co_u32_e32 v29, vcc, v22, v29, vcc
	v_add_co_u32_e32 v32, vcc, s12, v9
	v_addc_co_u32_e32 v33, vcc, v22, v10, vcc
	v_add_u32_e32 v10, 8, v12
	s_waitcnt vmcnt(2)
	v_fmac_f32_e32 v15, v40, v34
	v_fmac_f32_e32 v18, v41, v34
	s_waitcnt vmcnt(1)
	v_fmac_f32_e32 v7, v36, v34
	v_fmac_f32_e32 v17, v37, v34
	v_fma_f32 v15, -v41, v35, v15
	v_fmac_f32_e32 v18, v40, v35
	v_fma_f32 v7, -v37, v35, v7
	v_fmac_f32_e32 v17, v36, v35
	global_load_dwordx2 v[34:35], v[19:20], off
	global_load_dwordx2 v[36:37], v[24:25], off
	global_load_dwordx2 v[40:41], v[26:27], off
	v_lshlrev_b64 v[19:20], 3, v[10:11]
	v_add_u32_e32 v10, -4, v8
	v_lshlrev_b64 v[24:25], 3, v[10:11]
	v_add_co_u32_e32 v19, vcc, s14, v19
	v_add_u32_e32 v10, -16, v8
	v_addc_co_u32_e32 v20, vcc, v23, v20, vcc
	v_add_co_u32_e32 v24, vcc, s12, v24
	v_lshlrev_b64 v[9:10], 3, v[10:11]
	v_addc_co_u32_e32 v25, vcc, v22, v25, vcc
	v_add_co_u32_e32 v26, vcc, s12, v9
	v_addc_co_u32_e32 v27, vcc, v22, v10, vcc
	v_add_u32_e32 v10, 9, v12
	s_waitcnt vmcnt(2)
	v_fmac_f32_e32 v15, v38, v34
	v_fmac_f32_e32 v18, v39, v34
	s_waitcnt vmcnt(1)
	v_fmac_f32_e32 v7, v36, v34
	v_fmac_f32_e32 v17, v37, v34
	v_fma_f32 v15, -v39, v35, v15
	v_fmac_f32_e32 v18, v38, v35
	v_fma_f32 v7, -v37, v35, v7
	v_fmac_f32_e32 v17, v36, v35
	global_load_dwordx2 v[34:35], v[13:14], off
	global_load_dwordx2 v[36:37], v[28:29], off
	global_load_dwordx2 v[38:39], v[32:33], off
	v_lshlrev_b64 v[13:14], 3, v[10:11]
	v_add_u32_e32 v10, -3, v8
	v_lshlrev_b64 v[28:29], 3, v[10:11]
	v_add_co_u32_e32 v13, vcc, s14, v13
	v_add_u32_e32 v10, -15, v8
	v_addc_co_u32_e32 v14, vcc, v23, v14, vcc
	v_add_co_u32_e32 v28, vcc, s12, v28
	v_lshlrev_b64 v[9:10], 3, v[10:11]
	v_addc_co_u32_e32 v29, vcc, v22, v29, vcc
	v_add_co_u32_e32 v32, vcc, s12, v9
	v_addc_co_u32_e32 v33, vcc, v22, v10, vcc
	v_add_u32_e32 v10, 10, v12
	s_waitcnt vmcnt(2)
	v_fmac_f32_e32 v15, v40, v34
	v_fmac_f32_e32 v18, v41, v34
	s_waitcnt vmcnt(1)
	v_fmac_f32_e32 v7, v36, v34
	v_fmac_f32_e32 v17, v37, v34
	v_fma_f32 v15, -v41, v35, v15
	v_fmac_f32_e32 v18, v40, v35
	v_fma_f32 v7, -v37, v35, v7
	v_fmac_f32_e32 v17, v36, v35
	global_load_dwordx2 v[34:35], v[19:20], off
	global_load_dwordx2 v[36:37], v[24:25], off
	global_load_dwordx2 v[40:41], v[26:27], off
	;; [unrolled: 25-line block ×3, first 2 shown]
	v_lshlrev_b64 v[13:14], 3, v[10:11]
	v_add_u32_e32 v10, -1, v8
	v_lshlrev_b64 v[28:29], 3, v[10:11]
	v_add_co_u32_e32 v13, vcc, s14, v13
	v_add_u32_e32 v10, -13, v8
	v_addc_co_u32_e32 v14, vcc, v23, v14, vcc
	v_lshlrev_b64 v[32:33], 3, v[10:11]
	v_add_co_u32_e32 v28, vcc, s12, v28
	v_add_u32_e32 v10, 12, v12
	v_addc_co_u32_e32 v29, vcc, v22, v29, vcc
	v_add_co_u32_e32 v32, vcc, s12, v32
	v_lshlrev_b64 v[9:10], 3, v[10:11]
	v_addc_co_u32_e32 v33, vcc, v22, v33, vcc
	v_add_co_u32_e32 v9, vcc, s14, v9
	v_addc_co_u32_e32 v10, vcc, v23, v10, vcc
	v_cmp_ge_i32_e32 vcc, v6, v16
	s_or_b64 s[0:1], vcc, s[0:1]
	v_add_u32_e32 v8, 0x680, v8
	s_waitcnt vmcnt(2)
	v_fmac_f32_e32 v15, v40, v34
	v_fmac_f32_e32 v18, v41, v34
	s_waitcnt vmcnt(1)
	v_fmac_f32_e32 v7, v36, v34
	v_fmac_f32_e32 v17, v37, v34
	v_fma_f32 v15, -v41, v35, v15
	v_fmac_f32_e32 v18, v40, v35
	v_fma_f32 v7, -v37, v35, v7
	v_fmac_f32_e32 v17, v36, v35
	global_load_dwordx2 v[34:35], v[30:31], off
	global_load_dwordx2 v[36:37], v[19:20], off
	;; [unrolled: 1-line block ×8, first 2 shown]
	s_waitcnt vmcnt(6)
	v_fmac_f32_e32 v15, v38, v36
	v_fmac_f32_e32 v18, v39, v36
	s_waitcnt vmcnt(5)
	v_fmac_f32_e32 v7, v40, v36
	v_fmac_f32_e32 v17, v41, v36
	v_fma_f32 v9, -v39, v37, v15
	v_fmac_f32_e32 v18, v38, v37
	v_fma_f32 v7, -v41, v37, v7
	v_fmac_f32_e32 v17, v40, v37
	s_waitcnt vmcnt(3)
	v_fmac_f32_e32 v9, v42, v44
	v_fmac_f32_e32 v18, v43, v44
	s_waitcnt vmcnt(2)
	v_fmac_f32_e32 v7, v46, v44
	v_fmac_f32_e32 v17, v47, v44
	v_fma_f32 v9, -v43, v45, v9
	v_fmac_f32_e32 v18, v42, v45
	v_fma_f32 v7, -v47, v45, v7
	v_fmac_f32_e32 v17, v46, v45
	s_waitcnt vmcnt(0)
	v_fmac_f32_e32 v9, v48, v50
	v_fmac_f32_e32 v18, v49, v50
	;; [unrolled: 1-line block ×4, first 2 shown]
	v_fma_f32 v20, -v49, v51, v9
	v_fmac_f32_e32 v18, v48, v51
	v_fma_f32 v19, -v35, v51, v7
	v_fmac_f32_e32 v17, v34, v51
	s_andn2_b64 exec, exec, s[0:1]
	s_cbranch_execnz .LBB211_17
; %bb.18:
	s_or_b64 exec, exec, s[0:1]
.LBB211_19:
	s_or_b64 exec, exec, s[6:7]
.LBB211_20:
	v_mov_b32_dpp v6, v20 row_shr:1 row_mask:0xf bank_mask:0xf
	v_mov_b32_dpp v8, v18 row_shr:1 row_mask:0xf bank_mask:0xf
	v_mov_b32_dpp v10, v19 row_shr:1 row_mask:0xf bank_mask:0xf
	v_mov_b32_dpp v12, v17 row_shr:1 row_mask:0xf bank_mask:0xf
	v_add_f32_e32 v6, v20, v6
	v_add_f32_e32 v8, v18, v8
	v_add_f32_e32 v10, v19, v10
	v_add_f32_e32 v12, v17, v12
	v_mov_b32_dpp v7, v6 row_shr:2 row_mask:0xf bank_mask:0xf
	v_mov_b32_dpp v9, v8 row_shr:2 row_mask:0xf bank_mask:0xf
	v_mov_b32_dpp v11, v10 row_shr:2 row_mask:0xf bank_mask:0xf
	v_mov_b32_dpp v13, v12 row_shr:2 row_mask:0xf bank_mask:0xf
	v_add_f32_e32 v6, v6, v7
	v_add_f32_e32 v8, v8, v9
	v_add_f32_e32 v10, v10, v11
	v_add_f32_e32 v12, v12, v13
	;; [unrolled: 8-line block ×4, first 2 shown]
	v_mov_b32_dpp v7, v6 row_bcast:15 row_mask:0xa bank_mask:0xf
	v_mov_b32_dpp v9, v8 row_bcast:15 row_mask:0xa bank_mask:0xf
	;; [unrolled: 1-line block ×4, first 2 shown]
	v_add_f32_e32 v6, v6, v7
	v_add_f32_e32 v8, v8, v9
	;; [unrolled: 1-line block ×4, first 2 shown]
	v_mov_b32_dpp v7, v6 row_bcast:31 row_mask:0xc bank_mask:0xf
	v_mov_b32_dpp v9, v8 row_bcast:31 row_mask:0xc bank_mask:0xf
	;; [unrolled: 1-line block ×4, first 2 shown]
	v_cmp_eq_u32_e32 vcc, 63, v0
	s_and_b64 exec, exec, vcc
	s_cbranch_execz .LBB211_25
; %bb.21:
	s_load_dwordx2 s[2:3], s[4:5], 0x38
	v_cmp_eq_f32_e32 vcc, 0, v3
	v_cmp_eq_f32_e64 s[0:1], 0, v4
	v_add_f32_e32 v7, v6, v7
	v_add_f32_e32 v8, v8, v9
	;; [unrolled: 1-line block ×4, first 2 shown]
	s_and_b64 s[0:1], vcc, s[0:1]
	s_and_saveexec_b64 s[4:5], s[0:1]
	s_xor_b64 s[0:1], exec, s[4:5]
	s_cbranch_execz .LBB211_23
; %bb.22:
	v_mul_f32_e64 v3, v8, -v2
	v_mul_f32_e32 v4, v1, v8
	v_fmac_f32_e32 v3, v1, v7
	v_fmac_f32_e32 v4, v2, v7
	v_lshlrev_b32_e32 v7, 1, v5
	v_ashrrev_i32_e32 v8, 31, v7
	v_lshlrev_b64 v[7:8], 3, v[7:8]
	s_waitcnt lgkmcnt(0)
	v_mov_b32_e32 v5, s3
	v_add_co_u32_e32 v7, vcc, s2, v7
	v_addc_co_u32_e32 v8, vcc, v5, v8, vcc
	v_mul_f32_e64 v5, v6, -v2
	v_mul_f32_e32 v6, v1, v6
	v_fmac_f32_e32 v5, v1, v0
	v_fmac_f32_e32 v6, v2, v0
	global_store_dwordx4 v[7:8], v[3:6], off
                                        ; implicit-def: $vgpr5
                                        ; implicit-def: $vgpr1_vgpr2
                                        ; implicit-def: $vgpr8
                                        ; implicit-def: $vgpr7
                                        ; implicit-def: $vgpr3_vgpr4
                                        ; implicit-def: $vgpr6
                                        ; implicit-def: $vgpr0
.LBB211_23:
	s_andn2_saveexec_b64 s[0:1], s[0:1]
	s_cbranch_execz .LBB211_25
; %bb.24:
	v_lshlrev_b32_e32 v9, 1, v5
	v_ashrrev_i32_e32 v10, 31, v9
	v_lshlrev_b64 v[9:10], 3, v[9:10]
	s_waitcnt lgkmcnt(0)
	v_mov_b32_e32 v5, s3
	v_add_co_u32_e32 v17, vcc, s2, v9
	v_addc_co_u32_e32 v18, vcc, v5, v10, vcc
	global_load_dwordx4 v[9:12], v[17:18], off
	v_mul_f32_e64 v5, v8, -v2
	v_mul_f32_e32 v14, v1, v8
	v_mul_f32_e64 v8, v6, -v2
	v_mul_f32_e32 v16, v1, v6
	v_fmac_f32_e32 v5, v1, v7
	v_fmac_f32_e32 v14, v2, v7
	v_fmac_f32_e32 v8, v1, v0
	v_fmac_f32_e32 v16, v2, v0
	s_waitcnt vmcnt(0)
	v_fmac_f32_e32 v5, v3, v9
	v_fmac_f32_e32 v14, v4, v9
	;; [unrolled: 1-line block ×4, first 2 shown]
	v_fma_f32 v13, -v4, v10, v5
	v_fmac_f32_e32 v14, v3, v10
	v_fma_f32 v15, -v4, v12, v8
	v_fmac_f32_e32 v16, v3, v12
	global_store_dwordx4 v[17:18], v[13:16], off
.LBB211_25:
	s_endpgm
	.section	.rodata,"a",@progbits
	.p2align	6, 0x0
	.amdhsa_kernel _ZN9rocsparseL19gebsrmvn_2xn_kernelILj128ELj13ELj64E21rocsparse_complex_numIfEEEvi20rocsparse_direction_NS_24const_host_device_scalarIT2_EEPKiS8_PKS5_SA_S6_PS5_21rocsparse_index_base_b
		.amdhsa_group_segment_fixed_size 0
		.amdhsa_private_segment_fixed_size 0
		.amdhsa_kernarg_size 72
		.amdhsa_user_sgpr_count 6
		.amdhsa_user_sgpr_private_segment_buffer 1
		.amdhsa_user_sgpr_dispatch_ptr 0
		.amdhsa_user_sgpr_queue_ptr 0
		.amdhsa_user_sgpr_kernarg_segment_ptr 1
		.amdhsa_user_sgpr_dispatch_id 0
		.amdhsa_user_sgpr_flat_scratch_init 0
		.amdhsa_user_sgpr_private_segment_size 0
		.amdhsa_uses_dynamic_stack 0
		.amdhsa_system_sgpr_private_segment_wavefront_offset 0
		.amdhsa_system_sgpr_workgroup_id_x 1
		.amdhsa_system_sgpr_workgroup_id_y 0
		.amdhsa_system_sgpr_workgroup_id_z 0
		.amdhsa_system_sgpr_workgroup_info 0
		.amdhsa_system_vgpr_workitem_id 0
		.amdhsa_next_free_vgpr 52
		.amdhsa_next_free_sgpr 16
		.amdhsa_reserve_vcc 1
		.amdhsa_reserve_flat_scratch 0
		.amdhsa_float_round_mode_32 0
		.amdhsa_float_round_mode_16_64 0
		.amdhsa_float_denorm_mode_32 3
		.amdhsa_float_denorm_mode_16_64 3
		.amdhsa_dx10_clamp 1
		.amdhsa_ieee_mode 1
		.amdhsa_fp16_overflow 0
		.amdhsa_exception_fp_ieee_invalid_op 0
		.amdhsa_exception_fp_denorm_src 0
		.amdhsa_exception_fp_ieee_div_zero 0
		.amdhsa_exception_fp_ieee_overflow 0
		.amdhsa_exception_fp_ieee_underflow 0
		.amdhsa_exception_fp_ieee_inexact 0
		.amdhsa_exception_int_div_zero 0
	.end_amdhsa_kernel
	.section	.text._ZN9rocsparseL19gebsrmvn_2xn_kernelILj128ELj13ELj64E21rocsparse_complex_numIfEEEvi20rocsparse_direction_NS_24const_host_device_scalarIT2_EEPKiS8_PKS5_SA_S6_PS5_21rocsparse_index_base_b,"axG",@progbits,_ZN9rocsparseL19gebsrmvn_2xn_kernelILj128ELj13ELj64E21rocsparse_complex_numIfEEEvi20rocsparse_direction_NS_24const_host_device_scalarIT2_EEPKiS8_PKS5_SA_S6_PS5_21rocsparse_index_base_b,comdat
.Lfunc_end211:
	.size	_ZN9rocsparseL19gebsrmvn_2xn_kernelILj128ELj13ELj64E21rocsparse_complex_numIfEEEvi20rocsparse_direction_NS_24const_host_device_scalarIT2_EEPKiS8_PKS5_SA_S6_PS5_21rocsparse_index_base_b, .Lfunc_end211-_ZN9rocsparseL19gebsrmvn_2xn_kernelILj128ELj13ELj64E21rocsparse_complex_numIfEEEvi20rocsparse_direction_NS_24const_host_device_scalarIT2_EEPKiS8_PKS5_SA_S6_PS5_21rocsparse_index_base_b
                                        ; -- End function
	.set _ZN9rocsparseL19gebsrmvn_2xn_kernelILj128ELj13ELj64E21rocsparse_complex_numIfEEEvi20rocsparse_direction_NS_24const_host_device_scalarIT2_EEPKiS8_PKS5_SA_S6_PS5_21rocsparse_index_base_b.num_vgpr, 52
	.set _ZN9rocsparseL19gebsrmvn_2xn_kernelILj128ELj13ELj64E21rocsparse_complex_numIfEEEvi20rocsparse_direction_NS_24const_host_device_scalarIT2_EEPKiS8_PKS5_SA_S6_PS5_21rocsparse_index_base_b.num_agpr, 0
	.set _ZN9rocsparseL19gebsrmvn_2xn_kernelILj128ELj13ELj64E21rocsparse_complex_numIfEEEvi20rocsparse_direction_NS_24const_host_device_scalarIT2_EEPKiS8_PKS5_SA_S6_PS5_21rocsparse_index_base_b.numbered_sgpr, 16
	.set _ZN9rocsparseL19gebsrmvn_2xn_kernelILj128ELj13ELj64E21rocsparse_complex_numIfEEEvi20rocsparse_direction_NS_24const_host_device_scalarIT2_EEPKiS8_PKS5_SA_S6_PS5_21rocsparse_index_base_b.num_named_barrier, 0
	.set _ZN9rocsparseL19gebsrmvn_2xn_kernelILj128ELj13ELj64E21rocsparse_complex_numIfEEEvi20rocsparse_direction_NS_24const_host_device_scalarIT2_EEPKiS8_PKS5_SA_S6_PS5_21rocsparse_index_base_b.private_seg_size, 0
	.set _ZN9rocsparseL19gebsrmvn_2xn_kernelILj128ELj13ELj64E21rocsparse_complex_numIfEEEvi20rocsparse_direction_NS_24const_host_device_scalarIT2_EEPKiS8_PKS5_SA_S6_PS5_21rocsparse_index_base_b.uses_vcc, 1
	.set _ZN9rocsparseL19gebsrmvn_2xn_kernelILj128ELj13ELj64E21rocsparse_complex_numIfEEEvi20rocsparse_direction_NS_24const_host_device_scalarIT2_EEPKiS8_PKS5_SA_S6_PS5_21rocsparse_index_base_b.uses_flat_scratch, 0
	.set _ZN9rocsparseL19gebsrmvn_2xn_kernelILj128ELj13ELj64E21rocsparse_complex_numIfEEEvi20rocsparse_direction_NS_24const_host_device_scalarIT2_EEPKiS8_PKS5_SA_S6_PS5_21rocsparse_index_base_b.has_dyn_sized_stack, 0
	.set _ZN9rocsparseL19gebsrmvn_2xn_kernelILj128ELj13ELj64E21rocsparse_complex_numIfEEEvi20rocsparse_direction_NS_24const_host_device_scalarIT2_EEPKiS8_PKS5_SA_S6_PS5_21rocsparse_index_base_b.has_recursion, 0
	.set _ZN9rocsparseL19gebsrmvn_2xn_kernelILj128ELj13ELj64E21rocsparse_complex_numIfEEEvi20rocsparse_direction_NS_24const_host_device_scalarIT2_EEPKiS8_PKS5_SA_S6_PS5_21rocsparse_index_base_b.has_indirect_call, 0
	.section	.AMDGPU.csdata,"",@progbits
; Kernel info:
; codeLenInByte = 3356
; TotalNumSgprs: 20
; NumVgprs: 52
; ScratchSize: 0
; MemoryBound: 0
; FloatMode: 240
; IeeeMode: 1
; LDSByteSize: 0 bytes/workgroup (compile time only)
; SGPRBlocks: 2
; VGPRBlocks: 12
; NumSGPRsForWavesPerEU: 20
; NumVGPRsForWavesPerEU: 52
; Occupancy: 4
; WaveLimiterHint : 1
; COMPUTE_PGM_RSRC2:SCRATCH_EN: 0
; COMPUTE_PGM_RSRC2:USER_SGPR: 6
; COMPUTE_PGM_RSRC2:TRAP_HANDLER: 0
; COMPUTE_PGM_RSRC2:TGID_X_EN: 1
; COMPUTE_PGM_RSRC2:TGID_Y_EN: 0
; COMPUTE_PGM_RSRC2:TGID_Z_EN: 0
; COMPUTE_PGM_RSRC2:TIDIG_COMP_CNT: 0
	.section	.text._ZN9rocsparseL19gebsrmvn_2xn_kernelILj128ELj14ELj4E21rocsparse_complex_numIfEEEvi20rocsparse_direction_NS_24const_host_device_scalarIT2_EEPKiS8_PKS5_SA_S6_PS5_21rocsparse_index_base_b,"axG",@progbits,_ZN9rocsparseL19gebsrmvn_2xn_kernelILj128ELj14ELj4E21rocsparse_complex_numIfEEEvi20rocsparse_direction_NS_24const_host_device_scalarIT2_EEPKiS8_PKS5_SA_S6_PS5_21rocsparse_index_base_b,comdat
	.globl	_ZN9rocsparseL19gebsrmvn_2xn_kernelILj128ELj14ELj4E21rocsparse_complex_numIfEEEvi20rocsparse_direction_NS_24const_host_device_scalarIT2_EEPKiS8_PKS5_SA_S6_PS5_21rocsparse_index_base_b ; -- Begin function _ZN9rocsparseL19gebsrmvn_2xn_kernelILj128ELj14ELj4E21rocsparse_complex_numIfEEEvi20rocsparse_direction_NS_24const_host_device_scalarIT2_EEPKiS8_PKS5_SA_S6_PS5_21rocsparse_index_base_b
	.p2align	8
	.type	_ZN9rocsparseL19gebsrmvn_2xn_kernelILj128ELj14ELj4E21rocsparse_complex_numIfEEEvi20rocsparse_direction_NS_24const_host_device_scalarIT2_EEPKiS8_PKS5_SA_S6_PS5_21rocsparse_index_base_b,@function
_ZN9rocsparseL19gebsrmvn_2xn_kernelILj128ELj14ELj4E21rocsparse_complex_numIfEEEvi20rocsparse_direction_NS_24const_host_device_scalarIT2_EEPKiS8_PKS5_SA_S6_PS5_21rocsparse_index_base_b: ; @_ZN9rocsparseL19gebsrmvn_2xn_kernelILj128ELj14ELj4E21rocsparse_complex_numIfEEEvi20rocsparse_direction_NS_24const_host_device_scalarIT2_EEPKiS8_PKS5_SA_S6_PS5_21rocsparse_index_base_b
; %bb.0:
	s_load_dwordx2 s[0:1], s[4:5], 0x8
	s_load_dwordx2 s[8:9], s[4:5], 0x30
	;; [unrolled: 1-line block ×3, first 2 shown]
	s_add_u32 s7, s4, 8
	s_addc_u32 s10, s5, 0
	s_add_u32 s11, s4, 48
	s_addc_u32 s12, s5, 0
	s_waitcnt lgkmcnt(0)
	s_bitcmp1_b32 s3, 0
	s_cselect_b32 s1, s10, s1
	s_cselect_b32 s0, s7, s0
	v_mov_b32_e32 v1, s0
	v_mov_b32_e32 v2, s1
	flat_load_dwordx2 v[1:2], v[1:2]
	s_cselect_b32 s0, s12, s9
	s_cselect_b32 s1, s11, s8
	v_mov_b32_e32 v3, s1
	v_mov_b32_e32 v4, s0
	flat_load_dwordx2 v[3:4], v[3:4]
	s_waitcnt vmcnt(0) lgkmcnt(0)
	v_cmp_eq_f32_e32 vcc, 0, v1
	v_cmp_eq_f32_e64 s[0:1], 0, v2
	s_and_b64 s[10:11], vcc, s[0:1]
	s_mov_b64 s[0:1], -1
	s_and_saveexec_b64 s[8:9], s[10:11]
; %bb.1:
	v_cmp_neq_f32_e32 vcc, 1.0, v3
	v_cmp_neq_f32_e64 s[0:1], 0, v4
	s_or_b64 s[0:1], vcc, s[0:1]
	s_orn2_b64 s[0:1], s[0:1], exec
; %bb.2:
	s_or_b64 exec, exec, s[8:9]
	s_and_saveexec_b64 s[8:9], s[0:1]
	s_cbranch_execz .LBB212_25
; %bb.3:
	s_load_dwordx2 s[0:1], s[4:5], 0x0
	v_lshrrev_b32_e32 v5, 2, v0
	v_lshl_or_b32 v5, s6, 5, v5
	s_waitcnt lgkmcnt(0)
	v_cmp_gt_i32_e32 vcc, s0, v5
	s_and_b64 exec, exec, vcc
	s_cbranch_execz .LBB212_25
; %bb.4:
	s_load_dwordx8 s[8:15], s[4:5], 0x10
	v_ashrrev_i32_e32 v6, 31, v5
	v_lshlrev_b64 v[6:7], 2, v[5:6]
	v_and_b32_e32 v0, 3, v0
	s_cmp_lg_u32 s1, 0
	s_waitcnt lgkmcnt(0)
	v_mov_b32_e32 v8, s9
	v_add_co_u32_e32 v6, vcc, s8, v6
	v_addc_co_u32_e32 v7, vcc, v8, v7, vcc
	global_load_dwordx2 v[7:8], v[6:7], off
	s_waitcnt vmcnt(0)
	v_subrev_u32_e32 v6, s2, v7
	v_subrev_u32_e32 v12, s2, v8
	v_add_u32_e32 v6, v6, v0
	v_cmp_lt_i32_e64 s[0:1], v6, v12
	s_cbranch_scc0 .LBB212_12
; %bb.5:
	v_mov_b32_e32 v13, 0
	v_mov_b32_e32 v16, 0
	;; [unrolled: 1-line block ×4, first 2 shown]
	s_and_saveexec_b64 s[6:7], s[0:1]
	s_cbranch_execz .LBB212_11
; %bb.6:
	v_mul_lo_u32 v17, v6, 28
	v_mov_b32_e32 v9, 0
	s_mov_b64 s[8:9], 0
	v_mov_b32_e32 v18, s11
	v_mov_b32_e32 v19, s13
	;; [unrolled: 1-line block ×8, first 2 shown]
.LBB212_7:                              ; =>This Loop Header: Depth=1
                                        ;     Child Loop BB212_8 Depth 2
	v_ashrrev_i32_e32 v11, 31, v10
	v_lshlrev_b64 v[21:22], 2, v[10:11]
	s_mov_b32 s3, 0
	v_add_co_u32_e32 v21, vcc, s10, v21
	v_addc_co_u32_e32 v22, vcc, v18, v22, vcc
	global_load_dword v8, v[21:22], off
	s_waitcnt vmcnt(0)
	v_subrev_u32_e32 v8, s2, v8
	v_mul_lo_u32 v11, v8, 14
	v_mov_b32_e32 v8, v17
.LBB212_8:                              ;   Parent Loop BB212_7 Depth=1
                                        ; =>  This Inner Loop Header: Depth=2
	v_lshlrev_b64 v[21:22], 3, v[8:9]
	v_add_u32_e32 v23, s3, v11
	v_mov_b32_e32 v24, v9
	v_lshlrev_b64 v[24:25], 3, v[23:24]
	v_add_co_u32_e32 v33, vcc, s12, v21
	v_addc_co_u32_e32 v34, vcc, v19, v22, vcc
	v_add_co_u32_e32 v35, vcc, s14, v24
	global_load_dwordx4 v[21:24], v[33:34], off
	v_addc_co_u32_e32 v36, vcc, v20, v25, vcc
	global_load_dwordx4 v[25:28], v[35:36], off
	global_load_dwordx4 v[29:32], v[33:34], off offset:16
	s_add_i32 s3, s3, 2
	v_add_u32_e32 v8, 4, v8
	s_cmp_eq_u32 s3, 14
	s_waitcnt vmcnt(1)
	v_fmac_f32_e32 v16, v21, v25
	v_fmac_f32_e32 v13, v22, v25
	;; [unrolled: 1-line block ×4, first 2 shown]
	v_fma_f32 v16, -v22, v26, v16
	v_fmac_f32_e32 v13, v21, v26
	v_fma_f32 v15, -v24, v26, v15
	v_fmac_f32_e32 v14, v23, v26
	s_waitcnt vmcnt(0)
	v_fmac_f32_e32 v16, v29, v27
	v_fmac_f32_e32 v13, v30, v27
	;; [unrolled: 1-line block ×4, first 2 shown]
	v_fma_f32 v16, -v30, v28, v16
	v_fmac_f32_e32 v13, v29, v28
	v_fma_f32 v15, -v32, v28, v15
	v_fmac_f32_e32 v14, v31, v28
	s_cbranch_scc0 .LBB212_8
; %bb.9:                                ;   in Loop: Header=BB212_7 Depth=1
	v_add_u32_e32 v10, 4, v10
	v_cmp_ge_i32_e32 vcc, v10, v12
	s_or_b64 s[8:9], vcc, s[8:9]
	v_add_u32_e32 v17, 0x70, v17
	s_andn2_b64 exec, exec, s[8:9]
	s_cbranch_execnz .LBB212_7
; %bb.10:
	s_or_b64 exec, exec, s[8:9]
.LBB212_11:
	s_or_b64 exec, exec, s[6:7]
	s_cbranch_execz .LBB212_13
	s_branch .LBB212_20
.LBB212_12:
                                        ; implicit-def: $vgpr13
                                        ; implicit-def: $vgpr16
                                        ; implicit-def: $vgpr15
                                        ; implicit-def: $vgpr14
.LBB212_13:
	v_mov_b32_e32 v13, 0
	v_mov_b32_e32 v16, 0
	;; [unrolled: 1-line block ×4, first 2 shown]
	s_and_saveexec_b64 s[6:7], s[0:1]
	s_cbranch_execz .LBB212_19
; %bb.14:
	v_mul_lo_u32 v7, v7, 28
	v_mul_lo_u32 v9, v6, 28
	s_mul_i32 s0, s2, 28
	v_mov_b32_e32 v8, 0
	v_mad_u32_u24 v7, v0, 28, v7
	v_subrev_u32_e32 v10, s0, v7
	s_mov_b64 s[0:1], 0
	v_mov_b32_e32 v11, s11
	v_mov_b32_e32 v17, s13
	v_mov_b32_e32 v18, s15
	v_mov_b32_e32 v13, 0
	v_mov_b32_e32 v16, 0
	v_mov_b32_e32 v15, 0
	v_mov_b32_e32 v14, 0
.LBB212_15:                             ; =>This Loop Header: Depth=1
                                        ;     Child Loop BB212_16 Depth 2
	v_ashrrev_i32_e32 v7, 31, v6
	v_lshlrev_b64 v[19:20], 2, v[6:7]
	s_mov_b32 s3, 0
	v_add_co_u32_e32 v19, vcc, s10, v19
	v_addc_co_u32_e32 v20, vcc, v11, v20, vcc
	global_load_dword v7, v[19:20], off
	s_waitcnt vmcnt(0)
	v_subrev_u32_e32 v7, s2, v7
	v_mul_lo_u32 v19, v7, 14
.LBB212_16:                             ;   Parent Loop BB212_15 Depth=1
                                        ; =>  This Inner Loop Header: Depth=2
	v_add_u32_e32 v7, s3, v10
	v_lshlrev_b64 v[20:21], 3, v[7:8]
	v_add_u32_e32 v7, s3, v19
	v_lshlrev_b64 v[24:25], 3, v[7:8]
	v_add_co_u32_e32 v20, vcc, s12, v20
	v_add3_u32 v7, v9, s3, 14
	v_addc_co_u32_e32 v21, vcc, v17, v21, vcc
	v_lshlrev_b64 v[28:29], 3, v[7:8]
	v_add_co_u32_e32 v24, vcc, s14, v24
	v_addc_co_u32_e32 v25, vcc, v18, v25, vcc
	v_add_co_u32_e32 v28, vcc, s12, v28
	v_addc_co_u32_e32 v29, vcc, v17, v29, vcc
	global_load_dwordx4 v[20:23], v[20:21], off
	s_add_i32 s3, s3, 2
	global_load_dwordx4 v[24:27], v[24:25], off
	s_cmp_eq_u32 s3, 14
	global_load_dwordx4 v[28:31], v[28:29], off
	s_waitcnt vmcnt(1)
	v_fmac_f32_e32 v16, v20, v24
	v_fmac_f32_e32 v13, v21, v24
	s_waitcnt vmcnt(0)
	v_fmac_f32_e32 v15, v28, v24
	v_fmac_f32_e32 v14, v29, v24
	v_fma_f32 v7, -v21, v25, v16
	v_fmac_f32_e32 v13, v20, v25
	v_fma_f32 v15, -v29, v25, v15
	v_fmac_f32_e32 v14, v28, v25
	v_fmac_f32_e32 v7, v22, v26
	;; [unrolled: 1-line block ×5, first 2 shown]
	v_fma_f32 v16, -v23, v27, v7
	v_fmac_f32_e32 v13, v22, v27
	v_fma_f32 v15, -v31, v27, v15
	v_fmac_f32_e32 v14, v30, v27
	s_cbranch_scc0 .LBB212_16
; %bb.17:                               ;   in Loop: Header=BB212_15 Depth=1
	v_add_u32_e32 v6, 4, v6
	v_cmp_ge_i32_e32 vcc, v6, v12
	v_add_u32_e32 v9, 0x70, v9
	s_or_b64 s[0:1], vcc, s[0:1]
	v_add_u32_e32 v10, 0x70, v10
	s_andn2_b64 exec, exec, s[0:1]
	s_cbranch_execnz .LBB212_15
; %bb.18:
	s_or_b64 exec, exec, s[0:1]
.LBB212_19:
	s_or_b64 exec, exec, s[6:7]
.LBB212_20:
	v_mov_b32_dpp v6, v16 row_shr:1 row_mask:0xf bank_mask:0xf
	v_mov_b32_dpp v8, v13 row_shr:1 row_mask:0xf bank_mask:0xf
	;; [unrolled: 1-line block ×4, first 2 shown]
	v_add_f32_e32 v6, v16, v6
	v_add_f32_e32 v8, v13, v8
	;; [unrolled: 1-line block ×4, first 2 shown]
	v_mov_b32_dpp v7, v6 row_shr:2 row_mask:0xf bank_mask:0xf
	v_mov_b32_dpp v9, v8 row_shr:2 row_mask:0xf bank_mask:0xf
	;; [unrolled: 1-line block ×4, first 2 shown]
	v_cmp_eq_u32_e32 vcc, 3, v0
	s_and_b64 exec, exec, vcc
	s_cbranch_execz .LBB212_25
; %bb.21:
	s_load_dwordx2 s[2:3], s[4:5], 0x38
	v_cmp_eq_f32_e32 vcc, 0, v3
	v_cmp_eq_f32_e64 s[0:1], 0, v4
	v_add_f32_e32 v7, v6, v7
	v_add_f32_e32 v8, v8, v9
	;; [unrolled: 1-line block ×4, first 2 shown]
	s_and_b64 s[0:1], vcc, s[0:1]
	s_and_saveexec_b64 s[4:5], s[0:1]
	s_xor_b64 s[0:1], exec, s[4:5]
	s_cbranch_execz .LBB212_23
; %bb.22:
	v_mul_f32_e64 v3, v8, -v2
	v_mul_f32_e32 v4, v1, v8
	v_fmac_f32_e32 v3, v1, v7
	v_fmac_f32_e32 v4, v2, v7
	v_lshlrev_b32_e32 v7, 1, v5
	v_ashrrev_i32_e32 v8, 31, v7
	v_lshlrev_b64 v[7:8], 3, v[7:8]
	s_waitcnt lgkmcnt(0)
	v_mov_b32_e32 v5, s3
	v_add_co_u32_e32 v7, vcc, s2, v7
	v_addc_co_u32_e32 v8, vcc, v5, v8, vcc
	v_mul_f32_e64 v5, v6, -v2
	v_mul_f32_e32 v6, v1, v6
	v_fmac_f32_e32 v5, v1, v0
	v_fmac_f32_e32 v6, v2, v0
	global_store_dwordx4 v[7:8], v[3:6], off
                                        ; implicit-def: $vgpr5
                                        ; implicit-def: $vgpr1_vgpr2
                                        ; implicit-def: $vgpr8
                                        ; implicit-def: $vgpr7
                                        ; implicit-def: $vgpr3_vgpr4
                                        ; implicit-def: $vgpr6
                                        ; implicit-def: $vgpr0
.LBB212_23:
	s_andn2_saveexec_b64 s[0:1], s[0:1]
	s_cbranch_execz .LBB212_25
; %bb.24:
	v_lshlrev_b32_e32 v9, 1, v5
	v_ashrrev_i32_e32 v10, 31, v9
	v_lshlrev_b64 v[9:10], 3, v[9:10]
	s_waitcnt lgkmcnt(0)
	v_mov_b32_e32 v5, s3
	v_add_co_u32_e32 v17, vcc, s2, v9
	v_addc_co_u32_e32 v18, vcc, v5, v10, vcc
	global_load_dwordx4 v[9:12], v[17:18], off
	v_mul_f32_e64 v5, v8, -v2
	v_mul_f32_e32 v14, v1, v8
	v_mul_f32_e64 v8, v6, -v2
	v_mul_f32_e32 v16, v1, v6
	v_fmac_f32_e32 v5, v1, v7
	v_fmac_f32_e32 v14, v2, v7
	;; [unrolled: 1-line block ×4, first 2 shown]
	s_waitcnt vmcnt(0)
	v_fmac_f32_e32 v5, v3, v9
	v_fmac_f32_e32 v14, v4, v9
	;; [unrolled: 1-line block ×4, first 2 shown]
	v_fma_f32 v13, -v4, v10, v5
	v_fmac_f32_e32 v14, v3, v10
	v_fma_f32 v15, -v4, v12, v8
	v_fmac_f32_e32 v16, v3, v12
	global_store_dwordx4 v[17:18], v[13:16], off
.LBB212_25:
	s_endpgm
	.section	.rodata,"a",@progbits
	.p2align	6, 0x0
	.amdhsa_kernel _ZN9rocsparseL19gebsrmvn_2xn_kernelILj128ELj14ELj4E21rocsparse_complex_numIfEEEvi20rocsparse_direction_NS_24const_host_device_scalarIT2_EEPKiS8_PKS5_SA_S6_PS5_21rocsparse_index_base_b
		.amdhsa_group_segment_fixed_size 0
		.amdhsa_private_segment_fixed_size 0
		.amdhsa_kernarg_size 72
		.amdhsa_user_sgpr_count 6
		.amdhsa_user_sgpr_private_segment_buffer 1
		.amdhsa_user_sgpr_dispatch_ptr 0
		.amdhsa_user_sgpr_queue_ptr 0
		.amdhsa_user_sgpr_kernarg_segment_ptr 1
		.amdhsa_user_sgpr_dispatch_id 0
		.amdhsa_user_sgpr_flat_scratch_init 0
		.amdhsa_user_sgpr_private_segment_size 0
		.amdhsa_uses_dynamic_stack 0
		.amdhsa_system_sgpr_private_segment_wavefront_offset 0
		.amdhsa_system_sgpr_workgroup_id_x 1
		.amdhsa_system_sgpr_workgroup_id_y 0
		.amdhsa_system_sgpr_workgroup_id_z 0
		.amdhsa_system_sgpr_workgroup_info 0
		.amdhsa_system_vgpr_workitem_id 0
		.amdhsa_next_free_vgpr 37
		.amdhsa_next_free_sgpr 16
		.amdhsa_reserve_vcc 1
		.amdhsa_reserve_flat_scratch 0
		.amdhsa_float_round_mode_32 0
		.amdhsa_float_round_mode_16_64 0
		.amdhsa_float_denorm_mode_32 3
		.amdhsa_float_denorm_mode_16_64 3
		.amdhsa_dx10_clamp 1
		.amdhsa_ieee_mode 1
		.amdhsa_fp16_overflow 0
		.amdhsa_exception_fp_ieee_invalid_op 0
		.amdhsa_exception_fp_denorm_src 0
		.amdhsa_exception_fp_ieee_div_zero 0
		.amdhsa_exception_fp_ieee_overflow 0
		.amdhsa_exception_fp_ieee_underflow 0
		.amdhsa_exception_fp_ieee_inexact 0
		.amdhsa_exception_int_div_zero 0
	.end_amdhsa_kernel
	.section	.text._ZN9rocsparseL19gebsrmvn_2xn_kernelILj128ELj14ELj4E21rocsparse_complex_numIfEEEvi20rocsparse_direction_NS_24const_host_device_scalarIT2_EEPKiS8_PKS5_SA_S6_PS5_21rocsparse_index_base_b,"axG",@progbits,_ZN9rocsparseL19gebsrmvn_2xn_kernelILj128ELj14ELj4E21rocsparse_complex_numIfEEEvi20rocsparse_direction_NS_24const_host_device_scalarIT2_EEPKiS8_PKS5_SA_S6_PS5_21rocsparse_index_base_b,comdat
.Lfunc_end212:
	.size	_ZN9rocsparseL19gebsrmvn_2xn_kernelILj128ELj14ELj4E21rocsparse_complex_numIfEEEvi20rocsparse_direction_NS_24const_host_device_scalarIT2_EEPKiS8_PKS5_SA_S6_PS5_21rocsparse_index_base_b, .Lfunc_end212-_ZN9rocsparseL19gebsrmvn_2xn_kernelILj128ELj14ELj4E21rocsparse_complex_numIfEEEvi20rocsparse_direction_NS_24const_host_device_scalarIT2_EEPKiS8_PKS5_SA_S6_PS5_21rocsparse_index_base_b
                                        ; -- End function
	.set _ZN9rocsparseL19gebsrmvn_2xn_kernelILj128ELj14ELj4E21rocsparse_complex_numIfEEEvi20rocsparse_direction_NS_24const_host_device_scalarIT2_EEPKiS8_PKS5_SA_S6_PS5_21rocsparse_index_base_b.num_vgpr, 37
	.set _ZN9rocsparseL19gebsrmvn_2xn_kernelILj128ELj14ELj4E21rocsparse_complex_numIfEEEvi20rocsparse_direction_NS_24const_host_device_scalarIT2_EEPKiS8_PKS5_SA_S6_PS5_21rocsparse_index_base_b.num_agpr, 0
	.set _ZN9rocsparseL19gebsrmvn_2xn_kernelILj128ELj14ELj4E21rocsparse_complex_numIfEEEvi20rocsparse_direction_NS_24const_host_device_scalarIT2_EEPKiS8_PKS5_SA_S6_PS5_21rocsparse_index_base_b.numbered_sgpr, 16
	.set _ZN9rocsparseL19gebsrmvn_2xn_kernelILj128ELj14ELj4E21rocsparse_complex_numIfEEEvi20rocsparse_direction_NS_24const_host_device_scalarIT2_EEPKiS8_PKS5_SA_S6_PS5_21rocsparse_index_base_b.num_named_barrier, 0
	.set _ZN9rocsparseL19gebsrmvn_2xn_kernelILj128ELj14ELj4E21rocsparse_complex_numIfEEEvi20rocsparse_direction_NS_24const_host_device_scalarIT2_EEPKiS8_PKS5_SA_S6_PS5_21rocsparse_index_base_b.private_seg_size, 0
	.set _ZN9rocsparseL19gebsrmvn_2xn_kernelILj128ELj14ELj4E21rocsparse_complex_numIfEEEvi20rocsparse_direction_NS_24const_host_device_scalarIT2_EEPKiS8_PKS5_SA_S6_PS5_21rocsparse_index_base_b.uses_vcc, 1
	.set _ZN9rocsparseL19gebsrmvn_2xn_kernelILj128ELj14ELj4E21rocsparse_complex_numIfEEEvi20rocsparse_direction_NS_24const_host_device_scalarIT2_EEPKiS8_PKS5_SA_S6_PS5_21rocsparse_index_base_b.uses_flat_scratch, 0
	.set _ZN9rocsparseL19gebsrmvn_2xn_kernelILj128ELj14ELj4E21rocsparse_complex_numIfEEEvi20rocsparse_direction_NS_24const_host_device_scalarIT2_EEPKiS8_PKS5_SA_S6_PS5_21rocsparse_index_base_b.has_dyn_sized_stack, 0
	.set _ZN9rocsparseL19gebsrmvn_2xn_kernelILj128ELj14ELj4E21rocsparse_complex_numIfEEEvi20rocsparse_direction_NS_24const_host_device_scalarIT2_EEPKiS8_PKS5_SA_S6_PS5_21rocsparse_index_base_b.has_recursion, 0
	.set _ZN9rocsparseL19gebsrmvn_2xn_kernelILj128ELj14ELj4E21rocsparse_complex_numIfEEEvi20rocsparse_direction_NS_24const_host_device_scalarIT2_EEPKiS8_PKS5_SA_S6_PS5_21rocsparse_index_base_b.has_indirect_call, 0
	.section	.AMDGPU.csdata,"",@progbits
; Kernel info:
; codeLenInByte = 1348
; TotalNumSgprs: 20
; NumVgprs: 37
; ScratchSize: 0
; MemoryBound: 0
; FloatMode: 240
; IeeeMode: 1
; LDSByteSize: 0 bytes/workgroup (compile time only)
; SGPRBlocks: 2
; VGPRBlocks: 9
; NumSGPRsForWavesPerEU: 20
; NumVGPRsForWavesPerEU: 37
; Occupancy: 6
; WaveLimiterHint : 1
; COMPUTE_PGM_RSRC2:SCRATCH_EN: 0
; COMPUTE_PGM_RSRC2:USER_SGPR: 6
; COMPUTE_PGM_RSRC2:TRAP_HANDLER: 0
; COMPUTE_PGM_RSRC2:TGID_X_EN: 1
; COMPUTE_PGM_RSRC2:TGID_Y_EN: 0
; COMPUTE_PGM_RSRC2:TGID_Z_EN: 0
; COMPUTE_PGM_RSRC2:TIDIG_COMP_CNT: 0
	.section	.text._ZN9rocsparseL19gebsrmvn_2xn_kernelILj128ELj14ELj8E21rocsparse_complex_numIfEEEvi20rocsparse_direction_NS_24const_host_device_scalarIT2_EEPKiS8_PKS5_SA_S6_PS5_21rocsparse_index_base_b,"axG",@progbits,_ZN9rocsparseL19gebsrmvn_2xn_kernelILj128ELj14ELj8E21rocsparse_complex_numIfEEEvi20rocsparse_direction_NS_24const_host_device_scalarIT2_EEPKiS8_PKS5_SA_S6_PS5_21rocsparse_index_base_b,comdat
	.globl	_ZN9rocsparseL19gebsrmvn_2xn_kernelILj128ELj14ELj8E21rocsparse_complex_numIfEEEvi20rocsparse_direction_NS_24const_host_device_scalarIT2_EEPKiS8_PKS5_SA_S6_PS5_21rocsparse_index_base_b ; -- Begin function _ZN9rocsparseL19gebsrmvn_2xn_kernelILj128ELj14ELj8E21rocsparse_complex_numIfEEEvi20rocsparse_direction_NS_24const_host_device_scalarIT2_EEPKiS8_PKS5_SA_S6_PS5_21rocsparse_index_base_b
	.p2align	8
	.type	_ZN9rocsparseL19gebsrmvn_2xn_kernelILj128ELj14ELj8E21rocsparse_complex_numIfEEEvi20rocsparse_direction_NS_24const_host_device_scalarIT2_EEPKiS8_PKS5_SA_S6_PS5_21rocsparse_index_base_b,@function
_ZN9rocsparseL19gebsrmvn_2xn_kernelILj128ELj14ELj8E21rocsparse_complex_numIfEEEvi20rocsparse_direction_NS_24const_host_device_scalarIT2_EEPKiS8_PKS5_SA_S6_PS5_21rocsparse_index_base_b: ; @_ZN9rocsparseL19gebsrmvn_2xn_kernelILj128ELj14ELj8E21rocsparse_complex_numIfEEEvi20rocsparse_direction_NS_24const_host_device_scalarIT2_EEPKiS8_PKS5_SA_S6_PS5_21rocsparse_index_base_b
; %bb.0:
	s_load_dwordx2 s[0:1], s[4:5], 0x8
	s_load_dwordx2 s[8:9], s[4:5], 0x30
	;; [unrolled: 1-line block ×3, first 2 shown]
	s_add_u32 s7, s4, 8
	s_addc_u32 s10, s5, 0
	s_add_u32 s11, s4, 48
	s_addc_u32 s12, s5, 0
	s_waitcnt lgkmcnt(0)
	s_bitcmp1_b32 s3, 0
	s_cselect_b32 s1, s10, s1
	s_cselect_b32 s0, s7, s0
	v_mov_b32_e32 v1, s0
	v_mov_b32_e32 v2, s1
	flat_load_dwordx2 v[1:2], v[1:2]
	s_cselect_b32 s0, s12, s9
	s_cselect_b32 s1, s11, s8
	v_mov_b32_e32 v3, s1
	v_mov_b32_e32 v4, s0
	flat_load_dwordx2 v[3:4], v[3:4]
	s_waitcnt vmcnt(0) lgkmcnt(0)
	v_cmp_eq_f32_e32 vcc, 0, v1
	v_cmp_eq_f32_e64 s[0:1], 0, v2
	s_and_b64 s[10:11], vcc, s[0:1]
	s_mov_b64 s[0:1], -1
	s_and_saveexec_b64 s[8:9], s[10:11]
; %bb.1:
	v_cmp_neq_f32_e32 vcc, 1.0, v3
	v_cmp_neq_f32_e64 s[0:1], 0, v4
	s_or_b64 s[0:1], vcc, s[0:1]
	s_orn2_b64 s[0:1], s[0:1], exec
; %bb.2:
	s_or_b64 exec, exec, s[8:9]
	s_and_saveexec_b64 s[8:9], s[0:1]
	s_cbranch_execz .LBB213_25
; %bb.3:
	s_load_dwordx2 s[0:1], s[4:5], 0x0
	v_lshrrev_b32_e32 v5, 3, v0
	v_lshl_or_b32 v5, s6, 4, v5
	s_waitcnt lgkmcnt(0)
	v_cmp_gt_i32_e32 vcc, s0, v5
	s_and_b64 exec, exec, vcc
	s_cbranch_execz .LBB213_25
; %bb.4:
	s_load_dwordx8 s[8:15], s[4:5], 0x10
	v_ashrrev_i32_e32 v6, 31, v5
	v_lshlrev_b64 v[6:7], 2, v[5:6]
	v_and_b32_e32 v0, 7, v0
	s_cmp_lg_u32 s1, 0
	s_waitcnt lgkmcnt(0)
	v_mov_b32_e32 v8, s9
	v_add_co_u32_e32 v6, vcc, s8, v6
	v_addc_co_u32_e32 v7, vcc, v8, v7, vcc
	global_load_dwordx2 v[7:8], v[6:7], off
	s_waitcnt vmcnt(0)
	v_subrev_u32_e32 v6, s2, v7
	v_subrev_u32_e32 v12, s2, v8
	v_add_u32_e32 v6, v6, v0
	v_cmp_lt_i32_e64 s[0:1], v6, v12
	s_cbranch_scc0 .LBB213_12
; %bb.5:
	v_mov_b32_e32 v13, 0
	v_mov_b32_e32 v16, 0
	;; [unrolled: 1-line block ×4, first 2 shown]
	s_and_saveexec_b64 s[6:7], s[0:1]
	s_cbranch_execz .LBB213_11
; %bb.6:
	v_mul_lo_u32 v17, v6, 28
	v_mov_b32_e32 v9, 0
	s_mov_b64 s[8:9], 0
	v_mov_b32_e32 v18, s11
	v_mov_b32_e32 v19, s13
	;; [unrolled: 1-line block ×8, first 2 shown]
.LBB213_7:                              ; =>This Loop Header: Depth=1
                                        ;     Child Loop BB213_8 Depth 2
	v_ashrrev_i32_e32 v11, 31, v10
	v_lshlrev_b64 v[21:22], 2, v[10:11]
	s_mov_b32 s3, 0
	v_add_co_u32_e32 v21, vcc, s10, v21
	v_addc_co_u32_e32 v22, vcc, v18, v22, vcc
	global_load_dword v8, v[21:22], off
	s_waitcnt vmcnt(0)
	v_subrev_u32_e32 v8, s2, v8
	v_mul_lo_u32 v11, v8, 14
	v_mov_b32_e32 v8, v17
.LBB213_8:                              ;   Parent Loop BB213_7 Depth=1
                                        ; =>  This Inner Loop Header: Depth=2
	v_lshlrev_b64 v[21:22], 3, v[8:9]
	v_add_u32_e32 v23, s3, v11
	v_mov_b32_e32 v24, v9
	v_lshlrev_b64 v[24:25], 3, v[23:24]
	v_add_co_u32_e32 v33, vcc, s12, v21
	v_addc_co_u32_e32 v34, vcc, v19, v22, vcc
	v_add_co_u32_e32 v35, vcc, s14, v24
	global_load_dwordx4 v[21:24], v[33:34], off
	v_addc_co_u32_e32 v36, vcc, v20, v25, vcc
	global_load_dwordx4 v[25:28], v[35:36], off
	global_load_dwordx4 v[29:32], v[33:34], off offset:16
	s_add_i32 s3, s3, 2
	v_add_u32_e32 v8, 4, v8
	s_cmp_eq_u32 s3, 14
	s_waitcnt vmcnt(1)
	v_fmac_f32_e32 v16, v21, v25
	v_fmac_f32_e32 v13, v22, v25
	;; [unrolled: 1-line block ×4, first 2 shown]
	v_fma_f32 v16, -v22, v26, v16
	v_fmac_f32_e32 v13, v21, v26
	v_fma_f32 v15, -v24, v26, v15
	v_fmac_f32_e32 v14, v23, v26
	s_waitcnt vmcnt(0)
	v_fmac_f32_e32 v16, v29, v27
	v_fmac_f32_e32 v13, v30, v27
	;; [unrolled: 1-line block ×4, first 2 shown]
	v_fma_f32 v16, -v30, v28, v16
	v_fmac_f32_e32 v13, v29, v28
	v_fma_f32 v15, -v32, v28, v15
	v_fmac_f32_e32 v14, v31, v28
	s_cbranch_scc0 .LBB213_8
; %bb.9:                                ;   in Loop: Header=BB213_7 Depth=1
	v_add_u32_e32 v10, 8, v10
	v_cmp_ge_i32_e32 vcc, v10, v12
	s_or_b64 s[8:9], vcc, s[8:9]
	v_add_u32_e32 v17, 0xe0, v17
	s_andn2_b64 exec, exec, s[8:9]
	s_cbranch_execnz .LBB213_7
; %bb.10:
	s_or_b64 exec, exec, s[8:9]
.LBB213_11:
	s_or_b64 exec, exec, s[6:7]
	s_cbranch_execz .LBB213_13
	s_branch .LBB213_20
.LBB213_12:
                                        ; implicit-def: $vgpr13
                                        ; implicit-def: $vgpr16
                                        ; implicit-def: $vgpr15
                                        ; implicit-def: $vgpr14
.LBB213_13:
	v_mov_b32_e32 v13, 0
	v_mov_b32_e32 v16, 0
	;; [unrolled: 1-line block ×4, first 2 shown]
	s_and_saveexec_b64 s[6:7], s[0:1]
	s_cbranch_execz .LBB213_19
; %bb.14:
	v_mul_lo_u32 v7, v7, 28
	v_mul_lo_u32 v9, v6, 28
	s_mul_i32 s0, s2, 28
	v_mov_b32_e32 v8, 0
	v_mad_u32_u24 v7, v0, 28, v7
	v_subrev_u32_e32 v10, s0, v7
	s_mov_b64 s[0:1], 0
	v_mov_b32_e32 v11, s11
	v_mov_b32_e32 v17, s13
	;; [unrolled: 1-line block ×7, first 2 shown]
.LBB213_15:                             ; =>This Loop Header: Depth=1
                                        ;     Child Loop BB213_16 Depth 2
	v_ashrrev_i32_e32 v7, 31, v6
	v_lshlrev_b64 v[19:20], 2, v[6:7]
	s_mov_b32 s3, 0
	v_add_co_u32_e32 v19, vcc, s10, v19
	v_addc_co_u32_e32 v20, vcc, v11, v20, vcc
	global_load_dword v7, v[19:20], off
	s_waitcnt vmcnt(0)
	v_subrev_u32_e32 v7, s2, v7
	v_mul_lo_u32 v19, v7, 14
.LBB213_16:                             ;   Parent Loop BB213_15 Depth=1
                                        ; =>  This Inner Loop Header: Depth=2
	v_add_u32_e32 v7, s3, v10
	v_lshlrev_b64 v[20:21], 3, v[7:8]
	v_add_u32_e32 v7, s3, v19
	v_lshlrev_b64 v[24:25], 3, v[7:8]
	v_add_co_u32_e32 v20, vcc, s12, v20
	v_add3_u32 v7, v9, s3, 14
	v_addc_co_u32_e32 v21, vcc, v17, v21, vcc
	v_lshlrev_b64 v[28:29], 3, v[7:8]
	v_add_co_u32_e32 v24, vcc, s14, v24
	v_addc_co_u32_e32 v25, vcc, v18, v25, vcc
	v_add_co_u32_e32 v28, vcc, s12, v28
	v_addc_co_u32_e32 v29, vcc, v17, v29, vcc
	global_load_dwordx4 v[20:23], v[20:21], off
	s_add_i32 s3, s3, 2
	global_load_dwordx4 v[24:27], v[24:25], off
	s_cmp_eq_u32 s3, 14
	global_load_dwordx4 v[28:31], v[28:29], off
	s_waitcnt vmcnt(1)
	v_fmac_f32_e32 v16, v20, v24
	v_fmac_f32_e32 v13, v21, v24
	s_waitcnt vmcnt(0)
	v_fmac_f32_e32 v15, v28, v24
	v_fmac_f32_e32 v14, v29, v24
	v_fma_f32 v7, -v21, v25, v16
	v_fmac_f32_e32 v13, v20, v25
	v_fma_f32 v15, -v29, v25, v15
	v_fmac_f32_e32 v14, v28, v25
	v_fmac_f32_e32 v7, v22, v26
	;; [unrolled: 1-line block ×5, first 2 shown]
	v_fma_f32 v16, -v23, v27, v7
	v_fmac_f32_e32 v13, v22, v27
	v_fma_f32 v15, -v31, v27, v15
	v_fmac_f32_e32 v14, v30, v27
	s_cbranch_scc0 .LBB213_16
; %bb.17:                               ;   in Loop: Header=BB213_15 Depth=1
	v_add_u32_e32 v6, 8, v6
	v_cmp_ge_i32_e32 vcc, v6, v12
	v_add_u32_e32 v9, 0xe0, v9
	s_or_b64 s[0:1], vcc, s[0:1]
	v_add_u32_e32 v10, 0xe0, v10
	s_andn2_b64 exec, exec, s[0:1]
	s_cbranch_execnz .LBB213_15
; %bb.18:
	s_or_b64 exec, exec, s[0:1]
.LBB213_19:
	s_or_b64 exec, exec, s[6:7]
.LBB213_20:
	v_mov_b32_dpp v6, v16 row_shr:1 row_mask:0xf bank_mask:0xf
	v_mov_b32_dpp v8, v13 row_shr:1 row_mask:0xf bank_mask:0xf
	;; [unrolled: 1-line block ×4, first 2 shown]
	v_add_f32_e32 v6, v16, v6
	v_add_f32_e32 v8, v13, v8
	;; [unrolled: 1-line block ×4, first 2 shown]
	v_mov_b32_dpp v7, v6 row_shr:2 row_mask:0xf bank_mask:0xf
	v_mov_b32_dpp v9, v8 row_shr:2 row_mask:0xf bank_mask:0xf
	;; [unrolled: 1-line block ×4, first 2 shown]
	v_add_f32_e32 v6, v6, v7
	v_add_f32_e32 v8, v8, v9
	;; [unrolled: 1-line block ×4, first 2 shown]
	v_mov_b32_dpp v7, v6 row_shr:4 row_mask:0xf bank_mask:0xe
	v_mov_b32_dpp v9, v8 row_shr:4 row_mask:0xf bank_mask:0xe
	;; [unrolled: 1-line block ×4, first 2 shown]
	v_cmp_eq_u32_e32 vcc, 7, v0
	s_and_b64 exec, exec, vcc
	s_cbranch_execz .LBB213_25
; %bb.21:
	s_load_dwordx2 s[2:3], s[4:5], 0x38
	v_cmp_eq_f32_e32 vcc, 0, v3
	v_cmp_eq_f32_e64 s[0:1], 0, v4
	v_add_f32_e32 v7, v6, v7
	v_add_f32_e32 v8, v8, v9
	;; [unrolled: 1-line block ×4, first 2 shown]
	s_and_b64 s[0:1], vcc, s[0:1]
	s_and_saveexec_b64 s[4:5], s[0:1]
	s_xor_b64 s[0:1], exec, s[4:5]
	s_cbranch_execz .LBB213_23
; %bb.22:
	v_mul_f32_e64 v3, v8, -v2
	v_mul_f32_e32 v4, v1, v8
	v_fmac_f32_e32 v3, v1, v7
	v_fmac_f32_e32 v4, v2, v7
	v_lshlrev_b32_e32 v7, 1, v5
	v_ashrrev_i32_e32 v8, 31, v7
	v_lshlrev_b64 v[7:8], 3, v[7:8]
	s_waitcnt lgkmcnt(0)
	v_mov_b32_e32 v5, s3
	v_add_co_u32_e32 v7, vcc, s2, v7
	v_addc_co_u32_e32 v8, vcc, v5, v8, vcc
	v_mul_f32_e64 v5, v6, -v2
	v_mul_f32_e32 v6, v1, v6
	v_fmac_f32_e32 v5, v1, v0
	v_fmac_f32_e32 v6, v2, v0
	global_store_dwordx4 v[7:8], v[3:6], off
                                        ; implicit-def: $vgpr5
                                        ; implicit-def: $vgpr1_vgpr2
                                        ; implicit-def: $vgpr8
                                        ; implicit-def: $vgpr7
                                        ; implicit-def: $vgpr3_vgpr4
                                        ; implicit-def: $vgpr6
                                        ; implicit-def: $vgpr0
.LBB213_23:
	s_andn2_saveexec_b64 s[0:1], s[0:1]
	s_cbranch_execz .LBB213_25
; %bb.24:
	v_lshlrev_b32_e32 v9, 1, v5
	v_ashrrev_i32_e32 v10, 31, v9
	v_lshlrev_b64 v[9:10], 3, v[9:10]
	s_waitcnt lgkmcnt(0)
	v_mov_b32_e32 v5, s3
	v_add_co_u32_e32 v17, vcc, s2, v9
	v_addc_co_u32_e32 v18, vcc, v5, v10, vcc
	global_load_dwordx4 v[9:12], v[17:18], off
	v_mul_f32_e64 v5, v8, -v2
	v_mul_f32_e32 v14, v1, v8
	v_mul_f32_e64 v8, v6, -v2
	v_mul_f32_e32 v16, v1, v6
	v_fmac_f32_e32 v5, v1, v7
	v_fmac_f32_e32 v14, v2, v7
	;; [unrolled: 1-line block ×4, first 2 shown]
	s_waitcnt vmcnt(0)
	v_fmac_f32_e32 v5, v3, v9
	v_fmac_f32_e32 v14, v4, v9
	;; [unrolled: 1-line block ×4, first 2 shown]
	v_fma_f32 v13, -v4, v10, v5
	v_fmac_f32_e32 v14, v3, v10
	v_fma_f32 v15, -v4, v12, v8
	v_fmac_f32_e32 v16, v3, v12
	global_store_dwordx4 v[17:18], v[13:16], off
.LBB213_25:
	s_endpgm
	.section	.rodata,"a",@progbits
	.p2align	6, 0x0
	.amdhsa_kernel _ZN9rocsparseL19gebsrmvn_2xn_kernelILj128ELj14ELj8E21rocsparse_complex_numIfEEEvi20rocsparse_direction_NS_24const_host_device_scalarIT2_EEPKiS8_PKS5_SA_S6_PS5_21rocsparse_index_base_b
		.amdhsa_group_segment_fixed_size 0
		.amdhsa_private_segment_fixed_size 0
		.amdhsa_kernarg_size 72
		.amdhsa_user_sgpr_count 6
		.amdhsa_user_sgpr_private_segment_buffer 1
		.amdhsa_user_sgpr_dispatch_ptr 0
		.amdhsa_user_sgpr_queue_ptr 0
		.amdhsa_user_sgpr_kernarg_segment_ptr 1
		.amdhsa_user_sgpr_dispatch_id 0
		.amdhsa_user_sgpr_flat_scratch_init 0
		.amdhsa_user_sgpr_private_segment_size 0
		.amdhsa_uses_dynamic_stack 0
		.amdhsa_system_sgpr_private_segment_wavefront_offset 0
		.amdhsa_system_sgpr_workgroup_id_x 1
		.amdhsa_system_sgpr_workgroup_id_y 0
		.amdhsa_system_sgpr_workgroup_id_z 0
		.amdhsa_system_sgpr_workgroup_info 0
		.amdhsa_system_vgpr_workitem_id 0
		.amdhsa_next_free_vgpr 37
		.amdhsa_next_free_sgpr 16
		.amdhsa_reserve_vcc 1
		.amdhsa_reserve_flat_scratch 0
		.amdhsa_float_round_mode_32 0
		.amdhsa_float_round_mode_16_64 0
		.amdhsa_float_denorm_mode_32 3
		.amdhsa_float_denorm_mode_16_64 3
		.amdhsa_dx10_clamp 1
		.amdhsa_ieee_mode 1
		.amdhsa_fp16_overflow 0
		.amdhsa_exception_fp_ieee_invalid_op 0
		.amdhsa_exception_fp_denorm_src 0
		.amdhsa_exception_fp_ieee_div_zero 0
		.amdhsa_exception_fp_ieee_overflow 0
		.amdhsa_exception_fp_ieee_underflow 0
		.amdhsa_exception_fp_ieee_inexact 0
		.amdhsa_exception_int_div_zero 0
	.end_amdhsa_kernel
	.section	.text._ZN9rocsparseL19gebsrmvn_2xn_kernelILj128ELj14ELj8E21rocsparse_complex_numIfEEEvi20rocsparse_direction_NS_24const_host_device_scalarIT2_EEPKiS8_PKS5_SA_S6_PS5_21rocsparse_index_base_b,"axG",@progbits,_ZN9rocsparseL19gebsrmvn_2xn_kernelILj128ELj14ELj8E21rocsparse_complex_numIfEEEvi20rocsparse_direction_NS_24const_host_device_scalarIT2_EEPKiS8_PKS5_SA_S6_PS5_21rocsparse_index_base_b,comdat
.Lfunc_end213:
	.size	_ZN9rocsparseL19gebsrmvn_2xn_kernelILj128ELj14ELj8E21rocsparse_complex_numIfEEEvi20rocsparse_direction_NS_24const_host_device_scalarIT2_EEPKiS8_PKS5_SA_S6_PS5_21rocsparse_index_base_b, .Lfunc_end213-_ZN9rocsparseL19gebsrmvn_2xn_kernelILj128ELj14ELj8E21rocsparse_complex_numIfEEEvi20rocsparse_direction_NS_24const_host_device_scalarIT2_EEPKiS8_PKS5_SA_S6_PS5_21rocsparse_index_base_b
                                        ; -- End function
	.set _ZN9rocsparseL19gebsrmvn_2xn_kernelILj128ELj14ELj8E21rocsparse_complex_numIfEEEvi20rocsparse_direction_NS_24const_host_device_scalarIT2_EEPKiS8_PKS5_SA_S6_PS5_21rocsparse_index_base_b.num_vgpr, 37
	.set _ZN9rocsparseL19gebsrmvn_2xn_kernelILj128ELj14ELj8E21rocsparse_complex_numIfEEEvi20rocsparse_direction_NS_24const_host_device_scalarIT2_EEPKiS8_PKS5_SA_S6_PS5_21rocsparse_index_base_b.num_agpr, 0
	.set _ZN9rocsparseL19gebsrmvn_2xn_kernelILj128ELj14ELj8E21rocsparse_complex_numIfEEEvi20rocsparse_direction_NS_24const_host_device_scalarIT2_EEPKiS8_PKS5_SA_S6_PS5_21rocsparse_index_base_b.numbered_sgpr, 16
	.set _ZN9rocsparseL19gebsrmvn_2xn_kernelILj128ELj14ELj8E21rocsparse_complex_numIfEEEvi20rocsparse_direction_NS_24const_host_device_scalarIT2_EEPKiS8_PKS5_SA_S6_PS5_21rocsparse_index_base_b.num_named_barrier, 0
	.set _ZN9rocsparseL19gebsrmvn_2xn_kernelILj128ELj14ELj8E21rocsparse_complex_numIfEEEvi20rocsparse_direction_NS_24const_host_device_scalarIT2_EEPKiS8_PKS5_SA_S6_PS5_21rocsparse_index_base_b.private_seg_size, 0
	.set _ZN9rocsparseL19gebsrmvn_2xn_kernelILj128ELj14ELj8E21rocsparse_complex_numIfEEEvi20rocsparse_direction_NS_24const_host_device_scalarIT2_EEPKiS8_PKS5_SA_S6_PS5_21rocsparse_index_base_b.uses_vcc, 1
	.set _ZN9rocsparseL19gebsrmvn_2xn_kernelILj128ELj14ELj8E21rocsparse_complex_numIfEEEvi20rocsparse_direction_NS_24const_host_device_scalarIT2_EEPKiS8_PKS5_SA_S6_PS5_21rocsparse_index_base_b.uses_flat_scratch, 0
	.set _ZN9rocsparseL19gebsrmvn_2xn_kernelILj128ELj14ELj8E21rocsparse_complex_numIfEEEvi20rocsparse_direction_NS_24const_host_device_scalarIT2_EEPKiS8_PKS5_SA_S6_PS5_21rocsparse_index_base_b.has_dyn_sized_stack, 0
	.set _ZN9rocsparseL19gebsrmvn_2xn_kernelILj128ELj14ELj8E21rocsparse_complex_numIfEEEvi20rocsparse_direction_NS_24const_host_device_scalarIT2_EEPKiS8_PKS5_SA_S6_PS5_21rocsparse_index_base_b.has_recursion, 0
	.set _ZN9rocsparseL19gebsrmvn_2xn_kernelILj128ELj14ELj8E21rocsparse_complex_numIfEEEvi20rocsparse_direction_NS_24const_host_device_scalarIT2_EEPKiS8_PKS5_SA_S6_PS5_21rocsparse_index_base_b.has_indirect_call, 0
	.section	.AMDGPU.csdata,"",@progbits
; Kernel info:
; codeLenInByte = 1396
; TotalNumSgprs: 20
; NumVgprs: 37
; ScratchSize: 0
; MemoryBound: 0
; FloatMode: 240
; IeeeMode: 1
; LDSByteSize: 0 bytes/workgroup (compile time only)
; SGPRBlocks: 2
; VGPRBlocks: 9
; NumSGPRsForWavesPerEU: 20
; NumVGPRsForWavesPerEU: 37
; Occupancy: 6
; WaveLimiterHint : 1
; COMPUTE_PGM_RSRC2:SCRATCH_EN: 0
; COMPUTE_PGM_RSRC2:USER_SGPR: 6
; COMPUTE_PGM_RSRC2:TRAP_HANDLER: 0
; COMPUTE_PGM_RSRC2:TGID_X_EN: 1
; COMPUTE_PGM_RSRC2:TGID_Y_EN: 0
; COMPUTE_PGM_RSRC2:TGID_Z_EN: 0
; COMPUTE_PGM_RSRC2:TIDIG_COMP_CNT: 0
	.section	.text._ZN9rocsparseL19gebsrmvn_2xn_kernelILj128ELj14ELj16E21rocsparse_complex_numIfEEEvi20rocsparse_direction_NS_24const_host_device_scalarIT2_EEPKiS8_PKS5_SA_S6_PS5_21rocsparse_index_base_b,"axG",@progbits,_ZN9rocsparseL19gebsrmvn_2xn_kernelILj128ELj14ELj16E21rocsparse_complex_numIfEEEvi20rocsparse_direction_NS_24const_host_device_scalarIT2_EEPKiS8_PKS5_SA_S6_PS5_21rocsparse_index_base_b,comdat
	.globl	_ZN9rocsparseL19gebsrmvn_2xn_kernelILj128ELj14ELj16E21rocsparse_complex_numIfEEEvi20rocsparse_direction_NS_24const_host_device_scalarIT2_EEPKiS8_PKS5_SA_S6_PS5_21rocsparse_index_base_b ; -- Begin function _ZN9rocsparseL19gebsrmvn_2xn_kernelILj128ELj14ELj16E21rocsparse_complex_numIfEEEvi20rocsparse_direction_NS_24const_host_device_scalarIT2_EEPKiS8_PKS5_SA_S6_PS5_21rocsparse_index_base_b
	.p2align	8
	.type	_ZN9rocsparseL19gebsrmvn_2xn_kernelILj128ELj14ELj16E21rocsparse_complex_numIfEEEvi20rocsparse_direction_NS_24const_host_device_scalarIT2_EEPKiS8_PKS5_SA_S6_PS5_21rocsparse_index_base_b,@function
_ZN9rocsparseL19gebsrmvn_2xn_kernelILj128ELj14ELj16E21rocsparse_complex_numIfEEEvi20rocsparse_direction_NS_24const_host_device_scalarIT2_EEPKiS8_PKS5_SA_S6_PS5_21rocsparse_index_base_b: ; @_ZN9rocsparseL19gebsrmvn_2xn_kernelILj128ELj14ELj16E21rocsparse_complex_numIfEEEvi20rocsparse_direction_NS_24const_host_device_scalarIT2_EEPKiS8_PKS5_SA_S6_PS5_21rocsparse_index_base_b
; %bb.0:
	s_load_dwordx2 s[0:1], s[4:5], 0x8
	s_load_dwordx2 s[8:9], s[4:5], 0x30
	;; [unrolled: 1-line block ×3, first 2 shown]
	s_add_u32 s7, s4, 8
	s_addc_u32 s10, s5, 0
	s_add_u32 s11, s4, 48
	s_addc_u32 s12, s5, 0
	s_waitcnt lgkmcnt(0)
	s_bitcmp1_b32 s3, 0
	s_cselect_b32 s1, s10, s1
	s_cselect_b32 s0, s7, s0
	v_mov_b32_e32 v1, s0
	v_mov_b32_e32 v2, s1
	flat_load_dwordx2 v[1:2], v[1:2]
	s_cselect_b32 s0, s12, s9
	s_cselect_b32 s1, s11, s8
	v_mov_b32_e32 v3, s1
	v_mov_b32_e32 v4, s0
	flat_load_dwordx2 v[3:4], v[3:4]
	s_waitcnt vmcnt(0) lgkmcnt(0)
	v_cmp_eq_f32_e32 vcc, 0, v1
	v_cmp_eq_f32_e64 s[0:1], 0, v2
	s_and_b64 s[10:11], vcc, s[0:1]
	s_mov_b64 s[0:1], -1
	s_and_saveexec_b64 s[8:9], s[10:11]
; %bb.1:
	v_cmp_neq_f32_e32 vcc, 1.0, v3
	v_cmp_neq_f32_e64 s[0:1], 0, v4
	s_or_b64 s[0:1], vcc, s[0:1]
	s_orn2_b64 s[0:1], s[0:1], exec
; %bb.2:
	s_or_b64 exec, exec, s[8:9]
	s_and_saveexec_b64 s[8:9], s[0:1]
	s_cbranch_execz .LBB214_25
; %bb.3:
	s_load_dwordx2 s[0:1], s[4:5], 0x0
	v_lshrrev_b32_e32 v5, 4, v0
	v_lshl_or_b32 v5, s6, 3, v5
	s_waitcnt lgkmcnt(0)
	v_cmp_gt_i32_e32 vcc, s0, v5
	s_and_b64 exec, exec, vcc
	s_cbranch_execz .LBB214_25
; %bb.4:
	s_load_dwordx8 s[8:15], s[4:5], 0x10
	v_ashrrev_i32_e32 v6, 31, v5
	v_lshlrev_b64 v[6:7], 2, v[5:6]
	v_and_b32_e32 v0, 15, v0
	s_cmp_lg_u32 s1, 0
	s_waitcnt lgkmcnt(0)
	v_mov_b32_e32 v8, s9
	v_add_co_u32_e32 v6, vcc, s8, v6
	v_addc_co_u32_e32 v7, vcc, v8, v7, vcc
	global_load_dwordx2 v[7:8], v[6:7], off
	s_waitcnt vmcnt(0)
	v_subrev_u32_e32 v6, s2, v7
	v_subrev_u32_e32 v12, s2, v8
	v_add_u32_e32 v6, v6, v0
	v_cmp_lt_i32_e64 s[0:1], v6, v12
	s_cbranch_scc0 .LBB214_12
; %bb.5:
	v_mov_b32_e32 v13, 0
	v_mov_b32_e32 v16, 0
	;; [unrolled: 1-line block ×4, first 2 shown]
	s_and_saveexec_b64 s[6:7], s[0:1]
	s_cbranch_execz .LBB214_11
; %bb.6:
	v_mul_lo_u32 v17, v6, 28
	v_mov_b32_e32 v9, 0
	s_mov_b64 s[8:9], 0
	v_mov_b32_e32 v18, s11
	v_mov_b32_e32 v19, s13
	;; [unrolled: 1-line block ×8, first 2 shown]
.LBB214_7:                              ; =>This Loop Header: Depth=1
                                        ;     Child Loop BB214_8 Depth 2
	v_ashrrev_i32_e32 v11, 31, v10
	v_lshlrev_b64 v[21:22], 2, v[10:11]
	s_mov_b32 s3, 0
	v_add_co_u32_e32 v21, vcc, s10, v21
	v_addc_co_u32_e32 v22, vcc, v18, v22, vcc
	global_load_dword v8, v[21:22], off
	s_waitcnt vmcnt(0)
	v_subrev_u32_e32 v8, s2, v8
	v_mul_lo_u32 v11, v8, 14
	v_mov_b32_e32 v8, v17
.LBB214_8:                              ;   Parent Loop BB214_7 Depth=1
                                        ; =>  This Inner Loop Header: Depth=2
	v_lshlrev_b64 v[21:22], 3, v[8:9]
	v_add_u32_e32 v23, s3, v11
	v_mov_b32_e32 v24, v9
	v_lshlrev_b64 v[24:25], 3, v[23:24]
	v_add_co_u32_e32 v33, vcc, s12, v21
	v_addc_co_u32_e32 v34, vcc, v19, v22, vcc
	v_add_co_u32_e32 v35, vcc, s14, v24
	global_load_dwordx4 v[21:24], v[33:34], off
	v_addc_co_u32_e32 v36, vcc, v20, v25, vcc
	global_load_dwordx4 v[25:28], v[35:36], off
	global_load_dwordx4 v[29:32], v[33:34], off offset:16
	s_add_i32 s3, s3, 2
	v_add_u32_e32 v8, 4, v8
	s_cmp_eq_u32 s3, 14
	s_waitcnt vmcnt(1)
	v_fmac_f32_e32 v16, v21, v25
	v_fmac_f32_e32 v13, v22, v25
	;; [unrolled: 1-line block ×4, first 2 shown]
	v_fma_f32 v16, -v22, v26, v16
	v_fmac_f32_e32 v13, v21, v26
	v_fma_f32 v15, -v24, v26, v15
	v_fmac_f32_e32 v14, v23, v26
	s_waitcnt vmcnt(0)
	v_fmac_f32_e32 v16, v29, v27
	v_fmac_f32_e32 v13, v30, v27
	;; [unrolled: 1-line block ×4, first 2 shown]
	v_fma_f32 v16, -v30, v28, v16
	v_fmac_f32_e32 v13, v29, v28
	v_fma_f32 v15, -v32, v28, v15
	v_fmac_f32_e32 v14, v31, v28
	s_cbranch_scc0 .LBB214_8
; %bb.9:                                ;   in Loop: Header=BB214_7 Depth=1
	v_add_u32_e32 v10, 16, v10
	v_cmp_ge_i32_e32 vcc, v10, v12
	s_or_b64 s[8:9], vcc, s[8:9]
	v_add_u32_e32 v17, 0x1c0, v17
	s_andn2_b64 exec, exec, s[8:9]
	s_cbranch_execnz .LBB214_7
; %bb.10:
	s_or_b64 exec, exec, s[8:9]
.LBB214_11:
	s_or_b64 exec, exec, s[6:7]
	s_cbranch_execz .LBB214_13
	s_branch .LBB214_20
.LBB214_12:
                                        ; implicit-def: $vgpr13
                                        ; implicit-def: $vgpr16
                                        ; implicit-def: $vgpr15
                                        ; implicit-def: $vgpr14
.LBB214_13:
	v_mov_b32_e32 v13, 0
	v_mov_b32_e32 v16, 0
	;; [unrolled: 1-line block ×4, first 2 shown]
	s_and_saveexec_b64 s[6:7], s[0:1]
	s_cbranch_execz .LBB214_19
; %bb.14:
	v_mul_lo_u32 v7, v7, 28
	v_mul_lo_u32 v9, v6, 28
	s_mul_i32 s0, s2, 28
	v_mov_b32_e32 v8, 0
	v_mad_u32_u24 v7, v0, 28, v7
	v_subrev_u32_e32 v10, s0, v7
	s_mov_b64 s[0:1], 0
	v_mov_b32_e32 v11, s11
	v_mov_b32_e32 v17, s13
	;; [unrolled: 1-line block ×7, first 2 shown]
.LBB214_15:                             ; =>This Loop Header: Depth=1
                                        ;     Child Loop BB214_16 Depth 2
	v_ashrrev_i32_e32 v7, 31, v6
	v_lshlrev_b64 v[19:20], 2, v[6:7]
	s_mov_b32 s3, 0
	v_add_co_u32_e32 v19, vcc, s10, v19
	v_addc_co_u32_e32 v20, vcc, v11, v20, vcc
	global_load_dword v7, v[19:20], off
	s_waitcnt vmcnt(0)
	v_subrev_u32_e32 v7, s2, v7
	v_mul_lo_u32 v19, v7, 14
.LBB214_16:                             ;   Parent Loop BB214_15 Depth=1
                                        ; =>  This Inner Loop Header: Depth=2
	v_add_u32_e32 v7, s3, v10
	v_lshlrev_b64 v[20:21], 3, v[7:8]
	v_add_u32_e32 v7, s3, v19
	v_lshlrev_b64 v[24:25], 3, v[7:8]
	v_add_co_u32_e32 v20, vcc, s12, v20
	v_add3_u32 v7, v9, s3, 14
	v_addc_co_u32_e32 v21, vcc, v17, v21, vcc
	v_lshlrev_b64 v[28:29], 3, v[7:8]
	v_add_co_u32_e32 v24, vcc, s14, v24
	v_addc_co_u32_e32 v25, vcc, v18, v25, vcc
	v_add_co_u32_e32 v28, vcc, s12, v28
	v_addc_co_u32_e32 v29, vcc, v17, v29, vcc
	global_load_dwordx4 v[20:23], v[20:21], off
	s_add_i32 s3, s3, 2
	global_load_dwordx4 v[24:27], v[24:25], off
	s_cmp_eq_u32 s3, 14
	global_load_dwordx4 v[28:31], v[28:29], off
	s_waitcnt vmcnt(1)
	v_fmac_f32_e32 v16, v20, v24
	v_fmac_f32_e32 v13, v21, v24
	s_waitcnt vmcnt(0)
	v_fmac_f32_e32 v15, v28, v24
	v_fmac_f32_e32 v14, v29, v24
	v_fma_f32 v7, -v21, v25, v16
	v_fmac_f32_e32 v13, v20, v25
	v_fma_f32 v15, -v29, v25, v15
	v_fmac_f32_e32 v14, v28, v25
	v_fmac_f32_e32 v7, v22, v26
	;; [unrolled: 1-line block ×5, first 2 shown]
	v_fma_f32 v16, -v23, v27, v7
	v_fmac_f32_e32 v13, v22, v27
	v_fma_f32 v15, -v31, v27, v15
	v_fmac_f32_e32 v14, v30, v27
	s_cbranch_scc0 .LBB214_16
; %bb.17:                               ;   in Loop: Header=BB214_15 Depth=1
	v_add_u32_e32 v6, 16, v6
	v_cmp_ge_i32_e32 vcc, v6, v12
	v_add_u32_e32 v9, 0x1c0, v9
	s_or_b64 s[0:1], vcc, s[0:1]
	v_add_u32_e32 v10, 0x1c0, v10
	s_andn2_b64 exec, exec, s[0:1]
	s_cbranch_execnz .LBB214_15
; %bb.18:
	s_or_b64 exec, exec, s[0:1]
.LBB214_19:
	s_or_b64 exec, exec, s[6:7]
.LBB214_20:
	v_mov_b32_dpp v6, v16 row_shr:1 row_mask:0xf bank_mask:0xf
	v_mov_b32_dpp v8, v13 row_shr:1 row_mask:0xf bank_mask:0xf
	v_mov_b32_dpp v10, v15 row_shr:1 row_mask:0xf bank_mask:0xf
	v_mov_b32_dpp v12, v14 row_shr:1 row_mask:0xf bank_mask:0xf
	v_add_f32_e32 v6, v16, v6
	v_add_f32_e32 v8, v13, v8
	v_add_f32_e32 v10, v15, v10
	v_add_f32_e32 v12, v14, v12
	v_mov_b32_dpp v7, v6 row_shr:2 row_mask:0xf bank_mask:0xf
	v_mov_b32_dpp v9, v8 row_shr:2 row_mask:0xf bank_mask:0xf
	v_mov_b32_dpp v11, v10 row_shr:2 row_mask:0xf bank_mask:0xf
	v_mov_b32_dpp v13, v12 row_shr:2 row_mask:0xf bank_mask:0xf
	v_add_f32_e32 v6, v6, v7
	v_add_f32_e32 v8, v8, v9
	v_add_f32_e32 v10, v10, v11
	v_add_f32_e32 v12, v12, v13
	;; [unrolled: 8-line block ×3, first 2 shown]
	v_mov_b32_dpp v7, v6 row_shr:8 row_mask:0xf bank_mask:0xc
	v_mov_b32_dpp v9, v8 row_shr:8 row_mask:0xf bank_mask:0xc
	v_mov_b32_dpp v11, v10 row_shr:8 row_mask:0xf bank_mask:0xc
	v_mov_b32_dpp v13, v12 row_shr:8 row_mask:0xf bank_mask:0xc
	v_cmp_eq_u32_e32 vcc, 15, v0
	s_and_b64 exec, exec, vcc
	s_cbranch_execz .LBB214_25
; %bb.21:
	s_load_dwordx2 s[2:3], s[4:5], 0x38
	v_cmp_eq_f32_e32 vcc, 0, v3
	v_cmp_eq_f32_e64 s[0:1], 0, v4
	v_add_f32_e32 v7, v6, v7
	v_add_f32_e32 v8, v8, v9
	;; [unrolled: 1-line block ×4, first 2 shown]
	s_and_b64 s[0:1], vcc, s[0:1]
	s_and_saveexec_b64 s[4:5], s[0:1]
	s_xor_b64 s[0:1], exec, s[4:5]
	s_cbranch_execz .LBB214_23
; %bb.22:
	v_mul_f32_e64 v3, v8, -v2
	v_mul_f32_e32 v4, v1, v8
	v_fmac_f32_e32 v3, v1, v7
	v_fmac_f32_e32 v4, v2, v7
	v_lshlrev_b32_e32 v7, 1, v5
	v_ashrrev_i32_e32 v8, 31, v7
	v_lshlrev_b64 v[7:8], 3, v[7:8]
	s_waitcnt lgkmcnt(0)
	v_mov_b32_e32 v5, s3
	v_add_co_u32_e32 v7, vcc, s2, v7
	v_addc_co_u32_e32 v8, vcc, v5, v8, vcc
	v_mul_f32_e64 v5, v6, -v2
	v_mul_f32_e32 v6, v1, v6
	v_fmac_f32_e32 v5, v1, v0
	v_fmac_f32_e32 v6, v2, v0
	global_store_dwordx4 v[7:8], v[3:6], off
                                        ; implicit-def: $vgpr5
                                        ; implicit-def: $vgpr1_vgpr2
                                        ; implicit-def: $vgpr8
                                        ; implicit-def: $vgpr7
                                        ; implicit-def: $vgpr3_vgpr4
                                        ; implicit-def: $vgpr6
                                        ; implicit-def: $vgpr0
.LBB214_23:
	s_andn2_saveexec_b64 s[0:1], s[0:1]
	s_cbranch_execz .LBB214_25
; %bb.24:
	v_lshlrev_b32_e32 v9, 1, v5
	v_ashrrev_i32_e32 v10, 31, v9
	v_lshlrev_b64 v[9:10], 3, v[9:10]
	s_waitcnt lgkmcnt(0)
	v_mov_b32_e32 v5, s3
	v_add_co_u32_e32 v17, vcc, s2, v9
	v_addc_co_u32_e32 v18, vcc, v5, v10, vcc
	global_load_dwordx4 v[9:12], v[17:18], off
	v_mul_f32_e64 v5, v8, -v2
	v_mul_f32_e32 v14, v1, v8
	v_mul_f32_e64 v8, v6, -v2
	v_mul_f32_e32 v16, v1, v6
	v_fmac_f32_e32 v5, v1, v7
	v_fmac_f32_e32 v14, v2, v7
	v_fmac_f32_e32 v8, v1, v0
	v_fmac_f32_e32 v16, v2, v0
	s_waitcnt vmcnt(0)
	v_fmac_f32_e32 v5, v3, v9
	v_fmac_f32_e32 v14, v4, v9
	;; [unrolled: 1-line block ×4, first 2 shown]
	v_fma_f32 v13, -v4, v10, v5
	v_fmac_f32_e32 v14, v3, v10
	v_fma_f32 v15, -v4, v12, v8
	v_fmac_f32_e32 v16, v3, v12
	global_store_dwordx4 v[17:18], v[13:16], off
.LBB214_25:
	s_endpgm
	.section	.rodata,"a",@progbits
	.p2align	6, 0x0
	.amdhsa_kernel _ZN9rocsparseL19gebsrmvn_2xn_kernelILj128ELj14ELj16E21rocsparse_complex_numIfEEEvi20rocsparse_direction_NS_24const_host_device_scalarIT2_EEPKiS8_PKS5_SA_S6_PS5_21rocsparse_index_base_b
		.amdhsa_group_segment_fixed_size 0
		.amdhsa_private_segment_fixed_size 0
		.amdhsa_kernarg_size 72
		.amdhsa_user_sgpr_count 6
		.amdhsa_user_sgpr_private_segment_buffer 1
		.amdhsa_user_sgpr_dispatch_ptr 0
		.amdhsa_user_sgpr_queue_ptr 0
		.amdhsa_user_sgpr_kernarg_segment_ptr 1
		.amdhsa_user_sgpr_dispatch_id 0
		.amdhsa_user_sgpr_flat_scratch_init 0
		.amdhsa_user_sgpr_private_segment_size 0
		.amdhsa_uses_dynamic_stack 0
		.amdhsa_system_sgpr_private_segment_wavefront_offset 0
		.amdhsa_system_sgpr_workgroup_id_x 1
		.amdhsa_system_sgpr_workgroup_id_y 0
		.amdhsa_system_sgpr_workgroup_id_z 0
		.amdhsa_system_sgpr_workgroup_info 0
		.amdhsa_system_vgpr_workitem_id 0
		.amdhsa_next_free_vgpr 37
		.amdhsa_next_free_sgpr 16
		.amdhsa_reserve_vcc 1
		.amdhsa_reserve_flat_scratch 0
		.amdhsa_float_round_mode_32 0
		.amdhsa_float_round_mode_16_64 0
		.amdhsa_float_denorm_mode_32 3
		.amdhsa_float_denorm_mode_16_64 3
		.amdhsa_dx10_clamp 1
		.amdhsa_ieee_mode 1
		.amdhsa_fp16_overflow 0
		.amdhsa_exception_fp_ieee_invalid_op 0
		.amdhsa_exception_fp_denorm_src 0
		.amdhsa_exception_fp_ieee_div_zero 0
		.amdhsa_exception_fp_ieee_overflow 0
		.amdhsa_exception_fp_ieee_underflow 0
		.amdhsa_exception_fp_ieee_inexact 0
		.amdhsa_exception_int_div_zero 0
	.end_amdhsa_kernel
	.section	.text._ZN9rocsparseL19gebsrmvn_2xn_kernelILj128ELj14ELj16E21rocsparse_complex_numIfEEEvi20rocsparse_direction_NS_24const_host_device_scalarIT2_EEPKiS8_PKS5_SA_S6_PS5_21rocsparse_index_base_b,"axG",@progbits,_ZN9rocsparseL19gebsrmvn_2xn_kernelILj128ELj14ELj16E21rocsparse_complex_numIfEEEvi20rocsparse_direction_NS_24const_host_device_scalarIT2_EEPKiS8_PKS5_SA_S6_PS5_21rocsparse_index_base_b,comdat
.Lfunc_end214:
	.size	_ZN9rocsparseL19gebsrmvn_2xn_kernelILj128ELj14ELj16E21rocsparse_complex_numIfEEEvi20rocsparse_direction_NS_24const_host_device_scalarIT2_EEPKiS8_PKS5_SA_S6_PS5_21rocsparse_index_base_b, .Lfunc_end214-_ZN9rocsparseL19gebsrmvn_2xn_kernelILj128ELj14ELj16E21rocsparse_complex_numIfEEEvi20rocsparse_direction_NS_24const_host_device_scalarIT2_EEPKiS8_PKS5_SA_S6_PS5_21rocsparse_index_base_b
                                        ; -- End function
	.set _ZN9rocsparseL19gebsrmvn_2xn_kernelILj128ELj14ELj16E21rocsparse_complex_numIfEEEvi20rocsparse_direction_NS_24const_host_device_scalarIT2_EEPKiS8_PKS5_SA_S6_PS5_21rocsparse_index_base_b.num_vgpr, 37
	.set _ZN9rocsparseL19gebsrmvn_2xn_kernelILj128ELj14ELj16E21rocsparse_complex_numIfEEEvi20rocsparse_direction_NS_24const_host_device_scalarIT2_EEPKiS8_PKS5_SA_S6_PS5_21rocsparse_index_base_b.num_agpr, 0
	.set _ZN9rocsparseL19gebsrmvn_2xn_kernelILj128ELj14ELj16E21rocsparse_complex_numIfEEEvi20rocsparse_direction_NS_24const_host_device_scalarIT2_EEPKiS8_PKS5_SA_S6_PS5_21rocsparse_index_base_b.numbered_sgpr, 16
	.set _ZN9rocsparseL19gebsrmvn_2xn_kernelILj128ELj14ELj16E21rocsparse_complex_numIfEEEvi20rocsparse_direction_NS_24const_host_device_scalarIT2_EEPKiS8_PKS5_SA_S6_PS5_21rocsparse_index_base_b.num_named_barrier, 0
	.set _ZN9rocsparseL19gebsrmvn_2xn_kernelILj128ELj14ELj16E21rocsparse_complex_numIfEEEvi20rocsparse_direction_NS_24const_host_device_scalarIT2_EEPKiS8_PKS5_SA_S6_PS5_21rocsparse_index_base_b.private_seg_size, 0
	.set _ZN9rocsparseL19gebsrmvn_2xn_kernelILj128ELj14ELj16E21rocsparse_complex_numIfEEEvi20rocsparse_direction_NS_24const_host_device_scalarIT2_EEPKiS8_PKS5_SA_S6_PS5_21rocsparse_index_base_b.uses_vcc, 1
	.set _ZN9rocsparseL19gebsrmvn_2xn_kernelILj128ELj14ELj16E21rocsparse_complex_numIfEEEvi20rocsparse_direction_NS_24const_host_device_scalarIT2_EEPKiS8_PKS5_SA_S6_PS5_21rocsparse_index_base_b.uses_flat_scratch, 0
	.set _ZN9rocsparseL19gebsrmvn_2xn_kernelILj128ELj14ELj16E21rocsparse_complex_numIfEEEvi20rocsparse_direction_NS_24const_host_device_scalarIT2_EEPKiS8_PKS5_SA_S6_PS5_21rocsparse_index_base_b.has_dyn_sized_stack, 0
	.set _ZN9rocsparseL19gebsrmvn_2xn_kernelILj128ELj14ELj16E21rocsparse_complex_numIfEEEvi20rocsparse_direction_NS_24const_host_device_scalarIT2_EEPKiS8_PKS5_SA_S6_PS5_21rocsparse_index_base_b.has_recursion, 0
	.set _ZN9rocsparseL19gebsrmvn_2xn_kernelILj128ELj14ELj16E21rocsparse_complex_numIfEEEvi20rocsparse_direction_NS_24const_host_device_scalarIT2_EEPKiS8_PKS5_SA_S6_PS5_21rocsparse_index_base_b.has_indirect_call, 0
	.section	.AMDGPU.csdata,"",@progbits
; Kernel info:
; codeLenInByte = 1444
; TotalNumSgprs: 20
; NumVgprs: 37
; ScratchSize: 0
; MemoryBound: 0
; FloatMode: 240
; IeeeMode: 1
; LDSByteSize: 0 bytes/workgroup (compile time only)
; SGPRBlocks: 2
; VGPRBlocks: 9
; NumSGPRsForWavesPerEU: 20
; NumVGPRsForWavesPerEU: 37
; Occupancy: 6
; WaveLimiterHint : 1
; COMPUTE_PGM_RSRC2:SCRATCH_EN: 0
; COMPUTE_PGM_RSRC2:USER_SGPR: 6
; COMPUTE_PGM_RSRC2:TRAP_HANDLER: 0
; COMPUTE_PGM_RSRC2:TGID_X_EN: 1
; COMPUTE_PGM_RSRC2:TGID_Y_EN: 0
; COMPUTE_PGM_RSRC2:TGID_Z_EN: 0
; COMPUTE_PGM_RSRC2:TIDIG_COMP_CNT: 0
	.section	.text._ZN9rocsparseL19gebsrmvn_2xn_kernelILj128ELj14ELj32E21rocsparse_complex_numIfEEEvi20rocsparse_direction_NS_24const_host_device_scalarIT2_EEPKiS8_PKS5_SA_S6_PS5_21rocsparse_index_base_b,"axG",@progbits,_ZN9rocsparseL19gebsrmvn_2xn_kernelILj128ELj14ELj32E21rocsparse_complex_numIfEEEvi20rocsparse_direction_NS_24const_host_device_scalarIT2_EEPKiS8_PKS5_SA_S6_PS5_21rocsparse_index_base_b,comdat
	.globl	_ZN9rocsparseL19gebsrmvn_2xn_kernelILj128ELj14ELj32E21rocsparse_complex_numIfEEEvi20rocsparse_direction_NS_24const_host_device_scalarIT2_EEPKiS8_PKS5_SA_S6_PS5_21rocsparse_index_base_b ; -- Begin function _ZN9rocsparseL19gebsrmvn_2xn_kernelILj128ELj14ELj32E21rocsparse_complex_numIfEEEvi20rocsparse_direction_NS_24const_host_device_scalarIT2_EEPKiS8_PKS5_SA_S6_PS5_21rocsparse_index_base_b
	.p2align	8
	.type	_ZN9rocsparseL19gebsrmvn_2xn_kernelILj128ELj14ELj32E21rocsparse_complex_numIfEEEvi20rocsparse_direction_NS_24const_host_device_scalarIT2_EEPKiS8_PKS5_SA_S6_PS5_21rocsparse_index_base_b,@function
_ZN9rocsparseL19gebsrmvn_2xn_kernelILj128ELj14ELj32E21rocsparse_complex_numIfEEEvi20rocsparse_direction_NS_24const_host_device_scalarIT2_EEPKiS8_PKS5_SA_S6_PS5_21rocsparse_index_base_b: ; @_ZN9rocsparseL19gebsrmvn_2xn_kernelILj128ELj14ELj32E21rocsparse_complex_numIfEEEvi20rocsparse_direction_NS_24const_host_device_scalarIT2_EEPKiS8_PKS5_SA_S6_PS5_21rocsparse_index_base_b
; %bb.0:
	s_load_dwordx2 s[0:1], s[4:5], 0x8
	s_load_dwordx2 s[8:9], s[4:5], 0x30
	s_load_dwordx2 s[2:3], s[4:5], 0x40
	s_add_u32 s7, s4, 8
	s_addc_u32 s10, s5, 0
	s_add_u32 s11, s4, 48
	s_addc_u32 s12, s5, 0
	s_waitcnt lgkmcnt(0)
	s_bitcmp1_b32 s3, 0
	s_cselect_b32 s1, s10, s1
	s_cselect_b32 s0, s7, s0
	v_mov_b32_e32 v1, s0
	v_mov_b32_e32 v2, s1
	flat_load_dwordx2 v[1:2], v[1:2]
	s_cselect_b32 s0, s12, s9
	s_cselect_b32 s1, s11, s8
	v_mov_b32_e32 v3, s1
	v_mov_b32_e32 v4, s0
	flat_load_dwordx2 v[3:4], v[3:4]
	s_waitcnt vmcnt(0) lgkmcnt(0)
	v_cmp_eq_f32_e32 vcc, 0, v1
	v_cmp_eq_f32_e64 s[0:1], 0, v2
	s_and_b64 s[10:11], vcc, s[0:1]
	s_mov_b64 s[0:1], -1
	s_and_saveexec_b64 s[8:9], s[10:11]
; %bb.1:
	v_cmp_neq_f32_e32 vcc, 1.0, v3
	v_cmp_neq_f32_e64 s[0:1], 0, v4
	s_or_b64 s[0:1], vcc, s[0:1]
	s_orn2_b64 s[0:1], s[0:1], exec
; %bb.2:
	s_or_b64 exec, exec, s[8:9]
	s_and_saveexec_b64 s[8:9], s[0:1]
	s_cbranch_execz .LBB215_25
; %bb.3:
	s_load_dwordx2 s[0:1], s[4:5], 0x0
	v_lshrrev_b32_e32 v5, 5, v0
	v_lshl_or_b32 v5, s6, 2, v5
	s_waitcnt lgkmcnt(0)
	v_cmp_gt_i32_e32 vcc, s0, v5
	s_and_b64 exec, exec, vcc
	s_cbranch_execz .LBB215_25
; %bb.4:
	s_load_dwordx8 s[8:15], s[4:5], 0x10
	v_ashrrev_i32_e32 v6, 31, v5
	v_lshlrev_b64 v[6:7], 2, v[5:6]
	v_and_b32_e32 v0, 31, v0
	s_cmp_lg_u32 s1, 0
	s_waitcnt lgkmcnt(0)
	v_mov_b32_e32 v8, s9
	v_add_co_u32_e32 v6, vcc, s8, v6
	v_addc_co_u32_e32 v7, vcc, v8, v7, vcc
	global_load_dwordx2 v[7:8], v[6:7], off
	s_waitcnt vmcnt(0)
	v_subrev_u32_e32 v6, s2, v7
	v_subrev_u32_e32 v12, s2, v8
	v_add_u32_e32 v6, v6, v0
	v_cmp_lt_i32_e64 s[0:1], v6, v12
	s_cbranch_scc0 .LBB215_12
; %bb.5:
	v_mov_b32_e32 v14, 0
	v_mov_b32_e32 v16, 0
	;; [unrolled: 1-line block ×4, first 2 shown]
	s_and_saveexec_b64 s[6:7], s[0:1]
	s_cbranch_execz .LBB215_11
; %bb.6:
	v_mul_lo_u32 v17, v6, 28
	v_mov_b32_e32 v9, 0
	s_mov_b64 s[8:9], 0
	v_mov_b32_e32 v18, s11
	v_mov_b32_e32 v19, s13
	;; [unrolled: 1-line block ×8, first 2 shown]
.LBB215_7:                              ; =>This Loop Header: Depth=1
                                        ;     Child Loop BB215_8 Depth 2
	v_ashrrev_i32_e32 v11, 31, v10
	v_lshlrev_b64 v[21:22], 2, v[10:11]
	s_mov_b32 s3, 0
	v_add_co_u32_e32 v21, vcc, s10, v21
	v_addc_co_u32_e32 v22, vcc, v18, v22, vcc
	global_load_dword v8, v[21:22], off
	s_waitcnt vmcnt(0)
	v_subrev_u32_e32 v8, s2, v8
	v_mul_lo_u32 v11, v8, 14
	v_mov_b32_e32 v8, v17
.LBB215_8:                              ;   Parent Loop BB215_7 Depth=1
                                        ; =>  This Inner Loop Header: Depth=2
	v_lshlrev_b64 v[21:22], 3, v[8:9]
	v_add_u32_e32 v23, s3, v11
	v_mov_b32_e32 v24, v9
	v_lshlrev_b64 v[24:25], 3, v[23:24]
	v_add_co_u32_e32 v33, vcc, s12, v21
	v_addc_co_u32_e32 v34, vcc, v19, v22, vcc
	v_add_co_u32_e32 v35, vcc, s14, v24
	global_load_dwordx4 v[21:24], v[33:34], off
	v_addc_co_u32_e32 v36, vcc, v20, v25, vcc
	global_load_dwordx4 v[25:28], v[35:36], off
	global_load_dwordx4 v[29:32], v[33:34], off offset:16
	s_add_i32 s3, s3, 2
	v_add_u32_e32 v8, 4, v8
	s_cmp_eq_u32 s3, 14
	s_waitcnt vmcnt(1)
	v_fmac_f32_e32 v16, v21, v25
	v_fmac_f32_e32 v14, v22, v25
	v_fmac_f32_e32 v15, v23, v25
	v_fmac_f32_e32 v13, v24, v25
	v_fma_f32 v16, -v22, v26, v16
	v_fmac_f32_e32 v14, v21, v26
	v_fma_f32 v15, -v24, v26, v15
	v_fmac_f32_e32 v13, v23, v26
	s_waitcnt vmcnt(0)
	v_fmac_f32_e32 v16, v29, v27
	v_fmac_f32_e32 v14, v30, v27
	;; [unrolled: 1-line block ×4, first 2 shown]
	v_fma_f32 v16, -v30, v28, v16
	v_fmac_f32_e32 v14, v29, v28
	v_fma_f32 v15, -v32, v28, v15
	v_fmac_f32_e32 v13, v31, v28
	s_cbranch_scc0 .LBB215_8
; %bb.9:                                ;   in Loop: Header=BB215_7 Depth=1
	v_add_u32_e32 v10, 32, v10
	v_cmp_ge_i32_e32 vcc, v10, v12
	s_or_b64 s[8:9], vcc, s[8:9]
	v_add_u32_e32 v17, 0x380, v17
	s_andn2_b64 exec, exec, s[8:9]
	s_cbranch_execnz .LBB215_7
; %bb.10:
	s_or_b64 exec, exec, s[8:9]
.LBB215_11:
	s_or_b64 exec, exec, s[6:7]
	s_cbranch_execz .LBB215_13
	s_branch .LBB215_20
.LBB215_12:
                                        ; implicit-def: $vgpr14
                                        ; implicit-def: $vgpr16
                                        ; implicit-def: $vgpr15
                                        ; implicit-def: $vgpr13
.LBB215_13:
	v_mov_b32_e32 v14, 0
	v_mov_b32_e32 v16, 0
	;; [unrolled: 1-line block ×4, first 2 shown]
	s_and_saveexec_b64 s[6:7], s[0:1]
	s_cbranch_execz .LBB215_19
; %bb.14:
	v_mul_lo_u32 v7, v7, 28
	v_mul_lo_u32 v9, v6, 28
	s_mul_i32 s0, s2, 28
	v_mov_b32_e32 v8, 0
	v_mad_u32_u24 v7, v0, 28, v7
	v_subrev_u32_e32 v10, s0, v7
	s_mov_b64 s[0:1], 0
	v_mov_b32_e32 v11, s11
	v_mov_b32_e32 v17, s13
	;; [unrolled: 1-line block ×7, first 2 shown]
.LBB215_15:                             ; =>This Loop Header: Depth=1
                                        ;     Child Loop BB215_16 Depth 2
	v_ashrrev_i32_e32 v7, 31, v6
	v_lshlrev_b64 v[19:20], 2, v[6:7]
	s_mov_b32 s3, 0
	v_add_co_u32_e32 v19, vcc, s10, v19
	v_addc_co_u32_e32 v20, vcc, v11, v20, vcc
	global_load_dword v7, v[19:20], off
	s_waitcnt vmcnt(0)
	v_subrev_u32_e32 v7, s2, v7
	v_mul_lo_u32 v19, v7, 14
.LBB215_16:                             ;   Parent Loop BB215_15 Depth=1
                                        ; =>  This Inner Loop Header: Depth=2
	v_add_u32_e32 v7, s3, v10
	v_lshlrev_b64 v[20:21], 3, v[7:8]
	v_add_u32_e32 v7, s3, v19
	v_lshlrev_b64 v[24:25], 3, v[7:8]
	v_add_co_u32_e32 v20, vcc, s12, v20
	v_add3_u32 v7, v9, s3, 14
	v_addc_co_u32_e32 v21, vcc, v17, v21, vcc
	v_lshlrev_b64 v[28:29], 3, v[7:8]
	v_add_co_u32_e32 v24, vcc, s14, v24
	v_addc_co_u32_e32 v25, vcc, v18, v25, vcc
	v_add_co_u32_e32 v28, vcc, s12, v28
	v_addc_co_u32_e32 v29, vcc, v17, v29, vcc
	global_load_dwordx4 v[20:23], v[20:21], off
	s_add_i32 s3, s3, 2
	global_load_dwordx4 v[24:27], v[24:25], off
	s_cmp_eq_u32 s3, 14
	global_load_dwordx4 v[28:31], v[28:29], off
	s_waitcnt vmcnt(1)
	v_fmac_f32_e32 v16, v20, v24
	v_fmac_f32_e32 v14, v21, v24
	s_waitcnt vmcnt(0)
	v_fmac_f32_e32 v15, v28, v24
	v_fmac_f32_e32 v13, v29, v24
	v_fma_f32 v7, -v21, v25, v16
	v_fmac_f32_e32 v14, v20, v25
	v_fma_f32 v15, -v29, v25, v15
	v_fmac_f32_e32 v13, v28, v25
	v_fmac_f32_e32 v7, v22, v26
	;; [unrolled: 1-line block ×5, first 2 shown]
	v_fma_f32 v16, -v23, v27, v7
	v_fmac_f32_e32 v14, v22, v27
	v_fma_f32 v15, -v31, v27, v15
	v_fmac_f32_e32 v13, v30, v27
	s_cbranch_scc0 .LBB215_16
; %bb.17:                               ;   in Loop: Header=BB215_15 Depth=1
	v_add_u32_e32 v6, 32, v6
	v_cmp_ge_i32_e32 vcc, v6, v12
	v_add_u32_e32 v9, 0x380, v9
	s_or_b64 s[0:1], vcc, s[0:1]
	v_add_u32_e32 v10, 0x380, v10
	s_andn2_b64 exec, exec, s[0:1]
	s_cbranch_execnz .LBB215_15
; %bb.18:
	s_or_b64 exec, exec, s[0:1]
.LBB215_19:
	s_or_b64 exec, exec, s[6:7]
.LBB215_20:
	v_mov_b32_dpp v6, v16 row_shr:1 row_mask:0xf bank_mask:0xf
	v_mov_b32_dpp v8, v14 row_shr:1 row_mask:0xf bank_mask:0xf
	v_mov_b32_dpp v10, v15 row_shr:1 row_mask:0xf bank_mask:0xf
	v_mov_b32_dpp v12, v13 row_shr:1 row_mask:0xf bank_mask:0xf
	v_add_f32_e32 v6, v16, v6
	v_add_f32_e32 v8, v14, v8
	v_add_f32_e32 v10, v15, v10
	v_add_f32_e32 v12, v13, v12
	v_mov_b32_dpp v7, v6 row_shr:2 row_mask:0xf bank_mask:0xf
	v_mov_b32_dpp v9, v8 row_shr:2 row_mask:0xf bank_mask:0xf
	v_mov_b32_dpp v11, v10 row_shr:2 row_mask:0xf bank_mask:0xf
	v_mov_b32_dpp v13, v12 row_shr:2 row_mask:0xf bank_mask:0xf
	v_add_f32_e32 v6, v6, v7
	v_add_f32_e32 v8, v8, v9
	v_add_f32_e32 v10, v10, v11
	v_add_f32_e32 v12, v12, v13
	;; [unrolled: 8-line block ×4, first 2 shown]
	v_mov_b32_dpp v7, v6 row_bcast:15 row_mask:0xa bank_mask:0xf
	v_mov_b32_dpp v9, v8 row_bcast:15 row_mask:0xa bank_mask:0xf
	;; [unrolled: 1-line block ×4, first 2 shown]
	v_cmp_eq_u32_e32 vcc, 31, v0
	s_and_b64 exec, exec, vcc
	s_cbranch_execz .LBB215_25
; %bb.21:
	s_load_dwordx2 s[2:3], s[4:5], 0x38
	v_cmp_eq_f32_e32 vcc, 0, v3
	v_cmp_eq_f32_e64 s[0:1], 0, v4
	v_add_f32_e32 v7, v6, v7
	v_add_f32_e32 v8, v8, v9
	;; [unrolled: 1-line block ×4, first 2 shown]
	s_and_b64 s[0:1], vcc, s[0:1]
	s_and_saveexec_b64 s[4:5], s[0:1]
	s_xor_b64 s[0:1], exec, s[4:5]
	s_cbranch_execz .LBB215_23
; %bb.22:
	v_mul_f32_e64 v3, v8, -v2
	v_mul_f32_e32 v4, v1, v8
	v_fmac_f32_e32 v3, v1, v7
	v_fmac_f32_e32 v4, v2, v7
	v_lshlrev_b32_e32 v7, 1, v5
	v_ashrrev_i32_e32 v8, 31, v7
	v_lshlrev_b64 v[7:8], 3, v[7:8]
	s_waitcnt lgkmcnt(0)
	v_mov_b32_e32 v5, s3
	v_add_co_u32_e32 v7, vcc, s2, v7
	v_addc_co_u32_e32 v8, vcc, v5, v8, vcc
	v_mul_f32_e64 v5, v6, -v2
	v_mul_f32_e32 v6, v1, v6
	v_fmac_f32_e32 v5, v1, v0
	v_fmac_f32_e32 v6, v2, v0
	global_store_dwordx4 v[7:8], v[3:6], off
                                        ; implicit-def: $vgpr5
                                        ; implicit-def: $vgpr1_vgpr2
                                        ; implicit-def: $vgpr8
                                        ; implicit-def: $vgpr7
                                        ; implicit-def: $vgpr3_vgpr4
                                        ; implicit-def: $vgpr6
                                        ; implicit-def: $vgpr0
.LBB215_23:
	s_andn2_saveexec_b64 s[0:1], s[0:1]
	s_cbranch_execz .LBB215_25
; %bb.24:
	v_lshlrev_b32_e32 v9, 1, v5
	v_ashrrev_i32_e32 v10, 31, v9
	v_lshlrev_b64 v[9:10], 3, v[9:10]
	s_waitcnt lgkmcnt(0)
	v_mov_b32_e32 v5, s3
	v_add_co_u32_e32 v17, vcc, s2, v9
	v_addc_co_u32_e32 v18, vcc, v5, v10, vcc
	global_load_dwordx4 v[9:12], v[17:18], off
	v_mul_f32_e64 v5, v8, -v2
	v_mul_f32_e32 v14, v1, v8
	v_mul_f32_e64 v8, v6, -v2
	v_mul_f32_e32 v16, v1, v6
	v_fmac_f32_e32 v5, v1, v7
	v_fmac_f32_e32 v14, v2, v7
	;; [unrolled: 1-line block ×4, first 2 shown]
	s_waitcnt vmcnt(0)
	v_fmac_f32_e32 v5, v3, v9
	v_fmac_f32_e32 v14, v4, v9
	;; [unrolled: 1-line block ×4, first 2 shown]
	v_fma_f32 v13, -v4, v10, v5
	v_fmac_f32_e32 v14, v3, v10
	v_fma_f32 v15, -v4, v12, v8
	v_fmac_f32_e32 v16, v3, v12
	global_store_dwordx4 v[17:18], v[13:16], off
.LBB215_25:
	s_endpgm
	.section	.rodata,"a",@progbits
	.p2align	6, 0x0
	.amdhsa_kernel _ZN9rocsparseL19gebsrmvn_2xn_kernelILj128ELj14ELj32E21rocsparse_complex_numIfEEEvi20rocsparse_direction_NS_24const_host_device_scalarIT2_EEPKiS8_PKS5_SA_S6_PS5_21rocsparse_index_base_b
		.amdhsa_group_segment_fixed_size 0
		.amdhsa_private_segment_fixed_size 0
		.amdhsa_kernarg_size 72
		.amdhsa_user_sgpr_count 6
		.amdhsa_user_sgpr_private_segment_buffer 1
		.amdhsa_user_sgpr_dispatch_ptr 0
		.amdhsa_user_sgpr_queue_ptr 0
		.amdhsa_user_sgpr_kernarg_segment_ptr 1
		.amdhsa_user_sgpr_dispatch_id 0
		.amdhsa_user_sgpr_flat_scratch_init 0
		.amdhsa_user_sgpr_private_segment_size 0
		.amdhsa_uses_dynamic_stack 0
		.amdhsa_system_sgpr_private_segment_wavefront_offset 0
		.amdhsa_system_sgpr_workgroup_id_x 1
		.amdhsa_system_sgpr_workgroup_id_y 0
		.amdhsa_system_sgpr_workgroup_id_z 0
		.amdhsa_system_sgpr_workgroup_info 0
		.amdhsa_system_vgpr_workitem_id 0
		.amdhsa_next_free_vgpr 37
		.amdhsa_next_free_sgpr 16
		.amdhsa_reserve_vcc 1
		.amdhsa_reserve_flat_scratch 0
		.amdhsa_float_round_mode_32 0
		.amdhsa_float_round_mode_16_64 0
		.amdhsa_float_denorm_mode_32 3
		.amdhsa_float_denorm_mode_16_64 3
		.amdhsa_dx10_clamp 1
		.amdhsa_ieee_mode 1
		.amdhsa_fp16_overflow 0
		.amdhsa_exception_fp_ieee_invalid_op 0
		.amdhsa_exception_fp_denorm_src 0
		.amdhsa_exception_fp_ieee_div_zero 0
		.amdhsa_exception_fp_ieee_overflow 0
		.amdhsa_exception_fp_ieee_underflow 0
		.amdhsa_exception_fp_ieee_inexact 0
		.amdhsa_exception_int_div_zero 0
	.end_amdhsa_kernel
	.section	.text._ZN9rocsparseL19gebsrmvn_2xn_kernelILj128ELj14ELj32E21rocsparse_complex_numIfEEEvi20rocsparse_direction_NS_24const_host_device_scalarIT2_EEPKiS8_PKS5_SA_S6_PS5_21rocsparse_index_base_b,"axG",@progbits,_ZN9rocsparseL19gebsrmvn_2xn_kernelILj128ELj14ELj32E21rocsparse_complex_numIfEEEvi20rocsparse_direction_NS_24const_host_device_scalarIT2_EEPKiS8_PKS5_SA_S6_PS5_21rocsparse_index_base_b,comdat
.Lfunc_end215:
	.size	_ZN9rocsparseL19gebsrmvn_2xn_kernelILj128ELj14ELj32E21rocsparse_complex_numIfEEEvi20rocsparse_direction_NS_24const_host_device_scalarIT2_EEPKiS8_PKS5_SA_S6_PS5_21rocsparse_index_base_b, .Lfunc_end215-_ZN9rocsparseL19gebsrmvn_2xn_kernelILj128ELj14ELj32E21rocsparse_complex_numIfEEEvi20rocsparse_direction_NS_24const_host_device_scalarIT2_EEPKiS8_PKS5_SA_S6_PS5_21rocsparse_index_base_b
                                        ; -- End function
	.set _ZN9rocsparseL19gebsrmvn_2xn_kernelILj128ELj14ELj32E21rocsparse_complex_numIfEEEvi20rocsparse_direction_NS_24const_host_device_scalarIT2_EEPKiS8_PKS5_SA_S6_PS5_21rocsparse_index_base_b.num_vgpr, 37
	.set _ZN9rocsparseL19gebsrmvn_2xn_kernelILj128ELj14ELj32E21rocsparse_complex_numIfEEEvi20rocsparse_direction_NS_24const_host_device_scalarIT2_EEPKiS8_PKS5_SA_S6_PS5_21rocsparse_index_base_b.num_agpr, 0
	.set _ZN9rocsparseL19gebsrmvn_2xn_kernelILj128ELj14ELj32E21rocsparse_complex_numIfEEEvi20rocsparse_direction_NS_24const_host_device_scalarIT2_EEPKiS8_PKS5_SA_S6_PS5_21rocsparse_index_base_b.numbered_sgpr, 16
	.set _ZN9rocsparseL19gebsrmvn_2xn_kernelILj128ELj14ELj32E21rocsparse_complex_numIfEEEvi20rocsparse_direction_NS_24const_host_device_scalarIT2_EEPKiS8_PKS5_SA_S6_PS5_21rocsparse_index_base_b.num_named_barrier, 0
	.set _ZN9rocsparseL19gebsrmvn_2xn_kernelILj128ELj14ELj32E21rocsparse_complex_numIfEEEvi20rocsparse_direction_NS_24const_host_device_scalarIT2_EEPKiS8_PKS5_SA_S6_PS5_21rocsparse_index_base_b.private_seg_size, 0
	.set _ZN9rocsparseL19gebsrmvn_2xn_kernelILj128ELj14ELj32E21rocsparse_complex_numIfEEEvi20rocsparse_direction_NS_24const_host_device_scalarIT2_EEPKiS8_PKS5_SA_S6_PS5_21rocsparse_index_base_b.uses_vcc, 1
	.set _ZN9rocsparseL19gebsrmvn_2xn_kernelILj128ELj14ELj32E21rocsparse_complex_numIfEEEvi20rocsparse_direction_NS_24const_host_device_scalarIT2_EEPKiS8_PKS5_SA_S6_PS5_21rocsparse_index_base_b.uses_flat_scratch, 0
	.set _ZN9rocsparseL19gebsrmvn_2xn_kernelILj128ELj14ELj32E21rocsparse_complex_numIfEEEvi20rocsparse_direction_NS_24const_host_device_scalarIT2_EEPKiS8_PKS5_SA_S6_PS5_21rocsparse_index_base_b.has_dyn_sized_stack, 0
	.set _ZN9rocsparseL19gebsrmvn_2xn_kernelILj128ELj14ELj32E21rocsparse_complex_numIfEEEvi20rocsparse_direction_NS_24const_host_device_scalarIT2_EEPKiS8_PKS5_SA_S6_PS5_21rocsparse_index_base_b.has_recursion, 0
	.set _ZN9rocsparseL19gebsrmvn_2xn_kernelILj128ELj14ELj32E21rocsparse_complex_numIfEEEvi20rocsparse_direction_NS_24const_host_device_scalarIT2_EEPKiS8_PKS5_SA_S6_PS5_21rocsparse_index_base_b.has_indirect_call, 0
	.section	.AMDGPU.csdata,"",@progbits
; Kernel info:
; codeLenInByte = 1492
; TotalNumSgprs: 20
; NumVgprs: 37
; ScratchSize: 0
; MemoryBound: 0
; FloatMode: 240
; IeeeMode: 1
; LDSByteSize: 0 bytes/workgroup (compile time only)
; SGPRBlocks: 2
; VGPRBlocks: 9
; NumSGPRsForWavesPerEU: 20
; NumVGPRsForWavesPerEU: 37
; Occupancy: 6
; WaveLimiterHint : 1
; COMPUTE_PGM_RSRC2:SCRATCH_EN: 0
; COMPUTE_PGM_RSRC2:USER_SGPR: 6
; COMPUTE_PGM_RSRC2:TRAP_HANDLER: 0
; COMPUTE_PGM_RSRC2:TGID_X_EN: 1
; COMPUTE_PGM_RSRC2:TGID_Y_EN: 0
; COMPUTE_PGM_RSRC2:TGID_Z_EN: 0
; COMPUTE_PGM_RSRC2:TIDIG_COMP_CNT: 0
	.section	.text._ZN9rocsparseL19gebsrmvn_2xn_kernelILj128ELj14ELj64E21rocsparse_complex_numIfEEEvi20rocsparse_direction_NS_24const_host_device_scalarIT2_EEPKiS8_PKS5_SA_S6_PS5_21rocsparse_index_base_b,"axG",@progbits,_ZN9rocsparseL19gebsrmvn_2xn_kernelILj128ELj14ELj64E21rocsparse_complex_numIfEEEvi20rocsparse_direction_NS_24const_host_device_scalarIT2_EEPKiS8_PKS5_SA_S6_PS5_21rocsparse_index_base_b,comdat
	.globl	_ZN9rocsparseL19gebsrmvn_2xn_kernelILj128ELj14ELj64E21rocsparse_complex_numIfEEEvi20rocsparse_direction_NS_24const_host_device_scalarIT2_EEPKiS8_PKS5_SA_S6_PS5_21rocsparse_index_base_b ; -- Begin function _ZN9rocsparseL19gebsrmvn_2xn_kernelILj128ELj14ELj64E21rocsparse_complex_numIfEEEvi20rocsparse_direction_NS_24const_host_device_scalarIT2_EEPKiS8_PKS5_SA_S6_PS5_21rocsparse_index_base_b
	.p2align	8
	.type	_ZN9rocsparseL19gebsrmvn_2xn_kernelILj128ELj14ELj64E21rocsparse_complex_numIfEEEvi20rocsparse_direction_NS_24const_host_device_scalarIT2_EEPKiS8_PKS5_SA_S6_PS5_21rocsparse_index_base_b,@function
_ZN9rocsparseL19gebsrmvn_2xn_kernelILj128ELj14ELj64E21rocsparse_complex_numIfEEEvi20rocsparse_direction_NS_24const_host_device_scalarIT2_EEPKiS8_PKS5_SA_S6_PS5_21rocsparse_index_base_b: ; @_ZN9rocsparseL19gebsrmvn_2xn_kernelILj128ELj14ELj64E21rocsparse_complex_numIfEEEvi20rocsparse_direction_NS_24const_host_device_scalarIT2_EEPKiS8_PKS5_SA_S6_PS5_21rocsparse_index_base_b
; %bb.0:
	s_load_dwordx2 s[0:1], s[4:5], 0x8
	s_load_dwordx2 s[8:9], s[4:5], 0x30
	;; [unrolled: 1-line block ×3, first 2 shown]
	s_add_u32 s7, s4, 8
	s_addc_u32 s10, s5, 0
	s_add_u32 s11, s4, 48
	s_addc_u32 s12, s5, 0
	s_waitcnt lgkmcnt(0)
	s_bitcmp1_b32 s3, 0
	s_cselect_b32 s1, s10, s1
	s_cselect_b32 s0, s7, s0
	v_mov_b32_e32 v1, s0
	v_mov_b32_e32 v2, s1
	flat_load_dwordx2 v[1:2], v[1:2]
	s_cselect_b32 s0, s12, s9
	s_cselect_b32 s1, s11, s8
	v_mov_b32_e32 v3, s1
	v_mov_b32_e32 v4, s0
	flat_load_dwordx2 v[3:4], v[3:4]
	s_waitcnt vmcnt(0) lgkmcnt(0)
	v_cmp_eq_f32_e32 vcc, 0, v1
	v_cmp_eq_f32_e64 s[0:1], 0, v2
	s_and_b64 s[10:11], vcc, s[0:1]
	s_mov_b64 s[0:1], -1
	s_and_saveexec_b64 s[8:9], s[10:11]
; %bb.1:
	v_cmp_neq_f32_e32 vcc, 1.0, v3
	v_cmp_neq_f32_e64 s[0:1], 0, v4
	s_or_b64 s[0:1], vcc, s[0:1]
	s_orn2_b64 s[0:1], s[0:1], exec
; %bb.2:
	s_or_b64 exec, exec, s[8:9]
	s_and_saveexec_b64 s[8:9], s[0:1]
	s_cbranch_execz .LBB216_25
; %bb.3:
	s_load_dwordx2 s[0:1], s[4:5], 0x0
	v_lshrrev_b32_e32 v5, 6, v0
	v_lshl_or_b32 v5, s6, 1, v5
	s_waitcnt lgkmcnt(0)
	v_cmp_gt_i32_e32 vcc, s0, v5
	s_and_b64 exec, exec, vcc
	s_cbranch_execz .LBB216_25
; %bb.4:
	s_load_dwordx8 s[8:15], s[4:5], 0x10
	v_ashrrev_i32_e32 v6, 31, v5
	v_lshlrev_b64 v[6:7], 2, v[5:6]
	v_and_b32_e32 v0, 63, v0
	s_cmp_lg_u32 s1, 0
	s_waitcnt lgkmcnt(0)
	v_mov_b32_e32 v8, s9
	v_add_co_u32_e32 v6, vcc, s8, v6
	v_addc_co_u32_e32 v7, vcc, v8, v7, vcc
	global_load_dwordx2 v[7:8], v[6:7], off
	s_waitcnt vmcnt(0)
	v_subrev_u32_e32 v6, s2, v7
	v_subrev_u32_e32 v13, s2, v8
	v_add_u32_e32 v6, v6, v0
	v_cmp_lt_i32_e64 s[0:1], v6, v13
	s_cbranch_scc0 .LBB216_12
; %bb.5:
	v_mov_b32_e32 v14, 0
	v_mov_b32_e32 v16, 0
	;; [unrolled: 1-line block ×4, first 2 shown]
	s_and_saveexec_b64 s[6:7], s[0:1]
	s_cbranch_execz .LBB216_11
; %bb.6:
	v_mul_lo_u32 v17, v6, 28
	v_mov_b32_e32 v9, 0
	s_mov_b64 s[8:9], 0
	v_mov_b32_e32 v18, s11
	v_mov_b32_e32 v19, s13
	;; [unrolled: 1-line block ×8, first 2 shown]
.LBB216_7:                              ; =>This Loop Header: Depth=1
                                        ;     Child Loop BB216_8 Depth 2
	v_ashrrev_i32_e32 v11, 31, v10
	v_lshlrev_b64 v[21:22], 2, v[10:11]
	s_mov_b32 s3, 0
	v_add_co_u32_e32 v21, vcc, s10, v21
	v_addc_co_u32_e32 v22, vcc, v18, v22, vcc
	global_load_dword v8, v[21:22], off
	s_waitcnt vmcnt(0)
	v_subrev_u32_e32 v8, s2, v8
	v_mul_lo_u32 v11, v8, 14
	v_mov_b32_e32 v8, v17
.LBB216_8:                              ;   Parent Loop BB216_7 Depth=1
                                        ; =>  This Inner Loop Header: Depth=2
	v_lshlrev_b64 v[21:22], 3, v[8:9]
	v_add_u32_e32 v23, s3, v11
	v_mov_b32_e32 v24, v9
	v_lshlrev_b64 v[24:25], 3, v[23:24]
	v_add_co_u32_e32 v33, vcc, s12, v21
	v_addc_co_u32_e32 v34, vcc, v19, v22, vcc
	v_add_co_u32_e32 v35, vcc, s14, v24
	global_load_dwordx4 v[21:24], v[33:34], off
	v_addc_co_u32_e32 v36, vcc, v20, v25, vcc
	global_load_dwordx4 v[25:28], v[35:36], off
	global_load_dwordx4 v[29:32], v[33:34], off offset:16
	s_add_i32 s3, s3, 2
	v_add_u32_e32 v8, 4, v8
	s_cmp_eq_u32 s3, 14
	s_waitcnt vmcnt(1)
	v_fmac_f32_e32 v16, v21, v25
	v_fmac_f32_e32 v14, v22, v25
	;; [unrolled: 1-line block ×4, first 2 shown]
	v_fma_f32 v16, -v22, v26, v16
	v_fmac_f32_e32 v14, v21, v26
	v_fma_f32 v15, -v24, v26, v15
	v_fmac_f32_e32 v12, v23, v26
	s_waitcnt vmcnt(0)
	v_fmac_f32_e32 v16, v29, v27
	v_fmac_f32_e32 v14, v30, v27
	;; [unrolled: 1-line block ×4, first 2 shown]
	v_fma_f32 v16, -v30, v28, v16
	v_fmac_f32_e32 v14, v29, v28
	v_fma_f32 v15, -v32, v28, v15
	v_fmac_f32_e32 v12, v31, v28
	s_cbranch_scc0 .LBB216_8
; %bb.9:                                ;   in Loop: Header=BB216_7 Depth=1
	v_add_u32_e32 v10, 64, v10
	v_cmp_ge_i32_e32 vcc, v10, v13
	s_or_b64 s[8:9], vcc, s[8:9]
	v_add_u32_e32 v17, 0x700, v17
	s_andn2_b64 exec, exec, s[8:9]
	s_cbranch_execnz .LBB216_7
; %bb.10:
	s_or_b64 exec, exec, s[8:9]
.LBB216_11:
	s_or_b64 exec, exec, s[6:7]
	s_cbranch_execz .LBB216_13
	s_branch .LBB216_20
.LBB216_12:
                                        ; implicit-def: $vgpr14
                                        ; implicit-def: $vgpr16
                                        ; implicit-def: $vgpr15
                                        ; implicit-def: $vgpr12
.LBB216_13:
	v_mov_b32_e32 v14, 0
	v_mov_b32_e32 v16, 0
	;; [unrolled: 1-line block ×4, first 2 shown]
	s_and_saveexec_b64 s[6:7], s[0:1]
	s_cbranch_execz .LBB216_19
; %bb.14:
	v_mul_lo_u32 v7, v7, 28
	v_mul_lo_u32 v9, v6, 28
	s_mul_i32 s0, s2, 28
	v_mov_b32_e32 v8, 0
	v_mad_u32_u24 v7, v0, 28, v7
	v_subrev_u32_e32 v10, s0, v7
	s_mov_b64 s[0:1], 0
	v_mov_b32_e32 v11, s11
	v_mov_b32_e32 v17, s13
	;; [unrolled: 1-line block ×7, first 2 shown]
.LBB216_15:                             ; =>This Loop Header: Depth=1
                                        ;     Child Loop BB216_16 Depth 2
	v_ashrrev_i32_e32 v7, 31, v6
	v_lshlrev_b64 v[19:20], 2, v[6:7]
	s_mov_b32 s3, 0
	v_add_co_u32_e32 v19, vcc, s10, v19
	v_addc_co_u32_e32 v20, vcc, v11, v20, vcc
	global_load_dword v7, v[19:20], off
	s_waitcnt vmcnt(0)
	v_subrev_u32_e32 v7, s2, v7
	v_mul_lo_u32 v19, v7, 14
.LBB216_16:                             ;   Parent Loop BB216_15 Depth=1
                                        ; =>  This Inner Loop Header: Depth=2
	v_add_u32_e32 v7, s3, v10
	v_lshlrev_b64 v[20:21], 3, v[7:8]
	v_add_u32_e32 v7, s3, v19
	v_lshlrev_b64 v[24:25], 3, v[7:8]
	v_add_co_u32_e32 v20, vcc, s12, v20
	v_add3_u32 v7, v9, s3, 14
	v_addc_co_u32_e32 v21, vcc, v17, v21, vcc
	v_lshlrev_b64 v[28:29], 3, v[7:8]
	v_add_co_u32_e32 v24, vcc, s14, v24
	v_addc_co_u32_e32 v25, vcc, v18, v25, vcc
	v_add_co_u32_e32 v28, vcc, s12, v28
	v_addc_co_u32_e32 v29, vcc, v17, v29, vcc
	global_load_dwordx4 v[20:23], v[20:21], off
	s_add_i32 s3, s3, 2
	global_load_dwordx4 v[24:27], v[24:25], off
	s_cmp_eq_u32 s3, 14
	global_load_dwordx4 v[28:31], v[28:29], off
	s_waitcnt vmcnt(1)
	v_fmac_f32_e32 v16, v20, v24
	v_fmac_f32_e32 v14, v21, v24
	s_waitcnt vmcnt(0)
	v_fmac_f32_e32 v15, v28, v24
	v_fmac_f32_e32 v12, v29, v24
	v_fma_f32 v7, -v21, v25, v16
	v_fmac_f32_e32 v14, v20, v25
	v_fma_f32 v15, -v29, v25, v15
	v_fmac_f32_e32 v12, v28, v25
	v_fmac_f32_e32 v7, v22, v26
	;; [unrolled: 1-line block ×5, first 2 shown]
	v_fma_f32 v16, -v23, v27, v7
	v_fmac_f32_e32 v14, v22, v27
	v_fma_f32 v15, -v31, v27, v15
	v_fmac_f32_e32 v12, v30, v27
	s_cbranch_scc0 .LBB216_16
; %bb.17:                               ;   in Loop: Header=BB216_15 Depth=1
	v_add_u32_e32 v6, 64, v6
	v_cmp_ge_i32_e32 vcc, v6, v13
	v_add_u32_e32 v9, 0x700, v9
	s_or_b64 s[0:1], vcc, s[0:1]
	v_add_u32_e32 v10, 0x700, v10
	s_andn2_b64 exec, exec, s[0:1]
	s_cbranch_execnz .LBB216_15
; %bb.18:
	s_or_b64 exec, exec, s[0:1]
.LBB216_19:
	s_or_b64 exec, exec, s[6:7]
.LBB216_20:
	v_mov_b32_dpp v6, v16 row_shr:1 row_mask:0xf bank_mask:0xf
	v_mov_b32_dpp v8, v14 row_shr:1 row_mask:0xf bank_mask:0xf
	v_mov_b32_dpp v10, v15 row_shr:1 row_mask:0xf bank_mask:0xf
	v_mov_b32_dpp v13, v12 row_shr:1 row_mask:0xf bank_mask:0xf
	v_add_f32_e32 v6, v16, v6
	v_add_f32_e32 v8, v14, v8
	v_add_f32_e32 v10, v15, v10
	v_add_f32_e32 v12, v12, v13
	v_mov_b32_dpp v7, v6 row_shr:2 row_mask:0xf bank_mask:0xf
	v_mov_b32_dpp v9, v8 row_shr:2 row_mask:0xf bank_mask:0xf
	v_mov_b32_dpp v11, v10 row_shr:2 row_mask:0xf bank_mask:0xf
	v_mov_b32_dpp v13, v12 row_shr:2 row_mask:0xf bank_mask:0xf
	v_add_f32_e32 v6, v6, v7
	v_add_f32_e32 v8, v8, v9
	v_add_f32_e32 v10, v10, v11
	v_add_f32_e32 v12, v12, v13
	;; [unrolled: 8-line block ×4, first 2 shown]
	v_mov_b32_dpp v7, v6 row_bcast:15 row_mask:0xa bank_mask:0xf
	v_mov_b32_dpp v9, v8 row_bcast:15 row_mask:0xa bank_mask:0xf
	;; [unrolled: 1-line block ×4, first 2 shown]
	v_add_f32_e32 v6, v6, v7
	v_add_f32_e32 v8, v8, v9
	;; [unrolled: 1-line block ×4, first 2 shown]
	v_mov_b32_dpp v7, v6 row_bcast:31 row_mask:0xc bank_mask:0xf
	v_mov_b32_dpp v9, v8 row_bcast:31 row_mask:0xc bank_mask:0xf
	;; [unrolled: 1-line block ×4, first 2 shown]
	v_cmp_eq_u32_e32 vcc, 63, v0
	s_and_b64 exec, exec, vcc
	s_cbranch_execz .LBB216_25
; %bb.21:
	s_load_dwordx2 s[2:3], s[4:5], 0x38
	v_cmp_eq_f32_e32 vcc, 0, v3
	v_cmp_eq_f32_e64 s[0:1], 0, v4
	v_add_f32_e32 v7, v6, v7
	v_add_f32_e32 v8, v8, v9
	;; [unrolled: 1-line block ×4, first 2 shown]
	s_and_b64 s[0:1], vcc, s[0:1]
	s_and_saveexec_b64 s[4:5], s[0:1]
	s_xor_b64 s[0:1], exec, s[4:5]
	s_cbranch_execz .LBB216_23
; %bb.22:
	v_mul_f32_e64 v3, v8, -v2
	v_mul_f32_e32 v4, v1, v8
	v_fmac_f32_e32 v3, v1, v7
	v_fmac_f32_e32 v4, v2, v7
	v_lshlrev_b32_e32 v7, 1, v5
	v_ashrrev_i32_e32 v8, 31, v7
	v_lshlrev_b64 v[7:8], 3, v[7:8]
	s_waitcnt lgkmcnt(0)
	v_mov_b32_e32 v5, s3
	v_add_co_u32_e32 v7, vcc, s2, v7
	v_addc_co_u32_e32 v8, vcc, v5, v8, vcc
	v_mul_f32_e64 v5, v6, -v2
	v_mul_f32_e32 v6, v1, v6
	v_fmac_f32_e32 v5, v1, v0
	v_fmac_f32_e32 v6, v2, v0
	global_store_dwordx4 v[7:8], v[3:6], off
                                        ; implicit-def: $vgpr5
                                        ; implicit-def: $vgpr1_vgpr2
                                        ; implicit-def: $vgpr8
                                        ; implicit-def: $vgpr7
                                        ; implicit-def: $vgpr3_vgpr4
                                        ; implicit-def: $vgpr6
                                        ; implicit-def: $vgpr0
.LBB216_23:
	s_andn2_saveexec_b64 s[0:1], s[0:1]
	s_cbranch_execz .LBB216_25
; %bb.24:
	v_lshlrev_b32_e32 v9, 1, v5
	v_ashrrev_i32_e32 v10, 31, v9
	v_lshlrev_b64 v[9:10], 3, v[9:10]
	s_waitcnt lgkmcnt(0)
	v_mov_b32_e32 v5, s3
	v_add_co_u32_e32 v17, vcc, s2, v9
	v_addc_co_u32_e32 v18, vcc, v5, v10, vcc
	global_load_dwordx4 v[9:12], v[17:18], off
	v_mul_f32_e64 v5, v8, -v2
	v_mul_f32_e32 v14, v1, v8
	v_mul_f32_e64 v8, v6, -v2
	v_mul_f32_e32 v16, v1, v6
	v_fmac_f32_e32 v5, v1, v7
	v_fmac_f32_e32 v14, v2, v7
	;; [unrolled: 1-line block ×4, first 2 shown]
	s_waitcnt vmcnt(0)
	v_fmac_f32_e32 v5, v3, v9
	v_fmac_f32_e32 v14, v4, v9
	;; [unrolled: 1-line block ×4, first 2 shown]
	v_fma_f32 v13, -v4, v10, v5
	v_fmac_f32_e32 v14, v3, v10
	v_fma_f32 v15, -v4, v12, v8
	v_fmac_f32_e32 v16, v3, v12
	global_store_dwordx4 v[17:18], v[13:16], off
.LBB216_25:
	s_endpgm
	.section	.rodata,"a",@progbits
	.p2align	6, 0x0
	.amdhsa_kernel _ZN9rocsparseL19gebsrmvn_2xn_kernelILj128ELj14ELj64E21rocsparse_complex_numIfEEEvi20rocsparse_direction_NS_24const_host_device_scalarIT2_EEPKiS8_PKS5_SA_S6_PS5_21rocsparse_index_base_b
		.amdhsa_group_segment_fixed_size 0
		.amdhsa_private_segment_fixed_size 0
		.amdhsa_kernarg_size 72
		.amdhsa_user_sgpr_count 6
		.amdhsa_user_sgpr_private_segment_buffer 1
		.amdhsa_user_sgpr_dispatch_ptr 0
		.amdhsa_user_sgpr_queue_ptr 0
		.amdhsa_user_sgpr_kernarg_segment_ptr 1
		.amdhsa_user_sgpr_dispatch_id 0
		.amdhsa_user_sgpr_flat_scratch_init 0
		.amdhsa_user_sgpr_private_segment_size 0
		.amdhsa_uses_dynamic_stack 0
		.amdhsa_system_sgpr_private_segment_wavefront_offset 0
		.amdhsa_system_sgpr_workgroup_id_x 1
		.amdhsa_system_sgpr_workgroup_id_y 0
		.amdhsa_system_sgpr_workgroup_id_z 0
		.amdhsa_system_sgpr_workgroup_info 0
		.amdhsa_system_vgpr_workitem_id 0
		.amdhsa_next_free_vgpr 37
		.amdhsa_next_free_sgpr 16
		.amdhsa_reserve_vcc 1
		.amdhsa_reserve_flat_scratch 0
		.amdhsa_float_round_mode_32 0
		.amdhsa_float_round_mode_16_64 0
		.amdhsa_float_denorm_mode_32 3
		.amdhsa_float_denorm_mode_16_64 3
		.amdhsa_dx10_clamp 1
		.amdhsa_ieee_mode 1
		.amdhsa_fp16_overflow 0
		.amdhsa_exception_fp_ieee_invalid_op 0
		.amdhsa_exception_fp_denorm_src 0
		.amdhsa_exception_fp_ieee_div_zero 0
		.amdhsa_exception_fp_ieee_overflow 0
		.amdhsa_exception_fp_ieee_underflow 0
		.amdhsa_exception_fp_ieee_inexact 0
		.amdhsa_exception_int_div_zero 0
	.end_amdhsa_kernel
	.section	.text._ZN9rocsparseL19gebsrmvn_2xn_kernelILj128ELj14ELj64E21rocsparse_complex_numIfEEEvi20rocsparse_direction_NS_24const_host_device_scalarIT2_EEPKiS8_PKS5_SA_S6_PS5_21rocsparse_index_base_b,"axG",@progbits,_ZN9rocsparseL19gebsrmvn_2xn_kernelILj128ELj14ELj64E21rocsparse_complex_numIfEEEvi20rocsparse_direction_NS_24const_host_device_scalarIT2_EEPKiS8_PKS5_SA_S6_PS5_21rocsparse_index_base_b,comdat
.Lfunc_end216:
	.size	_ZN9rocsparseL19gebsrmvn_2xn_kernelILj128ELj14ELj64E21rocsparse_complex_numIfEEEvi20rocsparse_direction_NS_24const_host_device_scalarIT2_EEPKiS8_PKS5_SA_S6_PS5_21rocsparse_index_base_b, .Lfunc_end216-_ZN9rocsparseL19gebsrmvn_2xn_kernelILj128ELj14ELj64E21rocsparse_complex_numIfEEEvi20rocsparse_direction_NS_24const_host_device_scalarIT2_EEPKiS8_PKS5_SA_S6_PS5_21rocsparse_index_base_b
                                        ; -- End function
	.set _ZN9rocsparseL19gebsrmvn_2xn_kernelILj128ELj14ELj64E21rocsparse_complex_numIfEEEvi20rocsparse_direction_NS_24const_host_device_scalarIT2_EEPKiS8_PKS5_SA_S6_PS5_21rocsparse_index_base_b.num_vgpr, 37
	.set _ZN9rocsparseL19gebsrmvn_2xn_kernelILj128ELj14ELj64E21rocsparse_complex_numIfEEEvi20rocsparse_direction_NS_24const_host_device_scalarIT2_EEPKiS8_PKS5_SA_S6_PS5_21rocsparse_index_base_b.num_agpr, 0
	.set _ZN9rocsparseL19gebsrmvn_2xn_kernelILj128ELj14ELj64E21rocsparse_complex_numIfEEEvi20rocsparse_direction_NS_24const_host_device_scalarIT2_EEPKiS8_PKS5_SA_S6_PS5_21rocsparse_index_base_b.numbered_sgpr, 16
	.set _ZN9rocsparseL19gebsrmvn_2xn_kernelILj128ELj14ELj64E21rocsparse_complex_numIfEEEvi20rocsparse_direction_NS_24const_host_device_scalarIT2_EEPKiS8_PKS5_SA_S6_PS5_21rocsparse_index_base_b.num_named_barrier, 0
	.set _ZN9rocsparseL19gebsrmvn_2xn_kernelILj128ELj14ELj64E21rocsparse_complex_numIfEEEvi20rocsparse_direction_NS_24const_host_device_scalarIT2_EEPKiS8_PKS5_SA_S6_PS5_21rocsparse_index_base_b.private_seg_size, 0
	.set _ZN9rocsparseL19gebsrmvn_2xn_kernelILj128ELj14ELj64E21rocsparse_complex_numIfEEEvi20rocsparse_direction_NS_24const_host_device_scalarIT2_EEPKiS8_PKS5_SA_S6_PS5_21rocsparse_index_base_b.uses_vcc, 1
	.set _ZN9rocsparseL19gebsrmvn_2xn_kernelILj128ELj14ELj64E21rocsparse_complex_numIfEEEvi20rocsparse_direction_NS_24const_host_device_scalarIT2_EEPKiS8_PKS5_SA_S6_PS5_21rocsparse_index_base_b.uses_flat_scratch, 0
	.set _ZN9rocsparseL19gebsrmvn_2xn_kernelILj128ELj14ELj64E21rocsparse_complex_numIfEEEvi20rocsparse_direction_NS_24const_host_device_scalarIT2_EEPKiS8_PKS5_SA_S6_PS5_21rocsparse_index_base_b.has_dyn_sized_stack, 0
	.set _ZN9rocsparseL19gebsrmvn_2xn_kernelILj128ELj14ELj64E21rocsparse_complex_numIfEEEvi20rocsparse_direction_NS_24const_host_device_scalarIT2_EEPKiS8_PKS5_SA_S6_PS5_21rocsparse_index_base_b.has_recursion, 0
	.set _ZN9rocsparseL19gebsrmvn_2xn_kernelILj128ELj14ELj64E21rocsparse_complex_numIfEEEvi20rocsparse_direction_NS_24const_host_device_scalarIT2_EEPKiS8_PKS5_SA_S6_PS5_21rocsparse_index_base_b.has_indirect_call, 0
	.section	.AMDGPU.csdata,"",@progbits
; Kernel info:
; codeLenInByte = 1540
; TotalNumSgprs: 20
; NumVgprs: 37
; ScratchSize: 0
; MemoryBound: 0
; FloatMode: 240
; IeeeMode: 1
; LDSByteSize: 0 bytes/workgroup (compile time only)
; SGPRBlocks: 2
; VGPRBlocks: 9
; NumSGPRsForWavesPerEU: 20
; NumVGPRsForWavesPerEU: 37
; Occupancy: 6
; WaveLimiterHint : 1
; COMPUTE_PGM_RSRC2:SCRATCH_EN: 0
; COMPUTE_PGM_RSRC2:USER_SGPR: 6
; COMPUTE_PGM_RSRC2:TRAP_HANDLER: 0
; COMPUTE_PGM_RSRC2:TGID_X_EN: 1
; COMPUTE_PGM_RSRC2:TGID_Y_EN: 0
; COMPUTE_PGM_RSRC2:TGID_Z_EN: 0
; COMPUTE_PGM_RSRC2:TIDIG_COMP_CNT: 0
	.section	.text._ZN9rocsparseL19gebsrmvn_2xn_kernelILj128ELj15ELj4E21rocsparse_complex_numIfEEEvi20rocsparse_direction_NS_24const_host_device_scalarIT2_EEPKiS8_PKS5_SA_S6_PS5_21rocsparse_index_base_b,"axG",@progbits,_ZN9rocsparseL19gebsrmvn_2xn_kernelILj128ELj15ELj4E21rocsparse_complex_numIfEEEvi20rocsparse_direction_NS_24const_host_device_scalarIT2_EEPKiS8_PKS5_SA_S6_PS5_21rocsparse_index_base_b,comdat
	.globl	_ZN9rocsparseL19gebsrmvn_2xn_kernelILj128ELj15ELj4E21rocsparse_complex_numIfEEEvi20rocsparse_direction_NS_24const_host_device_scalarIT2_EEPKiS8_PKS5_SA_S6_PS5_21rocsparse_index_base_b ; -- Begin function _ZN9rocsparseL19gebsrmvn_2xn_kernelILj128ELj15ELj4E21rocsparse_complex_numIfEEEvi20rocsparse_direction_NS_24const_host_device_scalarIT2_EEPKiS8_PKS5_SA_S6_PS5_21rocsparse_index_base_b
	.p2align	8
	.type	_ZN9rocsparseL19gebsrmvn_2xn_kernelILj128ELj15ELj4E21rocsparse_complex_numIfEEEvi20rocsparse_direction_NS_24const_host_device_scalarIT2_EEPKiS8_PKS5_SA_S6_PS5_21rocsparse_index_base_b,@function
_ZN9rocsparseL19gebsrmvn_2xn_kernelILj128ELj15ELj4E21rocsparse_complex_numIfEEEvi20rocsparse_direction_NS_24const_host_device_scalarIT2_EEPKiS8_PKS5_SA_S6_PS5_21rocsparse_index_base_b: ; @_ZN9rocsparseL19gebsrmvn_2xn_kernelILj128ELj15ELj4E21rocsparse_complex_numIfEEEvi20rocsparse_direction_NS_24const_host_device_scalarIT2_EEPKiS8_PKS5_SA_S6_PS5_21rocsparse_index_base_b
; %bb.0:
	s_load_dwordx2 s[0:1], s[4:5], 0x8
	s_load_dwordx2 s[8:9], s[4:5], 0x30
	;; [unrolled: 1-line block ×3, first 2 shown]
	s_add_u32 s7, s4, 8
	s_addc_u32 s10, s5, 0
	s_add_u32 s11, s4, 48
	s_addc_u32 s12, s5, 0
	s_waitcnt lgkmcnt(0)
	s_bitcmp1_b32 s3, 0
	s_cselect_b32 s1, s10, s1
	s_cselect_b32 s0, s7, s0
	v_mov_b32_e32 v1, s0
	v_mov_b32_e32 v2, s1
	flat_load_dwordx2 v[1:2], v[1:2]
	s_cselect_b32 s0, s12, s9
	s_cselect_b32 s1, s11, s8
	v_mov_b32_e32 v3, s1
	v_mov_b32_e32 v4, s0
	flat_load_dwordx2 v[3:4], v[3:4]
	s_waitcnt vmcnt(0) lgkmcnt(0)
	v_cmp_eq_f32_e32 vcc, 0, v1
	v_cmp_eq_f32_e64 s[0:1], 0, v2
	s_and_b64 s[10:11], vcc, s[0:1]
	s_mov_b64 s[0:1], -1
	s_and_saveexec_b64 s[8:9], s[10:11]
; %bb.1:
	v_cmp_neq_f32_e32 vcc, 1.0, v3
	v_cmp_neq_f32_e64 s[0:1], 0, v4
	s_or_b64 s[0:1], vcc, s[0:1]
	s_orn2_b64 s[0:1], s[0:1], exec
; %bb.2:
	s_or_b64 exec, exec, s[8:9]
	s_and_saveexec_b64 s[8:9], s[0:1]
	s_cbranch_execz .LBB217_25
; %bb.3:
	s_load_dwordx2 s[0:1], s[4:5], 0x0
	v_lshrrev_b32_e32 v5, 2, v0
	v_lshl_or_b32 v5, s6, 5, v5
	s_waitcnt lgkmcnt(0)
	v_cmp_gt_i32_e32 vcc, s0, v5
	s_and_b64 exec, exec, vcc
	s_cbranch_execz .LBB217_25
; %bb.4:
	s_load_dwordx8 s[8:15], s[4:5], 0x10
	v_ashrrev_i32_e32 v6, 31, v5
	v_lshlrev_b64 v[6:7], 2, v[5:6]
	v_and_b32_e32 v0, 3, v0
	s_cmp_lg_u32 s1, 0
	s_waitcnt lgkmcnt(0)
	v_mov_b32_e32 v8, s9
	v_add_co_u32_e32 v6, vcc, s8, v6
	v_addc_co_u32_e32 v7, vcc, v8, v7, vcc
	global_load_dwordx2 v[7:8], v[6:7], off
	s_waitcnt vmcnt(0)
	v_subrev_u32_e32 v6, s2, v7
	v_subrev_u32_e32 v14, s2, v8
	v_add_u32_e32 v6, v6, v0
	v_cmp_lt_i32_e64 s[0:1], v6, v14
	s_cbranch_scc0 .LBB217_12
; %bb.5:
	v_mov_b32_e32 v15, 0
	v_mov_b32_e32 v18, 0
	;; [unrolled: 1-line block ×4, first 2 shown]
	s_and_saveexec_b64 s[6:7], s[0:1]
	s_cbranch_execz .LBB217_11
; %bb.6:
	v_mad_u64_u32 v[8:9], s[8:9], v6, 30, 8
	v_mov_b32_e32 v10, 0
	s_mov_b64 s[8:9], 0
	v_mov_b32_e32 v19, s11
	v_mov_b32_e32 v20, s13
	;; [unrolled: 1-line block ×8, first 2 shown]
.LBB217_7:                              ; =>This Loop Header: Depth=1
                                        ;     Child Loop BB217_8 Depth 2
	v_ashrrev_i32_e32 v12, 31, v11
	v_lshlrev_b64 v[12:13], 2, v[11:12]
	s_mov_b32 s3, 0
	v_add_co_u32_e32 v12, vcc, s10, v12
	v_addc_co_u32_e32 v13, vcc, v19, v13, vcc
	global_load_dword v9, v[12:13], off
	v_mov_b32_e32 v12, v8
	s_waitcnt vmcnt(0)
	v_subrev_u32_e32 v9, s2, v9
	v_mul_lo_u32 v22, v9, 15
.LBB217_8:                              ;   Parent Loop BB217_7 Depth=1
                                        ; =>  This Inner Loop Header: Depth=2
	v_add_u32_e32 v9, -8, v12
	v_lshlrev_b64 v[32:33], 3, v[9:10]
	v_add_u32_e32 v23, -6, v12
	v_mov_b32_e32 v24, v10
	v_lshlrev_b64 v[34:35], 3, v[23:24]
	v_add_co_u32_e32 v44, vcc, s12, v32
	v_add_u32_e32 v26, -4, v12
	v_mov_b32_e32 v27, v10
	v_addc_co_u32_e32 v45, vcc, v20, v33, vcc
	v_lshlrev_b64 v[36:37], 3, v[26:27]
	v_add_co_u32_e32 v48, vcc, s12, v34
	v_add_u32_e32 v29, -2, v12
	v_mov_b32_e32 v30, v10
	v_addc_co_u32_e32 v49, vcc, v20, v35, vcc
	v_lshlrev_b64 v[38:39], 3, v[29:30]
	v_add_co_u32_e32 v54, vcc, s12, v36
	v_mov_b32_e32 v13, v10
	v_addc_co_u32_e32 v55, vcc, v20, v37, vcc
	v_lshlrev_b64 v[40:41], 3, v[12:13]
	v_add_co_u32_e32 v56, vcc, s12, v38
	v_add_u32_e32 v9, s3, v22
	v_addc_co_u32_e32 v57, vcc, v20, v39, vcc
	v_lshlrev_b64 v[42:43], 3, v[9:10]
	v_add_co_u32_e32 v60, vcc, s12, v40
	v_mov_b32_e32 v25, v10
	v_add_u32_e32 v24, 1, v9
	v_addc_co_u32_e32 v61, vcc, v20, v41, vcc
	v_lshlrev_b64 v[46:47], 3, v[24:25]
	v_add_co_u32_e32 v62, vcc, s14, v42
	v_mov_b32_e32 v28, v10
	v_add_u32_e32 v27, 2, v9
	v_addc_co_u32_e32 v63, vcc, v21, v43, vcc
	v_mov_b32_e32 v31, v10
	v_add_u32_e32 v30, 3, v9
	v_lshlrev_b64 v[50:51], 3, v[27:28]
	v_add_co_u32_e32 v43, vcc, s14, v46
	v_lshlrev_b64 v[52:53], 3, v[30:31]
	global_load_dwordx4 v[23:26], v[44:45], off
	global_load_dwordx4 v[27:30], v[48:49], off
	;; [unrolled: 1-line block ×5, first 2 shown]
	global_load_dwordx2 v[64:65], v[62:63], off
	v_addc_co_u32_e32 v44, vcc, v21, v47, vcc
	v_add_co_u32_e32 v45, vcc, s14, v50
	v_add_u32_e32 v9, 4, v9
	v_addc_co_u32_e32 v46, vcc, v21, v51, vcc
	v_lshlrev_b64 v[58:59], 3, v[9:10]
	v_add_co_u32_e32 v47, vcc, s14, v52
	v_addc_co_u32_e32 v48, vcc, v21, v53, vcc
	v_add_co_u32_e32 v49, vcc, s14, v58
	v_addc_co_u32_e32 v50, vcc, v21, v59, vcc
	global_load_dwordx2 v[51:52], v[43:44], off
	global_load_dwordx2 v[53:54], v[45:46], off
	;; [unrolled: 1-line block ×4, first 2 shown]
	s_add_i32 s3, s3, 5
	v_add_u32_e32 v12, 10, v12
	s_cmp_eq_u32 s3, 15
	s_waitcnt vmcnt(4)
	v_fmac_f32_e32 v18, v23, v64
	v_fmac_f32_e32 v15, v24, v64
	v_fmac_f32_e32 v17, v25, v64
	v_fmac_f32_e32 v16, v26, v64
	v_fma_f32 v9, -v24, v65, v18
	v_fmac_f32_e32 v15, v23, v65
	v_fma_f32 v13, -v26, v65, v17
	v_fmac_f32_e32 v16, v25, v65
	s_waitcnt vmcnt(3)
	v_fmac_f32_e32 v9, v27, v51
	v_fmac_f32_e32 v15, v28, v51
	v_fmac_f32_e32 v13, v29, v51
	v_fmac_f32_e32 v16, v30, v51
	v_fma_f32 v9, -v28, v52, v9
	v_fmac_f32_e32 v15, v27, v52
	v_fma_f32 v13, -v30, v52, v13
	v_fmac_f32_e32 v16, v29, v52
	;; [unrolled: 9-line block ×5, first 2 shown]
	s_cbranch_scc0 .LBB217_8
; %bb.9:                                ;   in Loop: Header=BB217_7 Depth=1
	v_add_u32_e32 v11, 4, v11
	v_cmp_ge_i32_e32 vcc, v11, v14
	s_or_b64 s[8:9], vcc, s[8:9]
	v_add_u32_e32 v8, 0x78, v8
	s_andn2_b64 exec, exec, s[8:9]
	s_cbranch_execnz .LBB217_7
; %bb.10:
	s_or_b64 exec, exec, s[8:9]
.LBB217_11:
	s_or_b64 exec, exec, s[6:7]
	s_cbranch_execz .LBB217_13
	s_branch .LBB217_20
.LBB217_12:
                                        ; implicit-def: $vgpr15
                                        ; implicit-def: $vgpr18
                                        ; implicit-def: $vgpr17
                                        ; implicit-def: $vgpr16
.LBB217_13:
	v_mov_b32_e32 v15, 0
	v_mov_b32_e32 v18, 0
	;; [unrolled: 1-line block ×4, first 2 shown]
	s_and_saveexec_b64 s[6:7], s[0:1]
	s_cbranch_execz .LBB217_19
; %bb.14:
	v_mul_lo_u32 v7, v7, 30
	v_mul_lo_u32 v9, v6, 30
	s_mul_i32 s0, s2, 30
	v_mov_b32_e32 v8, 0
	v_mad_u32_u24 v7, v0, 30, v7
	v_subrev_u32_e32 v10, s0, v7
	s_mov_b64 s[0:1], 0
	v_mov_b32_e32 v11, s11
	v_mov_b32_e32 v12, s13
	;; [unrolled: 1-line block ×7, first 2 shown]
.LBB217_15:                             ; =>This Loop Header: Depth=1
                                        ;     Child Loop BB217_16 Depth 2
	v_ashrrev_i32_e32 v7, 31, v6
	v_lshlrev_b64 v[19:20], 2, v[6:7]
	s_mov_b32 s3, 0
	v_add_co_u32_e32 v19, vcc, s10, v19
	v_addc_co_u32_e32 v20, vcc, v11, v20, vcc
	global_load_dword v7, v[19:20], off
	s_waitcnt vmcnt(0)
	v_subrev_u32_e32 v7, s2, v7
	v_mul_lo_u32 v19, v7, 15
.LBB217_16:                             ;   Parent Loop BB217_15 Depth=1
                                        ; =>  This Inner Loop Header: Depth=2
	v_add_u32_e32 v7, s3, v10
	v_lshlrev_b64 v[35:36], 3, v[7:8]
	v_add_u32_e32 v7, s3, v19
	v_add_u32_e32 v49, s3, v9
	v_lshlrev_b64 v[37:38], 3, v[7:8]
	v_add_co_u32_e32 v35, vcc, s12, v35
	v_mov_b32_e32 v21, v8
	v_add_u32_e32 v20, 15, v49
	v_addc_co_u32_e32 v36, vcc, v12, v36, vcc
	v_lshlrev_b64 v[20:21], 3, v[20:21]
	v_add_co_u32_e32 v37, vcc, s14, v37
	v_mov_b32_e32 v23, v8
	v_add_u32_e32 v22, 1, v49
	v_addc_co_u32_e32 v38, vcc, v13, v38, vcc
	v_lshlrev_b64 v[22:23], 3, v[22:23]
	v_add_co_u32_e32 v20, vcc, s12, v20
	v_addc_co_u32_e32 v21, vcc, v12, v21, vcc
	v_add_co_u32_e32 v39, vcc, s12, v22
	v_addc_co_u32_e32 v40, vcc, v12, v23, vcc
	global_load_dwordx2 v[22:23], v[35:36], off
	global_load_dwordx2 v[43:44], v[37:38], off
	v_mov_b32_e32 v31, v8
	v_mov_b32_e32 v34, v8
	v_add_u32_e32 v30, 3, v49
	v_add_u32_e32 v33, 18, v49
	v_mov_b32_e32 v32, v8
	v_mov_b32_e32 v35, v8
	v_lshlrev_b64 v[36:37], 3, v[30:31]
	v_add_u32_e32 v31, 2, v7
	v_lshlrev_b64 v[45:46], 3, v[33:34]
	v_add_u32_e32 v34, 3, v7
	v_lshlrev_b64 v[30:31], 3, v[31:32]
	v_lshlrev_b64 v[32:33], 3, v[34:35]
	global_load_dwordx2 v[34:35], v[20:21], off
	global_load_dwordx2 v[47:48], v[39:40], off
	v_mov_b32_e32 v24, v8
	v_mov_b32_e32 v26, v8
	v_add_u32_e32 v25, 2, v49
	v_mov_b32_e32 v29, v8
	v_add_u32_e32 v28, 17, v49
	v_lshlrev_b64 v[28:29], 3, v[28:29]
	v_mov_b32_e32 v42, v8
	v_add_u32_e32 v41, 4, v49
	v_lshlrev_b64 v[41:42], 3, v[41:42]
	v_mov_b32_e32 v27, v8
	s_add_i32 s3, s3, 5
	s_cmp_eq_u32 s3, 15
	s_waitcnt vmcnt(2)
	v_fmac_f32_e32 v18, v22, v43
	v_fmac_f32_e32 v15, v23, v43
	v_fma_f32 v63, -v23, v44, v18
	v_add_u32_e32 v23, 16, v49
	v_fmac_f32_e32 v15, v22, v44
	v_lshlrev_b64 v[22:23], 3, v[23:24]
	v_lshlrev_b64 v[24:25], 3, v[25:26]
	v_add_co_u32_e32 v20, vcc, s12, v22
	v_addc_co_u32_e32 v21, vcc, v12, v23, vcc
	v_add_co_u32_e32 v22, vcc, s12, v24
	v_addc_co_u32_e32 v23, vcc, v12, v25, vcc
	;; [unrolled: 2-line block ×3, first 2 shown]
	v_add_co_u32_e32 v28, vcc, s12, v36
	s_waitcnt vmcnt(1)
	v_fmac_f32_e32 v16, v35, v43
	v_addc_co_u32_e32 v29, vcc, v12, v37, vcc
	v_fmac_f32_e32 v17, v34, v43
	v_fmac_f32_e32 v16, v34, v44
	v_add_co_u32_e32 v34, vcc, s12, v45
	v_add_u32_e32 v26, 1, v7
	v_fma_f32 v64, -v35, v44, v17
	v_addc_co_u32_e32 v35, vcc, v12, v46, vcc
	v_lshlrev_b64 v[26:27], 3, v[26:27]
	v_add_co_u32_e32 v36, vcc, s12, v41
	v_addc_co_u32_e32 v37, vcc, v12, v42, vcc
	v_add_co_u32_e32 v26, vcc, s14, v26
	v_addc_co_u32_e32 v27, vcc, v13, v27, vcc
	v_add_co_u32_e32 v30, vcc, s14, v30
	v_add_u32_e32 v7, 4, v7
	v_addc_co_u32_e32 v31, vcc, v13, v31, vcc
	v_lshlrev_b64 v[17:18], 3, v[7:8]
	v_add_co_u32_e32 v32, vcc, s14, v32
	v_add_u32_e32 v7, 19, v49
	v_addc_co_u32_e32 v33, vcc, v13, v33, vcc
	v_add_co_u32_e32 v17, vcc, s14, v17
	v_lshlrev_b64 v[38:39], 3, v[7:8]
	v_addc_co_u32_e32 v18, vcc, v13, v18, vcc
	v_add_co_u32_e32 v38, vcc, s12, v38
	v_addc_co_u32_e32 v39, vcc, v12, v39, vcc
	global_load_dwordx2 v[40:41], v[20:21], off
	global_load_dwordx2 v[42:43], v[22:23], off
	global_load_dwordx2 v[44:45], v[24:25], off
	global_load_dwordx2 v[49:50], v[28:29], off
	global_load_dwordx2 v[51:52], v[34:35], off
	global_load_dwordx2 v[53:54], v[36:37], off
	global_load_dwordx2 v[55:56], v[26:27], off
	global_load_dwordx2 v[57:58], v[30:31], off
	global_load_dwordx2 v[59:60], v[32:33], off
	global_load_dwordx2 v[61:62], v[17:18], off
                                        ; kill: killed $vgpr30 killed $vgpr31
                                        ; kill: killed $vgpr20 killed $vgpr21
                                        ; kill: killed $vgpr17 killed $vgpr18
                                        ; kill: killed $vgpr34 killed $vgpr35
                                        ; kill: killed $vgpr24 killed $vgpr25
                                        ; kill: killed $vgpr28 killed $vgpr29
                                        ; kill: killed $vgpr22 killed $vgpr23
                                        ; kill: killed $vgpr26 killed $vgpr27
                                        ; kill: killed $vgpr36 killed $vgpr37
                                        ; kill: killed $vgpr32 killed $vgpr33
	global_load_dwordx2 v[20:21], v[38:39], off
	s_waitcnt vmcnt(4)
	v_fmac_f32_e32 v63, v47, v55
	v_fmac_f32_e32 v15, v48, v55
	v_fmac_f32_e32 v64, v40, v55
	v_fmac_f32_e32 v16, v41, v55
	v_fma_f32 v7, -v48, v56, v63
	v_fmac_f32_e32 v15, v47, v56
	v_fma_f32 v17, -v41, v56, v64
	v_fmac_f32_e32 v16, v40, v56
	s_waitcnt vmcnt(3)
	v_fmac_f32_e32 v7, v42, v57
	v_fmac_f32_e32 v15, v43, v57
	v_fmac_f32_e32 v17, v44, v57
	v_fmac_f32_e32 v16, v45, v57
	v_fma_f32 v7, -v43, v58, v7
	v_fmac_f32_e32 v15, v42, v58
	v_fma_f32 v17, -v45, v58, v17
	v_fmac_f32_e32 v16, v44, v58
	;; [unrolled: 9-line block ×3, first 2 shown]
	s_waitcnt vmcnt(1)
	v_fmac_f32_e32 v7, v53, v61
	v_fmac_f32_e32 v15, v54, v61
	s_waitcnt vmcnt(0)
	v_fmac_f32_e32 v17, v20, v61
	v_fmac_f32_e32 v16, v21, v61
	v_fma_f32 v18, -v54, v62, v7
	v_fmac_f32_e32 v15, v53, v62
	v_fma_f32 v17, -v21, v62, v17
	v_fmac_f32_e32 v16, v20, v62
	s_cbranch_scc0 .LBB217_16
; %bb.17:                               ;   in Loop: Header=BB217_15 Depth=1
	v_add_u32_e32 v6, 4, v6
	v_cmp_ge_i32_e32 vcc, v6, v14
	v_add_u32_e32 v9, 0x78, v9
	s_or_b64 s[0:1], vcc, s[0:1]
	v_add_u32_e32 v10, 0x78, v10
	s_andn2_b64 exec, exec, s[0:1]
	s_cbranch_execnz .LBB217_15
; %bb.18:
	s_or_b64 exec, exec, s[0:1]
.LBB217_19:
	s_or_b64 exec, exec, s[6:7]
.LBB217_20:
	v_mov_b32_dpp v6, v18 row_shr:1 row_mask:0xf bank_mask:0xf
	v_mov_b32_dpp v8, v15 row_shr:1 row_mask:0xf bank_mask:0xf
	v_mov_b32_dpp v10, v17 row_shr:1 row_mask:0xf bank_mask:0xf
	v_mov_b32_dpp v12, v16 row_shr:1 row_mask:0xf bank_mask:0xf
	v_add_f32_e32 v6, v18, v6
	v_add_f32_e32 v8, v15, v8
	;; [unrolled: 1-line block ×4, first 2 shown]
	v_mov_b32_dpp v7, v6 row_shr:2 row_mask:0xf bank_mask:0xf
	v_mov_b32_dpp v9, v8 row_shr:2 row_mask:0xf bank_mask:0xf
	;; [unrolled: 1-line block ×4, first 2 shown]
	v_cmp_eq_u32_e32 vcc, 3, v0
	s_and_b64 exec, exec, vcc
	s_cbranch_execz .LBB217_25
; %bb.21:
	s_load_dwordx2 s[2:3], s[4:5], 0x38
	v_cmp_eq_f32_e32 vcc, 0, v3
	v_cmp_eq_f32_e64 s[0:1], 0, v4
	v_add_f32_e32 v7, v6, v7
	v_add_f32_e32 v8, v8, v9
	;; [unrolled: 1-line block ×4, first 2 shown]
	s_and_b64 s[0:1], vcc, s[0:1]
	s_and_saveexec_b64 s[4:5], s[0:1]
	s_xor_b64 s[0:1], exec, s[4:5]
	s_cbranch_execz .LBB217_23
; %bb.22:
	v_mul_f32_e64 v3, v8, -v2
	v_mul_f32_e32 v4, v1, v8
	v_fmac_f32_e32 v3, v1, v7
	v_fmac_f32_e32 v4, v2, v7
	v_lshlrev_b32_e32 v7, 1, v5
	v_ashrrev_i32_e32 v8, 31, v7
	v_lshlrev_b64 v[7:8], 3, v[7:8]
	s_waitcnt lgkmcnt(0)
	v_mov_b32_e32 v5, s3
	v_add_co_u32_e32 v7, vcc, s2, v7
	v_addc_co_u32_e32 v8, vcc, v5, v8, vcc
	v_mul_f32_e64 v5, v6, -v2
	v_mul_f32_e32 v6, v1, v6
	v_fmac_f32_e32 v5, v1, v0
	v_fmac_f32_e32 v6, v2, v0
	global_store_dwordx4 v[7:8], v[3:6], off
                                        ; implicit-def: $vgpr5
                                        ; implicit-def: $vgpr1_vgpr2
                                        ; implicit-def: $vgpr8
                                        ; implicit-def: $vgpr7
                                        ; implicit-def: $vgpr3_vgpr4
                                        ; implicit-def: $vgpr6
                                        ; implicit-def: $vgpr0
.LBB217_23:
	s_andn2_saveexec_b64 s[0:1], s[0:1]
	s_cbranch_execz .LBB217_25
; %bb.24:
	v_lshlrev_b32_e32 v9, 1, v5
	v_ashrrev_i32_e32 v10, 31, v9
	v_lshlrev_b64 v[9:10], 3, v[9:10]
	s_waitcnt lgkmcnt(0)
	v_mov_b32_e32 v5, s3
	v_add_co_u32_e32 v17, vcc, s2, v9
	v_addc_co_u32_e32 v18, vcc, v5, v10, vcc
	global_load_dwordx4 v[9:12], v[17:18], off
	v_mul_f32_e64 v5, v8, -v2
	v_mul_f32_e32 v14, v1, v8
	v_mul_f32_e64 v8, v6, -v2
	v_mul_f32_e32 v16, v1, v6
	v_fmac_f32_e32 v5, v1, v7
	v_fmac_f32_e32 v14, v2, v7
	;; [unrolled: 1-line block ×4, first 2 shown]
	s_waitcnt vmcnt(0)
	v_fmac_f32_e32 v5, v3, v9
	v_fmac_f32_e32 v14, v4, v9
	;; [unrolled: 1-line block ×4, first 2 shown]
	v_fma_f32 v13, -v4, v10, v5
	v_fmac_f32_e32 v14, v3, v10
	v_fma_f32 v15, -v4, v12, v8
	v_fmac_f32_e32 v16, v3, v12
	global_store_dwordx4 v[17:18], v[13:16], off
.LBB217_25:
	s_endpgm
	.section	.rodata,"a",@progbits
	.p2align	6, 0x0
	.amdhsa_kernel _ZN9rocsparseL19gebsrmvn_2xn_kernelILj128ELj15ELj4E21rocsparse_complex_numIfEEEvi20rocsparse_direction_NS_24const_host_device_scalarIT2_EEPKiS8_PKS5_SA_S6_PS5_21rocsparse_index_base_b
		.amdhsa_group_segment_fixed_size 0
		.amdhsa_private_segment_fixed_size 0
		.amdhsa_kernarg_size 72
		.amdhsa_user_sgpr_count 6
		.amdhsa_user_sgpr_private_segment_buffer 1
		.amdhsa_user_sgpr_dispatch_ptr 0
		.amdhsa_user_sgpr_queue_ptr 0
		.amdhsa_user_sgpr_kernarg_segment_ptr 1
		.amdhsa_user_sgpr_dispatch_id 0
		.amdhsa_user_sgpr_flat_scratch_init 0
		.amdhsa_user_sgpr_private_segment_size 0
		.amdhsa_uses_dynamic_stack 0
		.amdhsa_system_sgpr_private_segment_wavefront_offset 0
		.amdhsa_system_sgpr_workgroup_id_x 1
		.amdhsa_system_sgpr_workgroup_id_y 0
		.amdhsa_system_sgpr_workgroup_id_z 0
		.amdhsa_system_sgpr_workgroup_info 0
		.amdhsa_system_vgpr_workitem_id 0
		.amdhsa_next_free_vgpr 66
		.amdhsa_next_free_sgpr 16
		.amdhsa_reserve_vcc 1
		.amdhsa_reserve_flat_scratch 0
		.amdhsa_float_round_mode_32 0
		.amdhsa_float_round_mode_16_64 0
		.amdhsa_float_denorm_mode_32 3
		.amdhsa_float_denorm_mode_16_64 3
		.amdhsa_dx10_clamp 1
		.amdhsa_ieee_mode 1
		.amdhsa_fp16_overflow 0
		.amdhsa_exception_fp_ieee_invalid_op 0
		.amdhsa_exception_fp_denorm_src 0
		.amdhsa_exception_fp_ieee_div_zero 0
		.amdhsa_exception_fp_ieee_overflow 0
		.amdhsa_exception_fp_ieee_underflow 0
		.amdhsa_exception_fp_ieee_inexact 0
		.amdhsa_exception_int_div_zero 0
	.end_amdhsa_kernel
	.section	.text._ZN9rocsparseL19gebsrmvn_2xn_kernelILj128ELj15ELj4E21rocsparse_complex_numIfEEEvi20rocsparse_direction_NS_24const_host_device_scalarIT2_EEPKiS8_PKS5_SA_S6_PS5_21rocsparse_index_base_b,"axG",@progbits,_ZN9rocsparseL19gebsrmvn_2xn_kernelILj128ELj15ELj4E21rocsparse_complex_numIfEEEvi20rocsparse_direction_NS_24const_host_device_scalarIT2_EEPKiS8_PKS5_SA_S6_PS5_21rocsparse_index_base_b,comdat
.Lfunc_end217:
	.size	_ZN9rocsparseL19gebsrmvn_2xn_kernelILj128ELj15ELj4E21rocsparse_complex_numIfEEEvi20rocsparse_direction_NS_24const_host_device_scalarIT2_EEPKiS8_PKS5_SA_S6_PS5_21rocsparse_index_base_b, .Lfunc_end217-_ZN9rocsparseL19gebsrmvn_2xn_kernelILj128ELj15ELj4E21rocsparse_complex_numIfEEEvi20rocsparse_direction_NS_24const_host_device_scalarIT2_EEPKiS8_PKS5_SA_S6_PS5_21rocsparse_index_base_b
                                        ; -- End function
	.set _ZN9rocsparseL19gebsrmvn_2xn_kernelILj128ELj15ELj4E21rocsparse_complex_numIfEEEvi20rocsparse_direction_NS_24const_host_device_scalarIT2_EEPKiS8_PKS5_SA_S6_PS5_21rocsparse_index_base_b.num_vgpr, 66
	.set _ZN9rocsparseL19gebsrmvn_2xn_kernelILj128ELj15ELj4E21rocsparse_complex_numIfEEEvi20rocsparse_direction_NS_24const_host_device_scalarIT2_EEPKiS8_PKS5_SA_S6_PS5_21rocsparse_index_base_b.num_agpr, 0
	.set _ZN9rocsparseL19gebsrmvn_2xn_kernelILj128ELj15ELj4E21rocsparse_complex_numIfEEEvi20rocsparse_direction_NS_24const_host_device_scalarIT2_EEPKiS8_PKS5_SA_S6_PS5_21rocsparse_index_base_b.numbered_sgpr, 16
	.set _ZN9rocsparseL19gebsrmvn_2xn_kernelILj128ELj15ELj4E21rocsparse_complex_numIfEEEvi20rocsparse_direction_NS_24const_host_device_scalarIT2_EEPKiS8_PKS5_SA_S6_PS5_21rocsparse_index_base_b.num_named_barrier, 0
	.set _ZN9rocsparseL19gebsrmvn_2xn_kernelILj128ELj15ELj4E21rocsparse_complex_numIfEEEvi20rocsparse_direction_NS_24const_host_device_scalarIT2_EEPKiS8_PKS5_SA_S6_PS5_21rocsparse_index_base_b.private_seg_size, 0
	.set _ZN9rocsparseL19gebsrmvn_2xn_kernelILj128ELj15ELj4E21rocsparse_complex_numIfEEEvi20rocsparse_direction_NS_24const_host_device_scalarIT2_EEPKiS8_PKS5_SA_S6_PS5_21rocsparse_index_base_b.uses_vcc, 1
	.set _ZN9rocsparseL19gebsrmvn_2xn_kernelILj128ELj15ELj4E21rocsparse_complex_numIfEEEvi20rocsparse_direction_NS_24const_host_device_scalarIT2_EEPKiS8_PKS5_SA_S6_PS5_21rocsparse_index_base_b.uses_flat_scratch, 0
	.set _ZN9rocsparseL19gebsrmvn_2xn_kernelILj128ELj15ELj4E21rocsparse_complex_numIfEEEvi20rocsparse_direction_NS_24const_host_device_scalarIT2_EEPKiS8_PKS5_SA_S6_PS5_21rocsparse_index_base_b.has_dyn_sized_stack, 0
	.set _ZN9rocsparseL19gebsrmvn_2xn_kernelILj128ELj15ELj4E21rocsparse_complex_numIfEEEvi20rocsparse_direction_NS_24const_host_device_scalarIT2_EEPKiS8_PKS5_SA_S6_PS5_21rocsparse_index_base_b.has_recursion, 0
	.set _ZN9rocsparseL19gebsrmvn_2xn_kernelILj128ELj15ELj4E21rocsparse_complex_numIfEEEvi20rocsparse_direction_NS_24const_host_device_scalarIT2_EEPKiS8_PKS5_SA_S6_PS5_21rocsparse_index_base_b.has_indirect_call, 0
	.section	.AMDGPU.csdata,"",@progbits
; Kernel info:
; codeLenInByte = 2240
; TotalNumSgprs: 20
; NumVgprs: 66
; ScratchSize: 0
; MemoryBound: 0
; FloatMode: 240
; IeeeMode: 1
; LDSByteSize: 0 bytes/workgroup (compile time only)
; SGPRBlocks: 2
; VGPRBlocks: 16
; NumSGPRsForWavesPerEU: 20
; NumVGPRsForWavesPerEU: 66
; Occupancy: 3
; WaveLimiterHint : 1
; COMPUTE_PGM_RSRC2:SCRATCH_EN: 0
; COMPUTE_PGM_RSRC2:USER_SGPR: 6
; COMPUTE_PGM_RSRC2:TRAP_HANDLER: 0
; COMPUTE_PGM_RSRC2:TGID_X_EN: 1
; COMPUTE_PGM_RSRC2:TGID_Y_EN: 0
; COMPUTE_PGM_RSRC2:TGID_Z_EN: 0
; COMPUTE_PGM_RSRC2:TIDIG_COMP_CNT: 0
	.section	.text._ZN9rocsparseL19gebsrmvn_2xn_kernelILj128ELj15ELj8E21rocsparse_complex_numIfEEEvi20rocsparse_direction_NS_24const_host_device_scalarIT2_EEPKiS8_PKS5_SA_S6_PS5_21rocsparse_index_base_b,"axG",@progbits,_ZN9rocsparseL19gebsrmvn_2xn_kernelILj128ELj15ELj8E21rocsparse_complex_numIfEEEvi20rocsparse_direction_NS_24const_host_device_scalarIT2_EEPKiS8_PKS5_SA_S6_PS5_21rocsparse_index_base_b,comdat
	.globl	_ZN9rocsparseL19gebsrmvn_2xn_kernelILj128ELj15ELj8E21rocsparse_complex_numIfEEEvi20rocsparse_direction_NS_24const_host_device_scalarIT2_EEPKiS8_PKS5_SA_S6_PS5_21rocsparse_index_base_b ; -- Begin function _ZN9rocsparseL19gebsrmvn_2xn_kernelILj128ELj15ELj8E21rocsparse_complex_numIfEEEvi20rocsparse_direction_NS_24const_host_device_scalarIT2_EEPKiS8_PKS5_SA_S6_PS5_21rocsparse_index_base_b
	.p2align	8
	.type	_ZN9rocsparseL19gebsrmvn_2xn_kernelILj128ELj15ELj8E21rocsparse_complex_numIfEEEvi20rocsparse_direction_NS_24const_host_device_scalarIT2_EEPKiS8_PKS5_SA_S6_PS5_21rocsparse_index_base_b,@function
_ZN9rocsparseL19gebsrmvn_2xn_kernelILj128ELj15ELj8E21rocsparse_complex_numIfEEEvi20rocsparse_direction_NS_24const_host_device_scalarIT2_EEPKiS8_PKS5_SA_S6_PS5_21rocsparse_index_base_b: ; @_ZN9rocsparseL19gebsrmvn_2xn_kernelILj128ELj15ELj8E21rocsparse_complex_numIfEEEvi20rocsparse_direction_NS_24const_host_device_scalarIT2_EEPKiS8_PKS5_SA_S6_PS5_21rocsparse_index_base_b
; %bb.0:
	s_load_dwordx2 s[0:1], s[4:5], 0x8
	s_load_dwordx2 s[8:9], s[4:5], 0x30
	;; [unrolled: 1-line block ×3, first 2 shown]
	s_add_u32 s7, s4, 8
	s_addc_u32 s10, s5, 0
	s_add_u32 s11, s4, 48
	s_addc_u32 s12, s5, 0
	s_waitcnt lgkmcnt(0)
	s_bitcmp1_b32 s3, 0
	s_cselect_b32 s1, s10, s1
	s_cselect_b32 s0, s7, s0
	v_mov_b32_e32 v1, s0
	v_mov_b32_e32 v2, s1
	flat_load_dwordx2 v[1:2], v[1:2]
	s_cselect_b32 s0, s12, s9
	s_cselect_b32 s1, s11, s8
	v_mov_b32_e32 v3, s1
	v_mov_b32_e32 v4, s0
	flat_load_dwordx2 v[3:4], v[3:4]
	s_waitcnt vmcnt(0) lgkmcnt(0)
	v_cmp_eq_f32_e32 vcc, 0, v1
	v_cmp_eq_f32_e64 s[0:1], 0, v2
	s_and_b64 s[10:11], vcc, s[0:1]
	s_mov_b64 s[0:1], -1
	s_and_saveexec_b64 s[8:9], s[10:11]
; %bb.1:
	v_cmp_neq_f32_e32 vcc, 1.0, v3
	v_cmp_neq_f32_e64 s[0:1], 0, v4
	s_or_b64 s[0:1], vcc, s[0:1]
	s_orn2_b64 s[0:1], s[0:1], exec
; %bb.2:
	s_or_b64 exec, exec, s[8:9]
	s_and_saveexec_b64 s[8:9], s[0:1]
	s_cbranch_execz .LBB218_25
; %bb.3:
	s_load_dwordx2 s[0:1], s[4:5], 0x0
	v_lshrrev_b32_e32 v5, 3, v0
	v_lshl_or_b32 v5, s6, 4, v5
	s_waitcnt lgkmcnt(0)
	v_cmp_gt_i32_e32 vcc, s0, v5
	s_and_b64 exec, exec, vcc
	s_cbranch_execz .LBB218_25
; %bb.4:
	s_load_dwordx8 s[8:15], s[4:5], 0x10
	v_ashrrev_i32_e32 v6, 31, v5
	v_lshlrev_b64 v[6:7], 2, v[5:6]
	v_and_b32_e32 v0, 7, v0
	s_cmp_lg_u32 s1, 0
	s_waitcnt lgkmcnt(0)
	v_mov_b32_e32 v8, s9
	v_add_co_u32_e32 v6, vcc, s8, v6
	v_addc_co_u32_e32 v7, vcc, v8, v7, vcc
	global_load_dwordx2 v[7:8], v[6:7], off
	s_waitcnt vmcnt(0)
	v_subrev_u32_e32 v6, s2, v7
	v_subrev_u32_e32 v14, s2, v8
	v_add_u32_e32 v6, v6, v0
	v_cmp_lt_i32_e64 s[0:1], v6, v14
	s_cbranch_scc0 .LBB218_12
; %bb.5:
	v_mov_b32_e32 v15, 0
	v_mov_b32_e32 v18, 0
	;; [unrolled: 1-line block ×4, first 2 shown]
	s_and_saveexec_b64 s[6:7], s[0:1]
	s_cbranch_execz .LBB218_11
; %bb.6:
	v_mad_u64_u32 v[8:9], s[8:9], v6, 30, 8
	v_mov_b32_e32 v10, 0
	s_mov_b64 s[8:9], 0
	v_mov_b32_e32 v19, s11
	v_mov_b32_e32 v20, s13
	;; [unrolled: 1-line block ×8, first 2 shown]
.LBB218_7:                              ; =>This Loop Header: Depth=1
                                        ;     Child Loop BB218_8 Depth 2
	v_ashrrev_i32_e32 v12, 31, v11
	v_lshlrev_b64 v[12:13], 2, v[11:12]
	s_mov_b32 s3, 0
	v_add_co_u32_e32 v12, vcc, s10, v12
	v_addc_co_u32_e32 v13, vcc, v19, v13, vcc
	global_load_dword v9, v[12:13], off
	v_mov_b32_e32 v12, v8
	s_waitcnt vmcnt(0)
	v_subrev_u32_e32 v9, s2, v9
	v_mul_lo_u32 v22, v9, 15
.LBB218_8:                              ;   Parent Loop BB218_7 Depth=1
                                        ; =>  This Inner Loop Header: Depth=2
	v_add_u32_e32 v9, -8, v12
	v_lshlrev_b64 v[32:33], 3, v[9:10]
	v_add_u32_e32 v23, -6, v12
	v_mov_b32_e32 v24, v10
	v_lshlrev_b64 v[34:35], 3, v[23:24]
	v_add_co_u32_e32 v44, vcc, s12, v32
	v_add_u32_e32 v26, -4, v12
	v_mov_b32_e32 v27, v10
	v_addc_co_u32_e32 v45, vcc, v20, v33, vcc
	v_lshlrev_b64 v[36:37], 3, v[26:27]
	v_add_co_u32_e32 v48, vcc, s12, v34
	v_add_u32_e32 v29, -2, v12
	v_mov_b32_e32 v30, v10
	v_addc_co_u32_e32 v49, vcc, v20, v35, vcc
	v_lshlrev_b64 v[38:39], 3, v[29:30]
	v_add_co_u32_e32 v54, vcc, s12, v36
	v_mov_b32_e32 v13, v10
	v_addc_co_u32_e32 v55, vcc, v20, v37, vcc
	v_lshlrev_b64 v[40:41], 3, v[12:13]
	v_add_co_u32_e32 v56, vcc, s12, v38
	v_add_u32_e32 v9, s3, v22
	v_addc_co_u32_e32 v57, vcc, v20, v39, vcc
	v_lshlrev_b64 v[42:43], 3, v[9:10]
	v_add_co_u32_e32 v60, vcc, s12, v40
	v_mov_b32_e32 v25, v10
	v_add_u32_e32 v24, 1, v9
	v_addc_co_u32_e32 v61, vcc, v20, v41, vcc
	v_lshlrev_b64 v[46:47], 3, v[24:25]
	v_add_co_u32_e32 v62, vcc, s14, v42
	v_mov_b32_e32 v28, v10
	v_add_u32_e32 v27, 2, v9
	v_addc_co_u32_e32 v63, vcc, v21, v43, vcc
	v_mov_b32_e32 v31, v10
	v_add_u32_e32 v30, 3, v9
	v_lshlrev_b64 v[50:51], 3, v[27:28]
	v_add_co_u32_e32 v43, vcc, s14, v46
	v_lshlrev_b64 v[52:53], 3, v[30:31]
	global_load_dwordx4 v[23:26], v[44:45], off
	global_load_dwordx4 v[27:30], v[48:49], off
	;; [unrolled: 1-line block ×5, first 2 shown]
	global_load_dwordx2 v[64:65], v[62:63], off
	v_addc_co_u32_e32 v44, vcc, v21, v47, vcc
	v_add_co_u32_e32 v45, vcc, s14, v50
	v_add_u32_e32 v9, 4, v9
	v_addc_co_u32_e32 v46, vcc, v21, v51, vcc
	v_lshlrev_b64 v[58:59], 3, v[9:10]
	v_add_co_u32_e32 v47, vcc, s14, v52
	v_addc_co_u32_e32 v48, vcc, v21, v53, vcc
	v_add_co_u32_e32 v49, vcc, s14, v58
	v_addc_co_u32_e32 v50, vcc, v21, v59, vcc
	global_load_dwordx2 v[51:52], v[43:44], off
	global_load_dwordx2 v[53:54], v[45:46], off
	;; [unrolled: 1-line block ×4, first 2 shown]
	s_add_i32 s3, s3, 5
	v_add_u32_e32 v12, 10, v12
	s_cmp_eq_u32 s3, 15
	s_waitcnt vmcnt(4)
	v_fmac_f32_e32 v18, v23, v64
	v_fmac_f32_e32 v15, v24, v64
	v_fmac_f32_e32 v17, v25, v64
	v_fmac_f32_e32 v16, v26, v64
	v_fma_f32 v9, -v24, v65, v18
	v_fmac_f32_e32 v15, v23, v65
	v_fma_f32 v13, -v26, v65, v17
	v_fmac_f32_e32 v16, v25, v65
	s_waitcnt vmcnt(3)
	v_fmac_f32_e32 v9, v27, v51
	v_fmac_f32_e32 v15, v28, v51
	v_fmac_f32_e32 v13, v29, v51
	v_fmac_f32_e32 v16, v30, v51
	v_fma_f32 v9, -v28, v52, v9
	v_fmac_f32_e32 v15, v27, v52
	v_fma_f32 v13, -v30, v52, v13
	v_fmac_f32_e32 v16, v29, v52
	;; [unrolled: 9-line block ×5, first 2 shown]
	s_cbranch_scc0 .LBB218_8
; %bb.9:                                ;   in Loop: Header=BB218_7 Depth=1
	v_add_u32_e32 v11, 8, v11
	v_cmp_ge_i32_e32 vcc, v11, v14
	s_or_b64 s[8:9], vcc, s[8:9]
	v_add_u32_e32 v8, 0xf0, v8
	s_andn2_b64 exec, exec, s[8:9]
	s_cbranch_execnz .LBB218_7
; %bb.10:
	s_or_b64 exec, exec, s[8:9]
.LBB218_11:
	s_or_b64 exec, exec, s[6:7]
	s_cbranch_execz .LBB218_13
	s_branch .LBB218_20
.LBB218_12:
                                        ; implicit-def: $vgpr15
                                        ; implicit-def: $vgpr18
                                        ; implicit-def: $vgpr17
                                        ; implicit-def: $vgpr16
.LBB218_13:
	v_mov_b32_e32 v15, 0
	v_mov_b32_e32 v18, 0
	v_mov_b32_e32 v17, 0
	v_mov_b32_e32 v16, 0
	s_and_saveexec_b64 s[6:7], s[0:1]
	s_cbranch_execz .LBB218_19
; %bb.14:
	v_mul_lo_u32 v7, v7, 30
	v_mul_lo_u32 v9, v6, 30
	s_mul_i32 s0, s2, 30
	v_mov_b32_e32 v8, 0
	v_mad_u32_u24 v7, v0, 30, v7
	v_subrev_u32_e32 v10, s0, v7
	s_mov_b64 s[0:1], 0
	v_mov_b32_e32 v11, s11
	v_mov_b32_e32 v12, s13
	;; [unrolled: 1-line block ×7, first 2 shown]
.LBB218_15:                             ; =>This Loop Header: Depth=1
                                        ;     Child Loop BB218_16 Depth 2
	v_ashrrev_i32_e32 v7, 31, v6
	v_lshlrev_b64 v[19:20], 2, v[6:7]
	s_mov_b32 s3, 0
	v_add_co_u32_e32 v19, vcc, s10, v19
	v_addc_co_u32_e32 v20, vcc, v11, v20, vcc
	global_load_dword v7, v[19:20], off
	s_waitcnt vmcnt(0)
	v_subrev_u32_e32 v7, s2, v7
	v_mul_lo_u32 v19, v7, 15
.LBB218_16:                             ;   Parent Loop BB218_15 Depth=1
                                        ; =>  This Inner Loop Header: Depth=2
	v_add_u32_e32 v7, s3, v10
	v_lshlrev_b64 v[35:36], 3, v[7:8]
	v_add_u32_e32 v7, s3, v19
	v_add_u32_e32 v49, s3, v9
	v_lshlrev_b64 v[37:38], 3, v[7:8]
	v_add_co_u32_e32 v35, vcc, s12, v35
	v_mov_b32_e32 v21, v8
	v_add_u32_e32 v20, 15, v49
	v_addc_co_u32_e32 v36, vcc, v12, v36, vcc
	v_lshlrev_b64 v[20:21], 3, v[20:21]
	v_add_co_u32_e32 v37, vcc, s14, v37
	v_mov_b32_e32 v23, v8
	v_add_u32_e32 v22, 1, v49
	v_addc_co_u32_e32 v38, vcc, v13, v38, vcc
	v_lshlrev_b64 v[22:23], 3, v[22:23]
	v_add_co_u32_e32 v20, vcc, s12, v20
	v_addc_co_u32_e32 v21, vcc, v12, v21, vcc
	v_add_co_u32_e32 v39, vcc, s12, v22
	v_addc_co_u32_e32 v40, vcc, v12, v23, vcc
	global_load_dwordx2 v[22:23], v[35:36], off
	global_load_dwordx2 v[43:44], v[37:38], off
	v_mov_b32_e32 v31, v8
	v_mov_b32_e32 v34, v8
	v_add_u32_e32 v30, 3, v49
	v_add_u32_e32 v33, 18, v49
	v_mov_b32_e32 v32, v8
	v_mov_b32_e32 v35, v8
	v_lshlrev_b64 v[36:37], 3, v[30:31]
	v_add_u32_e32 v31, 2, v7
	v_lshlrev_b64 v[45:46], 3, v[33:34]
	v_add_u32_e32 v34, 3, v7
	v_lshlrev_b64 v[30:31], 3, v[31:32]
	v_lshlrev_b64 v[32:33], 3, v[34:35]
	global_load_dwordx2 v[34:35], v[20:21], off
	global_load_dwordx2 v[47:48], v[39:40], off
	v_mov_b32_e32 v24, v8
	v_mov_b32_e32 v26, v8
	v_add_u32_e32 v25, 2, v49
	v_mov_b32_e32 v29, v8
	v_add_u32_e32 v28, 17, v49
	v_lshlrev_b64 v[28:29], 3, v[28:29]
	v_mov_b32_e32 v42, v8
	v_add_u32_e32 v41, 4, v49
	v_lshlrev_b64 v[41:42], 3, v[41:42]
	v_mov_b32_e32 v27, v8
	s_add_i32 s3, s3, 5
	s_cmp_eq_u32 s3, 15
	s_waitcnt vmcnt(2)
	v_fmac_f32_e32 v18, v22, v43
	v_fmac_f32_e32 v15, v23, v43
	v_fma_f32 v63, -v23, v44, v18
	v_add_u32_e32 v23, 16, v49
	v_fmac_f32_e32 v15, v22, v44
	v_lshlrev_b64 v[22:23], 3, v[23:24]
	v_lshlrev_b64 v[24:25], 3, v[25:26]
	v_add_co_u32_e32 v20, vcc, s12, v22
	v_addc_co_u32_e32 v21, vcc, v12, v23, vcc
	v_add_co_u32_e32 v22, vcc, s12, v24
	v_addc_co_u32_e32 v23, vcc, v12, v25, vcc
	;; [unrolled: 2-line block ×3, first 2 shown]
	v_add_co_u32_e32 v28, vcc, s12, v36
	s_waitcnt vmcnt(1)
	v_fmac_f32_e32 v16, v35, v43
	v_addc_co_u32_e32 v29, vcc, v12, v37, vcc
	v_fmac_f32_e32 v17, v34, v43
	v_fmac_f32_e32 v16, v34, v44
	v_add_co_u32_e32 v34, vcc, s12, v45
	v_add_u32_e32 v26, 1, v7
	v_fma_f32 v64, -v35, v44, v17
	v_addc_co_u32_e32 v35, vcc, v12, v46, vcc
	v_lshlrev_b64 v[26:27], 3, v[26:27]
	v_add_co_u32_e32 v36, vcc, s12, v41
	v_addc_co_u32_e32 v37, vcc, v12, v42, vcc
	v_add_co_u32_e32 v26, vcc, s14, v26
	v_addc_co_u32_e32 v27, vcc, v13, v27, vcc
	v_add_co_u32_e32 v30, vcc, s14, v30
	v_add_u32_e32 v7, 4, v7
	v_addc_co_u32_e32 v31, vcc, v13, v31, vcc
	v_lshlrev_b64 v[17:18], 3, v[7:8]
	v_add_co_u32_e32 v32, vcc, s14, v32
	v_add_u32_e32 v7, 19, v49
	v_addc_co_u32_e32 v33, vcc, v13, v33, vcc
	v_add_co_u32_e32 v17, vcc, s14, v17
	v_lshlrev_b64 v[38:39], 3, v[7:8]
	v_addc_co_u32_e32 v18, vcc, v13, v18, vcc
	v_add_co_u32_e32 v38, vcc, s12, v38
	v_addc_co_u32_e32 v39, vcc, v12, v39, vcc
	global_load_dwordx2 v[40:41], v[20:21], off
	global_load_dwordx2 v[42:43], v[22:23], off
	;; [unrolled: 1-line block ×10, first 2 shown]
                                        ; kill: killed $vgpr30 killed $vgpr31
                                        ; kill: killed $vgpr20 killed $vgpr21
                                        ; kill: killed $vgpr17 killed $vgpr18
                                        ; kill: killed $vgpr34 killed $vgpr35
                                        ; kill: killed $vgpr24 killed $vgpr25
                                        ; kill: killed $vgpr28 killed $vgpr29
                                        ; kill: killed $vgpr22 killed $vgpr23
                                        ; kill: killed $vgpr26 killed $vgpr27
                                        ; kill: killed $vgpr36 killed $vgpr37
                                        ; kill: killed $vgpr32 killed $vgpr33
	global_load_dwordx2 v[20:21], v[38:39], off
	s_waitcnt vmcnt(4)
	v_fmac_f32_e32 v63, v47, v55
	v_fmac_f32_e32 v15, v48, v55
	v_fmac_f32_e32 v64, v40, v55
	v_fmac_f32_e32 v16, v41, v55
	v_fma_f32 v7, -v48, v56, v63
	v_fmac_f32_e32 v15, v47, v56
	v_fma_f32 v17, -v41, v56, v64
	v_fmac_f32_e32 v16, v40, v56
	s_waitcnt vmcnt(3)
	v_fmac_f32_e32 v7, v42, v57
	v_fmac_f32_e32 v15, v43, v57
	v_fmac_f32_e32 v17, v44, v57
	v_fmac_f32_e32 v16, v45, v57
	v_fma_f32 v7, -v43, v58, v7
	v_fmac_f32_e32 v15, v42, v58
	v_fma_f32 v17, -v45, v58, v17
	v_fmac_f32_e32 v16, v44, v58
	;; [unrolled: 9-line block ×3, first 2 shown]
	s_waitcnt vmcnt(1)
	v_fmac_f32_e32 v7, v53, v61
	v_fmac_f32_e32 v15, v54, v61
	s_waitcnt vmcnt(0)
	v_fmac_f32_e32 v17, v20, v61
	v_fmac_f32_e32 v16, v21, v61
	v_fma_f32 v18, -v54, v62, v7
	v_fmac_f32_e32 v15, v53, v62
	v_fma_f32 v17, -v21, v62, v17
	v_fmac_f32_e32 v16, v20, v62
	s_cbranch_scc0 .LBB218_16
; %bb.17:                               ;   in Loop: Header=BB218_15 Depth=1
	v_add_u32_e32 v6, 8, v6
	v_cmp_ge_i32_e32 vcc, v6, v14
	v_add_u32_e32 v9, 0xf0, v9
	s_or_b64 s[0:1], vcc, s[0:1]
	v_add_u32_e32 v10, 0xf0, v10
	s_andn2_b64 exec, exec, s[0:1]
	s_cbranch_execnz .LBB218_15
; %bb.18:
	s_or_b64 exec, exec, s[0:1]
.LBB218_19:
	s_or_b64 exec, exec, s[6:7]
.LBB218_20:
	v_mov_b32_dpp v6, v18 row_shr:1 row_mask:0xf bank_mask:0xf
	v_mov_b32_dpp v8, v15 row_shr:1 row_mask:0xf bank_mask:0xf
	;; [unrolled: 1-line block ×4, first 2 shown]
	v_add_f32_e32 v6, v18, v6
	v_add_f32_e32 v8, v15, v8
	;; [unrolled: 1-line block ×4, first 2 shown]
	v_mov_b32_dpp v7, v6 row_shr:2 row_mask:0xf bank_mask:0xf
	v_mov_b32_dpp v9, v8 row_shr:2 row_mask:0xf bank_mask:0xf
	;; [unrolled: 1-line block ×4, first 2 shown]
	v_add_f32_e32 v6, v6, v7
	v_add_f32_e32 v8, v8, v9
	;; [unrolled: 1-line block ×4, first 2 shown]
	v_mov_b32_dpp v7, v6 row_shr:4 row_mask:0xf bank_mask:0xe
	v_mov_b32_dpp v9, v8 row_shr:4 row_mask:0xf bank_mask:0xe
	;; [unrolled: 1-line block ×4, first 2 shown]
	v_cmp_eq_u32_e32 vcc, 7, v0
	s_and_b64 exec, exec, vcc
	s_cbranch_execz .LBB218_25
; %bb.21:
	s_load_dwordx2 s[2:3], s[4:5], 0x38
	v_cmp_eq_f32_e32 vcc, 0, v3
	v_cmp_eq_f32_e64 s[0:1], 0, v4
	v_add_f32_e32 v7, v6, v7
	v_add_f32_e32 v8, v8, v9
	;; [unrolled: 1-line block ×4, first 2 shown]
	s_and_b64 s[0:1], vcc, s[0:1]
	s_and_saveexec_b64 s[4:5], s[0:1]
	s_xor_b64 s[0:1], exec, s[4:5]
	s_cbranch_execz .LBB218_23
; %bb.22:
	v_mul_f32_e64 v3, v8, -v2
	v_mul_f32_e32 v4, v1, v8
	v_fmac_f32_e32 v3, v1, v7
	v_fmac_f32_e32 v4, v2, v7
	v_lshlrev_b32_e32 v7, 1, v5
	v_ashrrev_i32_e32 v8, 31, v7
	v_lshlrev_b64 v[7:8], 3, v[7:8]
	s_waitcnt lgkmcnt(0)
	v_mov_b32_e32 v5, s3
	v_add_co_u32_e32 v7, vcc, s2, v7
	v_addc_co_u32_e32 v8, vcc, v5, v8, vcc
	v_mul_f32_e64 v5, v6, -v2
	v_mul_f32_e32 v6, v1, v6
	v_fmac_f32_e32 v5, v1, v0
	v_fmac_f32_e32 v6, v2, v0
	global_store_dwordx4 v[7:8], v[3:6], off
                                        ; implicit-def: $vgpr5
                                        ; implicit-def: $vgpr1_vgpr2
                                        ; implicit-def: $vgpr8
                                        ; implicit-def: $vgpr7
                                        ; implicit-def: $vgpr3_vgpr4
                                        ; implicit-def: $vgpr6
                                        ; implicit-def: $vgpr0
.LBB218_23:
	s_andn2_saveexec_b64 s[0:1], s[0:1]
	s_cbranch_execz .LBB218_25
; %bb.24:
	v_lshlrev_b32_e32 v9, 1, v5
	v_ashrrev_i32_e32 v10, 31, v9
	v_lshlrev_b64 v[9:10], 3, v[9:10]
	s_waitcnt lgkmcnt(0)
	v_mov_b32_e32 v5, s3
	v_add_co_u32_e32 v17, vcc, s2, v9
	v_addc_co_u32_e32 v18, vcc, v5, v10, vcc
	global_load_dwordx4 v[9:12], v[17:18], off
	v_mul_f32_e64 v5, v8, -v2
	v_mul_f32_e32 v14, v1, v8
	v_mul_f32_e64 v8, v6, -v2
	v_mul_f32_e32 v16, v1, v6
	v_fmac_f32_e32 v5, v1, v7
	v_fmac_f32_e32 v14, v2, v7
	;; [unrolled: 1-line block ×4, first 2 shown]
	s_waitcnt vmcnt(0)
	v_fmac_f32_e32 v5, v3, v9
	v_fmac_f32_e32 v14, v4, v9
	v_fmac_f32_e32 v8, v3, v11
	v_fmac_f32_e32 v16, v4, v11
	v_fma_f32 v13, -v4, v10, v5
	v_fmac_f32_e32 v14, v3, v10
	v_fma_f32 v15, -v4, v12, v8
	v_fmac_f32_e32 v16, v3, v12
	global_store_dwordx4 v[17:18], v[13:16], off
.LBB218_25:
	s_endpgm
	.section	.rodata,"a",@progbits
	.p2align	6, 0x0
	.amdhsa_kernel _ZN9rocsparseL19gebsrmvn_2xn_kernelILj128ELj15ELj8E21rocsparse_complex_numIfEEEvi20rocsparse_direction_NS_24const_host_device_scalarIT2_EEPKiS8_PKS5_SA_S6_PS5_21rocsparse_index_base_b
		.amdhsa_group_segment_fixed_size 0
		.amdhsa_private_segment_fixed_size 0
		.amdhsa_kernarg_size 72
		.amdhsa_user_sgpr_count 6
		.amdhsa_user_sgpr_private_segment_buffer 1
		.amdhsa_user_sgpr_dispatch_ptr 0
		.amdhsa_user_sgpr_queue_ptr 0
		.amdhsa_user_sgpr_kernarg_segment_ptr 1
		.amdhsa_user_sgpr_dispatch_id 0
		.amdhsa_user_sgpr_flat_scratch_init 0
		.amdhsa_user_sgpr_private_segment_size 0
		.amdhsa_uses_dynamic_stack 0
		.amdhsa_system_sgpr_private_segment_wavefront_offset 0
		.amdhsa_system_sgpr_workgroup_id_x 1
		.amdhsa_system_sgpr_workgroup_id_y 0
		.amdhsa_system_sgpr_workgroup_id_z 0
		.amdhsa_system_sgpr_workgroup_info 0
		.amdhsa_system_vgpr_workitem_id 0
		.amdhsa_next_free_vgpr 66
		.amdhsa_next_free_sgpr 16
		.amdhsa_reserve_vcc 1
		.amdhsa_reserve_flat_scratch 0
		.amdhsa_float_round_mode_32 0
		.amdhsa_float_round_mode_16_64 0
		.amdhsa_float_denorm_mode_32 3
		.amdhsa_float_denorm_mode_16_64 3
		.amdhsa_dx10_clamp 1
		.amdhsa_ieee_mode 1
		.amdhsa_fp16_overflow 0
		.amdhsa_exception_fp_ieee_invalid_op 0
		.amdhsa_exception_fp_denorm_src 0
		.amdhsa_exception_fp_ieee_div_zero 0
		.amdhsa_exception_fp_ieee_overflow 0
		.amdhsa_exception_fp_ieee_underflow 0
		.amdhsa_exception_fp_ieee_inexact 0
		.amdhsa_exception_int_div_zero 0
	.end_amdhsa_kernel
	.section	.text._ZN9rocsparseL19gebsrmvn_2xn_kernelILj128ELj15ELj8E21rocsparse_complex_numIfEEEvi20rocsparse_direction_NS_24const_host_device_scalarIT2_EEPKiS8_PKS5_SA_S6_PS5_21rocsparse_index_base_b,"axG",@progbits,_ZN9rocsparseL19gebsrmvn_2xn_kernelILj128ELj15ELj8E21rocsparse_complex_numIfEEEvi20rocsparse_direction_NS_24const_host_device_scalarIT2_EEPKiS8_PKS5_SA_S6_PS5_21rocsparse_index_base_b,comdat
.Lfunc_end218:
	.size	_ZN9rocsparseL19gebsrmvn_2xn_kernelILj128ELj15ELj8E21rocsparse_complex_numIfEEEvi20rocsparse_direction_NS_24const_host_device_scalarIT2_EEPKiS8_PKS5_SA_S6_PS5_21rocsparse_index_base_b, .Lfunc_end218-_ZN9rocsparseL19gebsrmvn_2xn_kernelILj128ELj15ELj8E21rocsparse_complex_numIfEEEvi20rocsparse_direction_NS_24const_host_device_scalarIT2_EEPKiS8_PKS5_SA_S6_PS5_21rocsparse_index_base_b
                                        ; -- End function
	.set _ZN9rocsparseL19gebsrmvn_2xn_kernelILj128ELj15ELj8E21rocsparse_complex_numIfEEEvi20rocsparse_direction_NS_24const_host_device_scalarIT2_EEPKiS8_PKS5_SA_S6_PS5_21rocsparse_index_base_b.num_vgpr, 66
	.set _ZN9rocsparseL19gebsrmvn_2xn_kernelILj128ELj15ELj8E21rocsparse_complex_numIfEEEvi20rocsparse_direction_NS_24const_host_device_scalarIT2_EEPKiS8_PKS5_SA_S6_PS5_21rocsparse_index_base_b.num_agpr, 0
	.set _ZN9rocsparseL19gebsrmvn_2xn_kernelILj128ELj15ELj8E21rocsparse_complex_numIfEEEvi20rocsparse_direction_NS_24const_host_device_scalarIT2_EEPKiS8_PKS5_SA_S6_PS5_21rocsparse_index_base_b.numbered_sgpr, 16
	.set _ZN9rocsparseL19gebsrmvn_2xn_kernelILj128ELj15ELj8E21rocsparse_complex_numIfEEEvi20rocsparse_direction_NS_24const_host_device_scalarIT2_EEPKiS8_PKS5_SA_S6_PS5_21rocsparse_index_base_b.num_named_barrier, 0
	.set _ZN9rocsparseL19gebsrmvn_2xn_kernelILj128ELj15ELj8E21rocsparse_complex_numIfEEEvi20rocsparse_direction_NS_24const_host_device_scalarIT2_EEPKiS8_PKS5_SA_S6_PS5_21rocsparse_index_base_b.private_seg_size, 0
	.set _ZN9rocsparseL19gebsrmvn_2xn_kernelILj128ELj15ELj8E21rocsparse_complex_numIfEEEvi20rocsparse_direction_NS_24const_host_device_scalarIT2_EEPKiS8_PKS5_SA_S6_PS5_21rocsparse_index_base_b.uses_vcc, 1
	.set _ZN9rocsparseL19gebsrmvn_2xn_kernelILj128ELj15ELj8E21rocsparse_complex_numIfEEEvi20rocsparse_direction_NS_24const_host_device_scalarIT2_EEPKiS8_PKS5_SA_S6_PS5_21rocsparse_index_base_b.uses_flat_scratch, 0
	.set _ZN9rocsparseL19gebsrmvn_2xn_kernelILj128ELj15ELj8E21rocsparse_complex_numIfEEEvi20rocsparse_direction_NS_24const_host_device_scalarIT2_EEPKiS8_PKS5_SA_S6_PS5_21rocsparse_index_base_b.has_dyn_sized_stack, 0
	.set _ZN9rocsparseL19gebsrmvn_2xn_kernelILj128ELj15ELj8E21rocsparse_complex_numIfEEEvi20rocsparse_direction_NS_24const_host_device_scalarIT2_EEPKiS8_PKS5_SA_S6_PS5_21rocsparse_index_base_b.has_recursion, 0
	.set _ZN9rocsparseL19gebsrmvn_2xn_kernelILj128ELj15ELj8E21rocsparse_complex_numIfEEEvi20rocsparse_direction_NS_24const_host_device_scalarIT2_EEPKiS8_PKS5_SA_S6_PS5_21rocsparse_index_base_b.has_indirect_call, 0
	.section	.AMDGPU.csdata,"",@progbits
; Kernel info:
; codeLenInByte = 2288
; TotalNumSgprs: 20
; NumVgprs: 66
; ScratchSize: 0
; MemoryBound: 0
; FloatMode: 240
; IeeeMode: 1
; LDSByteSize: 0 bytes/workgroup (compile time only)
; SGPRBlocks: 2
; VGPRBlocks: 16
; NumSGPRsForWavesPerEU: 20
; NumVGPRsForWavesPerEU: 66
; Occupancy: 3
; WaveLimiterHint : 1
; COMPUTE_PGM_RSRC2:SCRATCH_EN: 0
; COMPUTE_PGM_RSRC2:USER_SGPR: 6
; COMPUTE_PGM_RSRC2:TRAP_HANDLER: 0
; COMPUTE_PGM_RSRC2:TGID_X_EN: 1
; COMPUTE_PGM_RSRC2:TGID_Y_EN: 0
; COMPUTE_PGM_RSRC2:TGID_Z_EN: 0
; COMPUTE_PGM_RSRC2:TIDIG_COMP_CNT: 0
	.section	.text._ZN9rocsparseL19gebsrmvn_2xn_kernelILj128ELj15ELj16E21rocsparse_complex_numIfEEEvi20rocsparse_direction_NS_24const_host_device_scalarIT2_EEPKiS8_PKS5_SA_S6_PS5_21rocsparse_index_base_b,"axG",@progbits,_ZN9rocsparseL19gebsrmvn_2xn_kernelILj128ELj15ELj16E21rocsparse_complex_numIfEEEvi20rocsparse_direction_NS_24const_host_device_scalarIT2_EEPKiS8_PKS5_SA_S6_PS5_21rocsparse_index_base_b,comdat
	.globl	_ZN9rocsparseL19gebsrmvn_2xn_kernelILj128ELj15ELj16E21rocsparse_complex_numIfEEEvi20rocsparse_direction_NS_24const_host_device_scalarIT2_EEPKiS8_PKS5_SA_S6_PS5_21rocsparse_index_base_b ; -- Begin function _ZN9rocsparseL19gebsrmvn_2xn_kernelILj128ELj15ELj16E21rocsparse_complex_numIfEEEvi20rocsparse_direction_NS_24const_host_device_scalarIT2_EEPKiS8_PKS5_SA_S6_PS5_21rocsparse_index_base_b
	.p2align	8
	.type	_ZN9rocsparseL19gebsrmvn_2xn_kernelILj128ELj15ELj16E21rocsparse_complex_numIfEEEvi20rocsparse_direction_NS_24const_host_device_scalarIT2_EEPKiS8_PKS5_SA_S6_PS5_21rocsparse_index_base_b,@function
_ZN9rocsparseL19gebsrmvn_2xn_kernelILj128ELj15ELj16E21rocsparse_complex_numIfEEEvi20rocsparse_direction_NS_24const_host_device_scalarIT2_EEPKiS8_PKS5_SA_S6_PS5_21rocsparse_index_base_b: ; @_ZN9rocsparseL19gebsrmvn_2xn_kernelILj128ELj15ELj16E21rocsparse_complex_numIfEEEvi20rocsparse_direction_NS_24const_host_device_scalarIT2_EEPKiS8_PKS5_SA_S6_PS5_21rocsparse_index_base_b
; %bb.0:
	s_load_dwordx2 s[0:1], s[4:5], 0x8
	s_load_dwordx2 s[8:9], s[4:5], 0x30
	;; [unrolled: 1-line block ×3, first 2 shown]
	s_add_u32 s7, s4, 8
	s_addc_u32 s10, s5, 0
	s_add_u32 s11, s4, 48
	s_addc_u32 s12, s5, 0
	s_waitcnt lgkmcnt(0)
	s_bitcmp1_b32 s3, 0
	s_cselect_b32 s1, s10, s1
	s_cselect_b32 s0, s7, s0
	v_mov_b32_e32 v1, s0
	v_mov_b32_e32 v2, s1
	flat_load_dwordx2 v[1:2], v[1:2]
	s_cselect_b32 s0, s12, s9
	s_cselect_b32 s1, s11, s8
	v_mov_b32_e32 v3, s1
	v_mov_b32_e32 v4, s0
	flat_load_dwordx2 v[3:4], v[3:4]
	s_waitcnt vmcnt(0) lgkmcnt(0)
	v_cmp_eq_f32_e32 vcc, 0, v1
	v_cmp_eq_f32_e64 s[0:1], 0, v2
	s_and_b64 s[10:11], vcc, s[0:1]
	s_mov_b64 s[0:1], -1
	s_and_saveexec_b64 s[8:9], s[10:11]
; %bb.1:
	v_cmp_neq_f32_e32 vcc, 1.0, v3
	v_cmp_neq_f32_e64 s[0:1], 0, v4
	s_or_b64 s[0:1], vcc, s[0:1]
	s_orn2_b64 s[0:1], s[0:1], exec
; %bb.2:
	s_or_b64 exec, exec, s[8:9]
	s_and_saveexec_b64 s[8:9], s[0:1]
	s_cbranch_execz .LBB219_25
; %bb.3:
	s_load_dwordx2 s[0:1], s[4:5], 0x0
	v_lshrrev_b32_e32 v5, 4, v0
	v_lshl_or_b32 v5, s6, 3, v5
	s_waitcnt lgkmcnt(0)
	v_cmp_gt_i32_e32 vcc, s0, v5
	s_and_b64 exec, exec, vcc
	s_cbranch_execz .LBB219_25
; %bb.4:
	s_load_dwordx8 s[8:15], s[4:5], 0x10
	v_ashrrev_i32_e32 v6, 31, v5
	v_lshlrev_b64 v[6:7], 2, v[5:6]
	v_and_b32_e32 v0, 15, v0
	s_cmp_lg_u32 s1, 0
	s_waitcnt lgkmcnt(0)
	v_mov_b32_e32 v8, s9
	v_add_co_u32_e32 v6, vcc, s8, v6
	v_addc_co_u32_e32 v7, vcc, v8, v7, vcc
	global_load_dwordx2 v[7:8], v[6:7], off
	s_waitcnt vmcnt(0)
	v_subrev_u32_e32 v6, s2, v7
	v_subrev_u32_e32 v14, s2, v8
	v_add_u32_e32 v6, v6, v0
	v_cmp_lt_i32_e64 s[0:1], v6, v14
	s_cbranch_scc0 .LBB219_12
; %bb.5:
	v_mov_b32_e32 v15, 0
	v_mov_b32_e32 v18, 0
	;; [unrolled: 1-line block ×4, first 2 shown]
	s_and_saveexec_b64 s[6:7], s[0:1]
	s_cbranch_execz .LBB219_11
; %bb.6:
	v_mad_u64_u32 v[8:9], s[8:9], v6, 30, 8
	v_mov_b32_e32 v10, 0
	s_mov_b64 s[8:9], 0
	v_mov_b32_e32 v19, s11
	v_mov_b32_e32 v20, s13
	;; [unrolled: 1-line block ×8, first 2 shown]
.LBB219_7:                              ; =>This Loop Header: Depth=1
                                        ;     Child Loop BB219_8 Depth 2
	v_ashrrev_i32_e32 v12, 31, v11
	v_lshlrev_b64 v[12:13], 2, v[11:12]
	s_mov_b32 s3, 0
	v_add_co_u32_e32 v12, vcc, s10, v12
	v_addc_co_u32_e32 v13, vcc, v19, v13, vcc
	global_load_dword v9, v[12:13], off
	v_mov_b32_e32 v12, v8
	s_waitcnt vmcnt(0)
	v_subrev_u32_e32 v9, s2, v9
	v_mul_lo_u32 v22, v9, 15
.LBB219_8:                              ;   Parent Loop BB219_7 Depth=1
                                        ; =>  This Inner Loop Header: Depth=2
	v_add_u32_e32 v9, -8, v12
	v_lshlrev_b64 v[32:33], 3, v[9:10]
	v_add_u32_e32 v23, -6, v12
	v_mov_b32_e32 v24, v10
	v_lshlrev_b64 v[34:35], 3, v[23:24]
	v_add_co_u32_e32 v44, vcc, s12, v32
	v_add_u32_e32 v26, -4, v12
	v_mov_b32_e32 v27, v10
	v_addc_co_u32_e32 v45, vcc, v20, v33, vcc
	v_lshlrev_b64 v[36:37], 3, v[26:27]
	v_add_co_u32_e32 v48, vcc, s12, v34
	v_add_u32_e32 v29, -2, v12
	v_mov_b32_e32 v30, v10
	v_addc_co_u32_e32 v49, vcc, v20, v35, vcc
	v_lshlrev_b64 v[38:39], 3, v[29:30]
	v_add_co_u32_e32 v54, vcc, s12, v36
	v_mov_b32_e32 v13, v10
	v_addc_co_u32_e32 v55, vcc, v20, v37, vcc
	v_lshlrev_b64 v[40:41], 3, v[12:13]
	v_add_co_u32_e32 v56, vcc, s12, v38
	v_add_u32_e32 v9, s3, v22
	v_addc_co_u32_e32 v57, vcc, v20, v39, vcc
	v_lshlrev_b64 v[42:43], 3, v[9:10]
	v_add_co_u32_e32 v60, vcc, s12, v40
	v_mov_b32_e32 v25, v10
	v_add_u32_e32 v24, 1, v9
	v_addc_co_u32_e32 v61, vcc, v20, v41, vcc
	v_lshlrev_b64 v[46:47], 3, v[24:25]
	v_add_co_u32_e32 v62, vcc, s14, v42
	v_mov_b32_e32 v28, v10
	v_add_u32_e32 v27, 2, v9
	v_addc_co_u32_e32 v63, vcc, v21, v43, vcc
	v_mov_b32_e32 v31, v10
	v_add_u32_e32 v30, 3, v9
	v_lshlrev_b64 v[50:51], 3, v[27:28]
	v_add_co_u32_e32 v43, vcc, s14, v46
	v_lshlrev_b64 v[52:53], 3, v[30:31]
	global_load_dwordx4 v[23:26], v[44:45], off
	global_load_dwordx4 v[27:30], v[48:49], off
	;; [unrolled: 1-line block ×5, first 2 shown]
	global_load_dwordx2 v[64:65], v[62:63], off
	v_addc_co_u32_e32 v44, vcc, v21, v47, vcc
	v_add_co_u32_e32 v45, vcc, s14, v50
	v_add_u32_e32 v9, 4, v9
	v_addc_co_u32_e32 v46, vcc, v21, v51, vcc
	v_lshlrev_b64 v[58:59], 3, v[9:10]
	v_add_co_u32_e32 v47, vcc, s14, v52
	v_addc_co_u32_e32 v48, vcc, v21, v53, vcc
	v_add_co_u32_e32 v49, vcc, s14, v58
	v_addc_co_u32_e32 v50, vcc, v21, v59, vcc
	global_load_dwordx2 v[51:52], v[43:44], off
	global_load_dwordx2 v[53:54], v[45:46], off
	;; [unrolled: 1-line block ×4, first 2 shown]
	s_add_i32 s3, s3, 5
	v_add_u32_e32 v12, 10, v12
	s_cmp_eq_u32 s3, 15
	s_waitcnt vmcnt(4)
	v_fmac_f32_e32 v18, v23, v64
	v_fmac_f32_e32 v15, v24, v64
	v_fmac_f32_e32 v17, v25, v64
	v_fmac_f32_e32 v16, v26, v64
	v_fma_f32 v9, -v24, v65, v18
	v_fmac_f32_e32 v15, v23, v65
	v_fma_f32 v13, -v26, v65, v17
	v_fmac_f32_e32 v16, v25, v65
	s_waitcnt vmcnt(3)
	v_fmac_f32_e32 v9, v27, v51
	v_fmac_f32_e32 v15, v28, v51
	v_fmac_f32_e32 v13, v29, v51
	v_fmac_f32_e32 v16, v30, v51
	v_fma_f32 v9, -v28, v52, v9
	v_fmac_f32_e32 v15, v27, v52
	v_fma_f32 v13, -v30, v52, v13
	v_fmac_f32_e32 v16, v29, v52
	;; [unrolled: 9-line block ×5, first 2 shown]
	s_cbranch_scc0 .LBB219_8
; %bb.9:                                ;   in Loop: Header=BB219_7 Depth=1
	v_add_u32_e32 v11, 16, v11
	v_cmp_ge_i32_e32 vcc, v11, v14
	s_or_b64 s[8:9], vcc, s[8:9]
	v_add_u32_e32 v8, 0x1e0, v8
	s_andn2_b64 exec, exec, s[8:9]
	s_cbranch_execnz .LBB219_7
; %bb.10:
	s_or_b64 exec, exec, s[8:9]
.LBB219_11:
	s_or_b64 exec, exec, s[6:7]
	s_cbranch_execz .LBB219_13
	s_branch .LBB219_20
.LBB219_12:
                                        ; implicit-def: $vgpr15
                                        ; implicit-def: $vgpr18
                                        ; implicit-def: $vgpr17
                                        ; implicit-def: $vgpr16
.LBB219_13:
	v_mov_b32_e32 v15, 0
	v_mov_b32_e32 v18, 0
	;; [unrolled: 1-line block ×4, first 2 shown]
	s_and_saveexec_b64 s[6:7], s[0:1]
	s_cbranch_execz .LBB219_19
; %bb.14:
	v_mul_lo_u32 v7, v7, 30
	v_mul_lo_u32 v9, v6, 30
	s_mul_i32 s0, s2, 30
	v_mov_b32_e32 v8, 0
	v_mad_u32_u24 v7, v0, 30, v7
	v_subrev_u32_e32 v10, s0, v7
	s_mov_b64 s[0:1], 0
	v_mov_b32_e32 v11, s11
	v_mov_b32_e32 v12, s13
	;; [unrolled: 1-line block ×7, first 2 shown]
.LBB219_15:                             ; =>This Loop Header: Depth=1
                                        ;     Child Loop BB219_16 Depth 2
	v_ashrrev_i32_e32 v7, 31, v6
	v_lshlrev_b64 v[19:20], 2, v[6:7]
	s_mov_b32 s3, 0
	v_add_co_u32_e32 v19, vcc, s10, v19
	v_addc_co_u32_e32 v20, vcc, v11, v20, vcc
	global_load_dword v7, v[19:20], off
	s_waitcnt vmcnt(0)
	v_subrev_u32_e32 v7, s2, v7
	v_mul_lo_u32 v19, v7, 15
.LBB219_16:                             ;   Parent Loop BB219_15 Depth=1
                                        ; =>  This Inner Loop Header: Depth=2
	v_add_u32_e32 v7, s3, v10
	v_lshlrev_b64 v[35:36], 3, v[7:8]
	v_add_u32_e32 v7, s3, v19
	v_add_u32_e32 v49, s3, v9
	v_lshlrev_b64 v[37:38], 3, v[7:8]
	v_add_co_u32_e32 v35, vcc, s12, v35
	v_mov_b32_e32 v21, v8
	v_add_u32_e32 v20, 15, v49
	v_addc_co_u32_e32 v36, vcc, v12, v36, vcc
	v_lshlrev_b64 v[20:21], 3, v[20:21]
	v_add_co_u32_e32 v37, vcc, s14, v37
	v_mov_b32_e32 v23, v8
	v_add_u32_e32 v22, 1, v49
	v_addc_co_u32_e32 v38, vcc, v13, v38, vcc
	v_lshlrev_b64 v[22:23], 3, v[22:23]
	v_add_co_u32_e32 v20, vcc, s12, v20
	v_addc_co_u32_e32 v21, vcc, v12, v21, vcc
	v_add_co_u32_e32 v39, vcc, s12, v22
	v_addc_co_u32_e32 v40, vcc, v12, v23, vcc
	global_load_dwordx2 v[22:23], v[35:36], off
	global_load_dwordx2 v[43:44], v[37:38], off
	v_mov_b32_e32 v31, v8
	v_mov_b32_e32 v34, v8
	v_add_u32_e32 v30, 3, v49
	v_add_u32_e32 v33, 18, v49
	v_mov_b32_e32 v32, v8
	v_mov_b32_e32 v35, v8
	v_lshlrev_b64 v[36:37], 3, v[30:31]
	v_add_u32_e32 v31, 2, v7
	v_lshlrev_b64 v[45:46], 3, v[33:34]
	v_add_u32_e32 v34, 3, v7
	v_lshlrev_b64 v[30:31], 3, v[31:32]
	v_lshlrev_b64 v[32:33], 3, v[34:35]
	global_load_dwordx2 v[34:35], v[20:21], off
	global_load_dwordx2 v[47:48], v[39:40], off
	v_mov_b32_e32 v24, v8
	v_mov_b32_e32 v26, v8
	v_add_u32_e32 v25, 2, v49
	v_mov_b32_e32 v29, v8
	v_add_u32_e32 v28, 17, v49
	v_lshlrev_b64 v[28:29], 3, v[28:29]
	v_mov_b32_e32 v42, v8
	v_add_u32_e32 v41, 4, v49
	v_lshlrev_b64 v[41:42], 3, v[41:42]
	v_mov_b32_e32 v27, v8
	s_add_i32 s3, s3, 5
	s_cmp_eq_u32 s3, 15
	s_waitcnt vmcnt(2)
	v_fmac_f32_e32 v18, v22, v43
	v_fmac_f32_e32 v15, v23, v43
	v_fma_f32 v63, -v23, v44, v18
	v_add_u32_e32 v23, 16, v49
	v_fmac_f32_e32 v15, v22, v44
	v_lshlrev_b64 v[22:23], 3, v[23:24]
	v_lshlrev_b64 v[24:25], 3, v[25:26]
	v_add_co_u32_e32 v20, vcc, s12, v22
	v_addc_co_u32_e32 v21, vcc, v12, v23, vcc
	v_add_co_u32_e32 v22, vcc, s12, v24
	v_addc_co_u32_e32 v23, vcc, v12, v25, vcc
	;; [unrolled: 2-line block ×3, first 2 shown]
	v_add_co_u32_e32 v28, vcc, s12, v36
	s_waitcnt vmcnt(1)
	v_fmac_f32_e32 v16, v35, v43
	v_addc_co_u32_e32 v29, vcc, v12, v37, vcc
	v_fmac_f32_e32 v17, v34, v43
	v_fmac_f32_e32 v16, v34, v44
	v_add_co_u32_e32 v34, vcc, s12, v45
	v_add_u32_e32 v26, 1, v7
	v_fma_f32 v64, -v35, v44, v17
	v_addc_co_u32_e32 v35, vcc, v12, v46, vcc
	v_lshlrev_b64 v[26:27], 3, v[26:27]
	v_add_co_u32_e32 v36, vcc, s12, v41
	v_addc_co_u32_e32 v37, vcc, v12, v42, vcc
	v_add_co_u32_e32 v26, vcc, s14, v26
	v_addc_co_u32_e32 v27, vcc, v13, v27, vcc
	v_add_co_u32_e32 v30, vcc, s14, v30
	v_add_u32_e32 v7, 4, v7
	v_addc_co_u32_e32 v31, vcc, v13, v31, vcc
	v_lshlrev_b64 v[17:18], 3, v[7:8]
	v_add_co_u32_e32 v32, vcc, s14, v32
	v_add_u32_e32 v7, 19, v49
	v_addc_co_u32_e32 v33, vcc, v13, v33, vcc
	v_add_co_u32_e32 v17, vcc, s14, v17
	v_lshlrev_b64 v[38:39], 3, v[7:8]
	v_addc_co_u32_e32 v18, vcc, v13, v18, vcc
	v_add_co_u32_e32 v38, vcc, s12, v38
	v_addc_co_u32_e32 v39, vcc, v12, v39, vcc
	global_load_dwordx2 v[40:41], v[20:21], off
	global_load_dwordx2 v[42:43], v[22:23], off
	;; [unrolled: 1-line block ×10, first 2 shown]
                                        ; kill: killed $vgpr30 killed $vgpr31
                                        ; kill: killed $vgpr20 killed $vgpr21
                                        ; kill: killed $vgpr17 killed $vgpr18
                                        ; kill: killed $vgpr34 killed $vgpr35
                                        ; kill: killed $vgpr24 killed $vgpr25
                                        ; kill: killed $vgpr28 killed $vgpr29
                                        ; kill: killed $vgpr22 killed $vgpr23
                                        ; kill: killed $vgpr26 killed $vgpr27
                                        ; kill: killed $vgpr36 killed $vgpr37
                                        ; kill: killed $vgpr32 killed $vgpr33
	global_load_dwordx2 v[20:21], v[38:39], off
	s_waitcnt vmcnt(4)
	v_fmac_f32_e32 v63, v47, v55
	v_fmac_f32_e32 v15, v48, v55
	v_fmac_f32_e32 v64, v40, v55
	v_fmac_f32_e32 v16, v41, v55
	v_fma_f32 v7, -v48, v56, v63
	v_fmac_f32_e32 v15, v47, v56
	v_fma_f32 v17, -v41, v56, v64
	v_fmac_f32_e32 v16, v40, v56
	s_waitcnt vmcnt(3)
	v_fmac_f32_e32 v7, v42, v57
	v_fmac_f32_e32 v15, v43, v57
	v_fmac_f32_e32 v17, v44, v57
	v_fmac_f32_e32 v16, v45, v57
	v_fma_f32 v7, -v43, v58, v7
	v_fmac_f32_e32 v15, v42, v58
	v_fma_f32 v17, -v45, v58, v17
	v_fmac_f32_e32 v16, v44, v58
	;; [unrolled: 9-line block ×3, first 2 shown]
	s_waitcnt vmcnt(1)
	v_fmac_f32_e32 v7, v53, v61
	v_fmac_f32_e32 v15, v54, v61
	s_waitcnt vmcnt(0)
	v_fmac_f32_e32 v17, v20, v61
	v_fmac_f32_e32 v16, v21, v61
	v_fma_f32 v18, -v54, v62, v7
	v_fmac_f32_e32 v15, v53, v62
	v_fma_f32 v17, -v21, v62, v17
	v_fmac_f32_e32 v16, v20, v62
	s_cbranch_scc0 .LBB219_16
; %bb.17:                               ;   in Loop: Header=BB219_15 Depth=1
	v_add_u32_e32 v6, 16, v6
	v_cmp_ge_i32_e32 vcc, v6, v14
	v_add_u32_e32 v9, 0x1e0, v9
	s_or_b64 s[0:1], vcc, s[0:1]
	v_add_u32_e32 v10, 0x1e0, v10
	s_andn2_b64 exec, exec, s[0:1]
	s_cbranch_execnz .LBB219_15
; %bb.18:
	s_or_b64 exec, exec, s[0:1]
.LBB219_19:
	s_or_b64 exec, exec, s[6:7]
.LBB219_20:
	v_mov_b32_dpp v6, v18 row_shr:1 row_mask:0xf bank_mask:0xf
	v_mov_b32_dpp v8, v15 row_shr:1 row_mask:0xf bank_mask:0xf
	v_mov_b32_dpp v10, v17 row_shr:1 row_mask:0xf bank_mask:0xf
	v_mov_b32_dpp v12, v16 row_shr:1 row_mask:0xf bank_mask:0xf
	v_add_f32_e32 v6, v18, v6
	v_add_f32_e32 v8, v15, v8
	v_add_f32_e32 v10, v17, v10
	v_add_f32_e32 v12, v16, v12
	v_mov_b32_dpp v7, v6 row_shr:2 row_mask:0xf bank_mask:0xf
	v_mov_b32_dpp v9, v8 row_shr:2 row_mask:0xf bank_mask:0xf
	v_mov_b32_dpp v11, v10 row_shr:2 row_mask:0xf bank_mask:0xf
	v_mov_b32_dpp v13, v12 row_shr:2 row_mask:0xf bank_mask:0xf
	v_add_f32_e32 v6, v6, v7
	v_add_f32_e32 v8, v8, v9
	v_add_f32_e32 v10, v10, v11
	v_add_f32_e32 v12, v12, v13
	;; [unrolled: 8-line block ×3, first 2 shown]
	v_mov_b32_dpp v7, v6 row_shr:8 row_mask:0xf bank_mask:0xc
	v_mov_b32_dpp v9, v8 row_shr:8 row_mask:0xf bank_mask:0xc
	;; [unrolled: 1-line block ×4, first 2 shown]
	v_cmp_eq_u32_e32 vcc, 15, v0
	s_and_b64 exec, exec, vcc
	s_cbranch_execz .LBB219_25
; %bb.21:
	s_load_dwordx2 s[2:3], s[4:5], 0x38
	v_cmp_eq_f32_e32 vcc, 0, v3
	v_cmp_eq_f32_e64 s[0:1], 0, v4
	v_add_f32_e32 v7, v6, v7
	v_add_f32_e32 v8, v8, v9
	;; [unrolled: 1-line block ×4, first 2 shown]
	s_and_b64 s[0:1], vcc, s[0:1]
	s_and_saveexec_b64 s[4:5], s[0:1]
	s_xor_b64 s[0:1], exec, s[4:5]
	s_cbranch_execz .LBB219_23
; %bb.22:
	v_mul_f32_e64 v3, v8, -v2
	v_mul_f32_e32 v4, v1, v8
	v_fmac_f32_e32 v3, v1, v7
	v_fmac_f32_e32 v4, v2, v7
	v_lshlrev_b32_e32 v7, 1, v5
	v_ashrrev_i32_e32 v8, 31, v7
	v_lshlrev_b64 v[7:8], 3, v[7:8]
	s_waitcnt lgkmcnt(0)
	v_mov_b32_e32 v5, s3
	v_add_co_u32_e32 v7, vcc, s2, v7
	v_addc_co_u32_e32 v8, vcc, v5, v8, vcc
	v_mul_f32_e64 v5, v6, -v2
	v_mul_f32_e32 v6, v1, v6
	v_fmac_f32_e32 v5, v1, v0
	v_fmac_f32_e32 v6, v2, v0
	global_store_dwordx4 v[7:8], v[3:6], off
                                        ; implicit-def: $vgpr5
                                        ; implicit-def: $vgpr1_vgpr2
                                        ; implicit-def: $vgpr8
                                        ; implicit-def: $vgpr7
                                        ; implicit-def: $vgpr3_vgpr4
                                        ; implicit-def: $vgpr6
                                        ; implicit-def: $vgpr0
.LBB219_23:
	s_andn2_saveexec_b64 s[0:1], s[0:1]
	s_cbranch_execz .LBB219_25
; %bb.24:
	v_lshlrev_b32_e32 v9, 1, v5
	v_ashrrev_i32_e32 v10, 31, v9
	v_lshlrev_b64 v[9:10], 3, v[9:10]
	s_waitcnt lgkmcnt(0)
	v_mov_b32_e32 v5, s3
	v_add_co_u32_e32 v17, vcc, s2, v9
	v_addc_co_u32_e32 v18, vcc, v5, v10, vcc
	global_load_dwordx4 v[9:12], v[17:18], off
	v_mul_f32_e64 v5, v8, -v2
	v_mul_f32_e32 v14, v1, v8
	v_mul_f32_e64 v8, v6, -v2
	v_mul_f32_e32 v16, v1, v6
	v_fmac_f32_e32 v5, v1, v7
	v_fmac_f32_e32 v14, v2, v7
	;; [unrolled: 1-line block ×4, first 2 shown]
	s_waitcnt vmcnt(0)
	v_fmac_f32_e32 v5, v3, v9
	v_fmac_f32_e32 v14, v4, v9
	;; [unrolled: 1-line block ×4, first 2 shown]
	v_fma_f32 v13, -v4, v10, v5
	v_fmac_f32_e32 v14, v3, v10
	v_fma_f32 v15, -v4, v12, v8
	v_fmac_f32_e32 v16, v3, v12
	global_store_dwordx4 v[17:18], v[13:16], off
.LBB219_25:
	s_endpgm
	.section	.rodata,"a",@progbits
	.p2align	6, 0x0
	.amdhsa_kernel _ZN9rocsparseL19gebsrmvn_2xn_kernelILj128ELj15ELj16E21rocsparse_complex_numIfEEEvi20rocsparse_direction_NS_24const_host_device_scalarIT2_EEPKiS8_PKS5_SA_S6_PS5_21rocsparse_index_base_b
		.amdhsa_group_segment_fixed_size 0
		.amdhsa_private_segment_fixed_size 0
		.amdhsa_kernarg_size 72
		.amdhsa_user_sgpr_count 6
		.amdhsa_user_sgpr_private_segment_buffer 1
		.amdhsa_user_sgpr_dispatch_ptr 0
		.amdhsa_user_sgpr_queue_ptr 0
		.amdhsa_user_sgpr_kernarg_segment_ptr 1
		.amdhsa_user_sgpr_dispatch_id 0
		.amdhsa_user_sgpr_flat_scratch_init 0
		.amdhsa_user_sgpr_private_segment_size 0
		.amdhsa_uses_dynamic_stack 0
		.amdhsa_system_sgpr_private_segment_wavefront_offset 0
		.amdhsa_system_sgpr_workgroup_id_x 1
		.amdhsa_system_sgpr_workgroup_id_y 0
		.amdhsa_system_sgpr_workgroup_id_z 0
		.amdhsa_system_sgpr_workgroup_info 0
		.amdhsa_system_vgpr_workitem_id 0
		.amdhsa_next_free_vgpr 66
		.amdhsa_next_free_sgpr 16
		.amdhsa_reserve_vcc 1
		.amdhsa_reserve_flat_scratch 0
		.amdhsa_float_round_mode_32 0
		.amdhsa_float_round_mode_16_64 0
		.amdhsa_float_denorm_mode_32 3
		.amdhsa_float_denorm_mode_16_64 3
		.amdhsa_dx10_clamp 1
		.amdhsa_ieee_mode 1
		.amdhsa_fp16_overflow 0
		.amdhsa_exception_fp_ieee_invalid_op 0
		.amdhsa_exception_fp_denorm_src 0
		.amdhsa_exception_fp_ieee_div_zero 0
		.amdhsa_exception_fp_ieee_overflow 0
		.amdhsa_exception_fp_ieee_underflow 0
		.amdhsa_exception_fp_ieee_inexact 0
		.amdhsa_exception_int_div_zero 0
	.end_amdhsa_kernel
	.section	.text._ZN9rocsparseL19gebsrmvn_2xn_kernelILj128ELj15ELj16E21rocsparse_complex_numIfEEEvi20rocsparse_direction_NS_24const_host_device_scalarIT2_EEPKiS8_PKS5_SA_S6_PS5_21rocsparse_index_base_b,"axG",@progbits,_ZN9rocsparseL19gebsrmvn_2xn_kernelILj128ELj15ELj16E21rocsparse_complex_numIfEEEvi20rocsparse_direction_NS_24const_host_device_scalarIT2_EEPKiS8_PKS5_SA_S6_PS5_21rocsparse_index_base_b,comdat
.Lfunc_end219:
	.size	_ZN9rocsparseL19gebsrmvn_2xn_kernelILj128ELj15ELj16E21rocsparse_complex_numIfEEEvi20rocsparse_direction_NS_24const_host_device_scalarIT2_EEPKiS8_PKS5_SA_S6_PS5_21rocsparse_index_base_b, .Lfunc_end219-_ZN9rocsparseL19gebsrmvn_2xn_kernelILj128ELj15ELj16E21rocsparse_complex_numIfEEEvi20rocsparse_direction_NS_24const_host_device_scalarIT2_EEPKiS8_PKS5_SA_S6_PS5_21rocsparse_index_base_b
                                        ; -- End function
	.set _ZN9rocsparseL19gebsrmvn_2xn_kernelILj128ELj15ELj16E21rocsparse_complex_numIfEEEvi20rocsparse_direction_NS_24const_host_device_scalarIT2_EEPKiS8_PKS5_SA_S6_PS5_21rocsparse_index_base_b.num_vgpr, 66
	.set _ZN9rocsparseL19gebsrmvn_2xn_kernelILj128ELj15ELj16E21rocsparse_complex_numIfEEEvi20rocsparse_direction_NS_24const_host_device_scalarIT2_EEPKiS8_PKS5_SA_S6_PS5_21rocsparse_index_base_b.num_agpr, 0
	.set _ZN9rocsparseL19gebsrmvn_2xn_kernelILj128ELj15ELj16E21rocsparse_complex_numIfEEEvi20rocsparse_direction_NS_24const_host_device_scalarIT2_EEPKiS8_PKS5_SA_S6_PS5_21rocsparse_index_base_b.numbered_sgpr, 16
	.set _ZN9rocsparseL19gebsrmvn_2xn_kernelILj128ELj15ELj16E21rocsparse_complex_numIfEEEvi20rocsparse_direction_NS_24const_host_device_scalarIT2_EEPKiS8_PKS5_SA_S6_PS5_21rocsparse_index_base_b.num_named_barrier, 0
	.set _ZN9rocsparseL19gebsrmvn_2xn_kernelILj128ELj15ELj16E21rocsparse_complex_numIfEEEvi20rocsparse_direction_NS_24const_host_device_scalarIT2_EEPKiS8_PKS5_SA_S6_PS5_21rocsparse_index_base_b.private_seg_size, 0
	.set _ZN9rocsparseL19gebsrmvn_2xn_kernelILj128ELj15ELj16E21rocsparse_complex_numIfEEEvi20rocsparse_direction_NS_24const_host_device_scalarIT2_EEPKiS8_PKS5_SA_S6_PS5_21rocsparse_index_base_b.uses_vcc, 1
	.set _ZN9rocsparseL19gebsrmvn_2xn_kernelILj128ELj15ELj16E21rocsparse_complex_numIfEEEvi20rocsparse_direction_NS_24const_host_device_scalarIT2_EEPKiS8_PKS5_SA_S6_PS5_21rocsparse_index_base_b.uses_flat_scratch, 0
	.set _ZN9rocsparseL19gebsrmvn_2xn_kernelILj128ELj15ELj16E21rocsparse_complex_numIfEEEvi20rocsparse_direction_NS_24const_host_device_scalarIT2_EEPKiS8_PKS5_SA_S6_PS5_21rocsparse_index_base_b.has_dyn_sized_stack, 0
	.set _ZN9rocsparseL19gebsrmvn_2xn_kernelILj128ELj15ELj16E21rocsparse_complex_numIfEEEvi20rocsparse_direction_NS_24const_host_device_scalarIT2_EEPKiS8_PKS5_SA_S6_PS5_21rocsparse_index_base_b.has_recursion, 0
	.set _ZN9rocsparseL19gebsrmvn_2xn_kernelILj128ELj15ELj16E21rocsparse_complex_numIfEEEvi20rocsparse_direction_NS_24const_host_device_scalarIT2_EEPKiS8_PKS5_SA_S6_PS5_21rocsparse_index_base_b.has_indirect_call, 0
	.section	.AMDGPU.csdata,"",@progbits
; Kernel info:
; codeLenInByte = 2336
; TotalNumSgprs: 20
; NumVgprs: 66
; ScratchSize: 0
; MemoryBound: 0
; FloatMode: 240
; IeeeMode: 1
; LDSByteSize: 0 bytes/workgroup (compile time only)
; SGPRBlocks: 2
; VGPRBlocks: 16
; NumSGPRsForWavesPerEU: 20
; NumVGPRsForWavesPerEU: 66
; Occupancy: 3
; WaveLimiterHint : 1
; COMPUTE_PGM_RSRC2:SCRATCH_EN: 0
; COMPUTE_PGM_RSRC2:USER_SGPR: 6
; COMPUTE_PGM_RSRC2:TRAP_HANDLER: 0
; COMPUTE_PGM_RSRC2:TGID_X_EN: 1
; COMPUTE_PGM_RSRC2:TGID_Y_EN: 0
; COMPUTE_PGM_RSRC2:TGID_Z_EN: 0
; COMPUTE_PGM_RSRC2:TIDIG_COMP_CNT: 0
	.section	.text._ZN9rocsparseL19gebsrmvn_2xn_kernelILj128ELj15ELj32E21rocsparse_complex_numIfEEEvi20rocsparse_direction_NS_24const_host_device_scalarIT2_EEPKiS8_PKS5_SA_S6_PS5_21rocsparse_index_base_b,"axG",@progbits,_ZN9rocsparseL19gebsrmvn_2xn_kernelILj128ELj15ELj32E21rocsparse_complex_numIfEEEvi20rocsparse_direction_NS_24const_host_device_scalarIT2_EEPKiS8_PKS5_SA_S6_PS5_21rocsparse_index_base_b,comdat
	.globl	_ZN9rocsparseL19gebsrmvn_2xn_kernelILj128ELj15ELj32E21rocsparse_complex_numIfEEEvi20rocsparse_direction_NS_24const_host_device_scalarIT2_EEPKiS8_PKS5_SA_S6_PS5_21rocsparse_index_base_b ; -- Begin function _ZN9rocsparseL19gebsrmvn_2xn_kernelILj128ELj15ELj32E21rocsparse_complex_numIfEEEvi20rocsparse_direction_NS_24const_host_device_scalarIT2_EEPKiS8_PKS5_SA_S6_PS5_21rocsparse_index_base_b
	.p2align	8
	.type	_ZN9rocsparseL19gebsrmvn_2xn_kernelILj128ELj15ELj32E21rocsparse_complex_numIfEEEvi20rocsparse_direction_NS_24const_host_device_scalarIT2_EEPKiS8_PKS5_SA_S6_PS5_21rocsparse_index_base_b,@function
_ZN9rocsparseL19gebsrmvn_2xn_kernelILj128ELj15ELj32E21rocsparse_complex_numIfEEEvi20rocsparse_direction_NS_24const_host_device_scalarIT2_EEPKiS8_PKS5_SA_S6_PS5_21rocsparse_index_base_b: ; @_ZN9rocsparseL19gebsrmvn_2xn_kernelILj128ELj15ELj32E21rocsparse_complex_numIfEEEvi20rocsparse_direction_NS_24const_host_device_scalarIT2_EEPKiS8_PKS5_SA_S6_PS5_21rocsparse_index_base_b
; %bb.0:
	s_load_dwordx2 s[0:1], s[4:5], 0x8
	s_load_dwordx2 s[8:9], s[4:5], 0x30
	;; [unrolled: 1-line block ×3, first 2 shown]
	s_add_u32 s7, s4, 8
	s_addc_u32 s10, s5, 0
	s_add_u32 s11, s4, 48
	s_addc_u32 s12, s5, 0
	s_waitcnt lgkmcnt(0)
	s_bitcmp1_b32 s3, 0
	s_cselect_b32 s1, s10, s1
	s_cselect_b32 s0, s7, s0
	v_mov_b32_e32 v1, s0
	v_mov_b32_e32 v2, s1
	flat_load_dwordx2 v[1:2], v[1:2]
	s_cselect_b32 s0, s12, s9
	s_cselect_b32 s1, s11, s8
	v_mov_b32_e32 v3, s1
	v_mov_b32_e32 v4, s0
	flat_load_dwordx2 v[3:4], v[3:4]
	s_waitcnt vmcnt(0) lgkmcnt(0)
	v_cmp_eq_f32_e32 vcc, 0, v1
	v_cmp_eq_f32_e64 s[0:1], 0, v2
	s_and_b64 s[10:11], vcc, s[0:1]
	s_mov_b64 s[0:1], -1
	s_and_saveexec_b64 s[8:9], s[10:11]
; %bb.1:
	v_cmp_neq_f32_e32 vcc, 1.0, v3
	v_cmp_neq_f32_e64 s[0:1], 0, v4
	s_or_b64 s[0:1], vcc, s[0:1]
	s_orn2_b64 s[0:1], s[0:1], exec
; %bb.2:
	s_or_b64 exec, exec, s[8:9]
	s_and_saveexec_b64 s[8:9], s[0:1]
	s_cbranch_execz .LBB220_25
; %bb.3:
	s_load_dwordx2 s[0:1], s[4:5], 0x0
	v_lshrrev_b32_e32 v5, 5, v0
	v_lshl_or_b32 v5, s6, 2, v5
	s_waitcnt lgkmcnt(0)
	v_cmp_gt_i32_e32 vcc, s0, v5
	s_and_b64 exec, exec, vcc
	s_cbranch_execz .LBB220_25
; %bb.4:
	s_load_dwordx8 s[8:15], s[4:5], 0x10
	v_ashrrev_i32_e32 v6, 31, v5
	v_lshlrev_b64 v[6:7], 2, v[5:6]
	v_and_b32_e32 v0, 31, v0
	s_cmp_lg_u32 s1, 0
	s_waitcnt lgkmcnt(0)
	v_mov_b32_e32 v8, s9
	v_add_co_u32_e32 v6, vcc, s8, v6
	v_addc_co_u32_e32 v7, vcc, v8, v7, vcc
	global_load_dwordx2 v[7:8], v[6:7], off
	s_waitcnt vmcnt(0)
	v_subrev_u32_e32 v6, s2, v7
	v_subrev_u32_e32 v14, s2, v8
	v_add_u32_e32 v6, v6, v0
	v_cmp_lt_i32_e64 s[0:1], v6, v14
	s_cbranch_scc0 .LBB220_12
; %bb.5:
	v_mov_b32_e32 v16, 0
	v_mov_b32_e32 v18, 0
	;; [unrolled: 1-line block ×4, first 2 shown]
	s_and_saveexec_b64 s[6:7], s[0:1]
	s_cbranch_execz .LBB220_11
; %bb.6:
	v_mad_u64_u32 v[8:9], s[8:9], v6, 30, 8
	v_mov_b32_e32 v10, 0
	s_mov_b64 s[8:9], 0
	v_mov_b32_e32 v19, s11
	v_mov_b32_e32 v20, s13
	;; [unrolled: 1-line block ×8, first 2 shown]
.LBB220_7:                              ; =>This Loop Header: Depth=1
                                        ;     Child Loop BB220_8 Depth 2
	v_ashrrev_i32_e32 v12, 31, v11
	v_lshlrev_b64 v[12:13], 2, v[11:12]
	s_mov_b32 s3, 0
	v_add_co_u32_e32 v12, vcc, s10, v12
	v_addc_co_u32_e32 v13, vcc, v19, v13, vcc
	global_load_dword v9, v[12:13], off
	v_mov_b32_e32 v12, v8
	s_waitcnt vmcnt(0)
	v_subrev_u32_e32 v9, s2, v9
	v_mul_lo_u32 v22, v9, 15
.LBB220_8:                              ;   Parent Loop BB220_7 Depth=1
                                        ; =>  This Inner Loop Header: Depth=2
	v_add_u32_e32 v9, -8, v12
	v_lshlrev_b64 v[32:33], 3, v[9:10]
	v_add_u32_e32 v23, -6, v12
	v_mov_b32_e32 v24, v10
	v_lshlrev_b64 v[34:35], 3, v[23:24]
	v_add_co_u32_e32 v44, vcc, s12, v32
	v_add_u32_e32 v26, -4, v12
	v_mov_b32_e32 v27, v10
	v_addc_co_u32_e32 v45, vcc, v20, v33, vcc
	v_lshlrev_b64 v[36:37], 3, v[26:27]
	v_add_co_u32_e32 v48, vcc, s12, v34
	v_add_u32_e32 v29, -2, v12
	v_mov_b32_e32 v30, v10
	v_addc_co_u32_e32 v49, vcc, v20, v35, vcc
	v_lshlrev_b64 v[38:39], 3, v[29:30]
	v_add_co_u32_e32 v54, vcc, s12, v36
	v_mov_b32_e32 v13, v10
	v_addc_co_u32_e32 v55, vcc, v20, v37, vcc
	v_lshlrev_b64 v[40:41], 3, v[12:13]
	v_add_co_u32_e32 v56, vcc, s12, v38
	v_add_u32_e32 v9, s3, v22
	v_addc_co_u32_e32 v57, vcc, v20, v39, vcc
	v_lshlrev_b64 v[42:43], 3, v[9:10]
	v_add_co_u32_e32 v60, vcc, s12, v40
	v_mov_b32_e32 v25, v10
	v_add_u32_e32 v24, 1, v9
	v_addc_co_u32_e32 v61, vcc, v20, v41, vcc
	v_lshlrev_b64 v[46:47], 3, v[24:25]
	v_add_co_u32_e32 v62, vcc, s14, v42
	v_mov_b32_e32 v28, v10
	v_add_u32_e32 v27, 2, v9
	v_addc_co_u32_e32 v63, vcc, v21, v43, vcc
	v_mov_b32_e32 v31, v10
	v_add_u32_e32 v30, 3, v9
	v_lshlrev_b64 v[50:51], 3, v[27:28]
	v_add_co_u32_e32 v43, vcc, s14, v46
	v_lshlrev_b64 v[52:53], 3, v[30:31]
	global_load_dwordx4 v[23:26], v[44:45], off
	global_load_dwordx4 v[27:30], v[48:49], off
	;; [unrolled: 1-line block ×5, first 2 shown]
	global_load_dwordx2 v[64:65], v[62:63], off
	v_addc_co_u32_e32 v44, vcc, v21, v47, vcc
	v_add_co_u32_e32 v45, vcc, s14, v50
	v_add_u32_e32 v9, 4, v9
	v_addc_co_u32_e32 v46, vcc, v21, v51, vcc
	v_lshlrev_b64 v[58:59], 3, v[9:10]
	v_add_co_u32_e32 v47, vcc, s14, v52
	v_addc_co_u32_e32 v48, vcc, v21, v53, vcc
	v_add_co_u32_e32 v49, vcc, s14, v58
	v_addc_co_u32_e32 v50, vcc, v21, v59, vcc
	global_load_dwordx2 v[51:52], v[43:44], off
	global_load_dwordx2 v[53:54], v[45:46], off
	;; [unrolled: 1-line block ×4, first 2 shown]
	s_add_i32 s3, s3, 5
	v_add_u32_e32 v12, 10, v12
	s_cmp_eq_u32 s3, 15
	s_waitcnt vmcnt(4)
	v_fmac_f32_e32 v18, v23, v64
	v_fmac_f32_e32 v16, v24, v64
	v_fmac_f32_e32 v17, v25, v64
	v_fmac_f32_e32 v15, v26, v64
	v_fma_f32 v9, -v24, v65, v18
	v_fmac_f32_e32 v16, v23, v65
	v_fma_f32 v13, -v26, v65, v17
	v_fmac_f32_e32 v15, v25, v65
	s_waitcnt vmcnt(3)
	v_fmac_f32_e32 v9, v27, v51
	v_fmac_f32_e32 v16, v28, v51
	v_fmac_f32_e32 v13, v29, v51
	v_fmac_f32_e32 v15, v30, v51
	v_fma_f32 v9, -v28, v52, v9
	v_fmac_f32_e32 v16, v27, v52
	v_fma_f32 v13, -v30, v52, v13
	v_fmac_f32_e32 v15, v29, v52
	;; [unrolled: 9-line block ×5, first 2 shown]
	s_cbranch_scc0 .LBB220_8
; %bb.9:                                ;   in Loop: Header=BB220_7 Depth=1
	v_add_u32_e32 v11, 32, v11
	v_cmp_ge_i32_e32 vcc, v11, v14
	s_or_b64 s[8:9], vcc, s[8:9]
	v_add_u32_e32 v8, 0x3c0, v8
	s_andn2_b64 exec, exec, s[8:9]
	s_cbranch_execnz .LBB220_7
; %bb.10:
	s_or_b64 exec, exec, s[8:9]
.LBB220_11:
	s_or_b64 exec, exec, s[6:7]
	s_cbranch_execz .LBB220_13
	s_branch .LBB220_20
.LBB220_12:
                                        ; implicit-def: $vgpr16
                                        ; implicit-def: $vgpr18
                                        ; implicit-def: $vgpr17
                                        ; implicit-def: $vgpr15
.LBB220_13:
	v_mov_b32_e32 v16, 0
	v_mov_b32_e32 v18, 0
	;; [unrolled: 1-line block ×4, first 2 shown]
	s_and_saveexec_b64 s[6:7], s[0:1]
	s_cbranch_execz .LBB220_19
; %bb.14:
	v_mul_lo_u32 v7, v7, 30
	v_mul_lo_u32 v9, v6, 30
	s_mul_i32 s0, s2, 30
	v_mov_b32_e32 v8, 0
	v_mad_u32_u24 v7, v0, 30, v7
	v_subrev_u32_e32 v10, s0, v7
	s_mov_b64 s[0:1], 0
	v_mov_b32_e32 v11, s11
	v_mov_b32_e32 v12, s13
	v_mov_b32_e32 v13, s15
	v_mov_b32_e32 v16, 0
	v_mov_b32_e32 v18, 0
	v_mov_b32_e32 v17, 0
	v_mov_b32_e32 v15, 0
.LBB220_15:                             ; =>This Loop Header: Depth=1
                                        ;     Child Loop BB220_16 Depth 2
	v_ashrrev_i32_e32 v7, 31, v6
	v_lshlrev_b64 v[19:20], 2, v[6:7]
	s_mov_b32 s3, 0
	v_add_co_u32_e32 v19, vcc, s10, v19
	v_addc_co_u32_e32 v20, vcc, v11, v20, vcc
	global_load_dword v7, v[19:20], off
	s_waitcnt vmcnt(0)
	v_subrev_u32_e32 v7, s2, v7
	v_mul_lo_u32 v19, v7, 15
.LBB220_16:                             ;   Parent Loop BB220_15 Depth=1
                                        ; =>  This Inner Loop Header: Depth=2
	v_add_u32_e32 v7, s3, v10
	v_lshlrev_b64 v[35:36], 3, v[7:8]
	v_add_u32_e32 v7, s3, v19
	v_add_u32_e32 v49, s3, v9
	v_lshlrev_b64 v[37:38], 3, v[7:8]
	v_add_co_u32_e32 v35, vcc, s12, v35
	v_mov_b32_e32 v21, v8
	v_add_u32_e32 v20, 15, v49
	v_addc_co_u32_e32 v36, vcc, v12, v36, vcc
	v_lshlrev_b64 v[20:21], 3, v[20:21]
	v_add_co_u32_e32 v37, vcc, s14, v37
	v_mov_b32_e32 v23, v8
	v_add_u32_e32 v22, 1, v49
	v_addc_co_u32_e32 v38, vcc, v13, v38, vcc
	v_lshlrev_b64 v[22:23], 3, v[22:23]
	v_add_co_u32_e32 v20, vcc, s12, v20
	v_addc_co_u32_e32 v21, vcc, v12, v21, vcc
	v_add_co_u32_e32 v39, vcc, s12, v22
	v_addc_co_u32_e32 v40, vcc, v12, v23, vcc
	global_load_dwordx2 v[22:23], v[35:36], off
	global_load_dwordx2 v[43:44], v[37:38], off
	v_mov_b32_e32 v31, v8
	v_mov_b32_e32 v34, v8
	v_add_u32_e32 v30, 3, v49
	v_add_u32_e32 v33, 18, v49
	v_mov_b32_e32 v32, v8
	v_mov_b32_e32 v35, v8
	v_lshlrev_b64 v[36:37], 3, v[30:31]
	v_add_u32_e32 v31, 2, v7
	v_lshlrev_b64 v[45:46], 3, v[33:34]
	v_add_u32_e32 v34, 3, v7
	v_lshlrev_b64 v[30:31], 3, v[31:32]
	v_lshlrev_b64 v[32:33], 3, v[34:35]
	global_load_dwordx2 v[34:35], v[20:21], off
	global_load_dwordx2 v[47:48], v[39:40], off
	v_mov_b32_e32 v24, v8
	v_mov_b32_e32 v26, v8
	v_add_u32_e32 v25, 2, v49
	v_mov_b32_e32 v29, v8
	v_add_u32_e32 v28, 17, v49
	v_lshlrev_b64 v[28:29], 3, v[28:29]
	v_mov_b32_e32 v42, v8
	v_add_u32_e32 v41, 4, v49
	v_lshlrev_b64 v[41:42], 3, v[41:42]
	v_mov_b32_e32 v27, v8
	s_add_i32 s3, s3, 5
	s_cmp_eq_u32 s3, 15
	s_waitcnt vmcnt(2)
	v_fmac_f32_e32 v18, v22, v43
	v_fmac_f32_e32 v16, v23, v43
	v_fma_f32 v63, -v23, v44, v18
	v_add_u32_e32 v23, 16, v49
	v_fmac_f32_e32 v16, v22, v44
	v_lshlrev_b64 v[22:23], 3, v[23:24]
	v_lshlrev_b64 v[24:25], 3, v[25:26]
	v_add_co_u32_e32 v20, vcc, s12, v22
	v_addc_co_u32_e32 v21, vcc, v12, v23, vcc
	v_add_co_u32_e32 v22, vcc, s12, v24
	v_addc_co_u32_e32 v23, vcc, v12, v25, vcc
	;; [unrolled: 2-line block ×3, first 2 shown]
	v_add_co_u32_e32 v28, vcc, s12, v36
	s_waitcnt vmcnt(1)
	v_fmac_f32_e32 v15, v35, v43
	v_addc_co_u32_e32 v29, vcc, v12, v37, vcc
	v_fmac_f32_e32 v17, v34, v43
	v_fmac_f32_e32 v15, v34, v44
	v_add_co_u32_e32 v34, vcc, s12, v45
	v_add_u32_e32 v26, 1, v7
	v_fma_f32 v64, -v35, v44, v17
	v_addc_co_u32_e32 v35, vcc, v12, v46, vcc
	v_lshlrev_b64 v[26:27], 3, v[26:27]
	v_add_co_u32_e32 v36, vcc, s12, v41
	v_addc_co_u32_e32 v37, vcc, v12, v42, vcc
	v_add_co_u32_e32 v26, vcc, s14, v26
	v_addc_co_u32_e32 v27, vcc, v13, v27, vcc
	v_add_co_u32_e32 v30, vcc, s14, v30
	v_add_u32_e32 v7, 4, v7
	v_addc_co_u32_e32 v31, vcc, v13, v31, vcc
	v_lshlrev_b64 v[17:18], 3, v[7:8]
	v_add_co_u32_e32 v32, vcc, s14, v32
	v_add_u32_e32 v7, 19, v49
	v_addc_co_u32_e32 v33, vcc, v13, v33, vcc
	v_add_co_u32_e32 v17, vcc, s14, v17
	v_lshlrev_b64 v[38:39], 3, v[7:8]
	v_addc_co_u32_e32 v18, vcc, v13, v18, vcc
	v_add_co_u32_e32 v38, vcc, s12, v38
	v_addc_co_u32_e32 v39, vcc, v12, v39, vcc
	global_load_dwordx2 v[40:41], v[20:21], off
	global_load_dwordx2 v[42:43], v[22:23], off
	;; [unrolled: 1-line block ×10, first 2 shown]
                                        ; kill: killed $vgpr30 killed $vgpr31
                                        ; kill: killed $vgpr20 killed $vgpr21
                                        ; kill: killed $vgpr17 killed $vgpr18
                                        ; kill: killed $vgpr34 killed $vgpr35
                                        ; kill: killed $vgpr24 killed $vgpr25
                                        ; kill: killed $vgpr28 killed $vgpr29
                                        ; kill: killed $vgpr22 killed $vgpr23
                                        ; kill: killed $vgpr26 killed $vgpr27
                                        ; kill: killed $vgpr36 killed $vgpr37
                                        ; kill: killed $vgpr32 killed $vgpr33
	global_load_dwordx2 v[20:21], v[38:39], off
	s_waitcnt vmcnt(4)
	v_fmac_f32_e32 v63, v47, v55
	v_fmac_f32_e32 v16, v48, v55
	v_fmac_f32_e32 v64, v40, v55
	v_fmac_f32_e32 v15, v41, v55
	v_fma_f32 v7, -v48, v56, v63
	v_fmac_f32_e32 v16, v47, v56
	v_fma_f32 v17, -v41, v56, v64
	v_fmac_f32_e32 v15, v40, v56
	s_waitcnt vmcnt(3)
	v_fmac_f32_e32 v7, v42, v57
	v_fmac_f32_e32 v16, v43, v57
	v_fmac_f32_e32 v17, v44, v57
	v_fmac_f32_e32 v15, v45, v57
	v_fma_f32 v7, -v43, v58, v7
	v_fmac_f32_e32 v16, v42, v58
	v_fma_f32 v17, -v45, v58, v17
	v_fmac_f32_e32 v15, v44, v58
	;; [unrolled: 9-line block ×3, first 2 shown]
	s_waitcnt vmcnt(1)
	v_fmac_f32_e32 v7, v53, v61
	v_fmac_f32_e32 v16, v54, v61
	s_waitcnt vmcnt(0)
	v_fmac_f32_e32 v17, v20, v61
	v_fmac_f32_e32 v15, v21, v61
	v_fma_f32 v18, -v54, v62, v7
	v_fmac_f32_e32 v16, v53, v62
	v_fma_f32 v17, -v21, v62, v17
	v_fmac_f32_e32 v15, v20, v62
	s_cbranch_scc0 .LBB220_16
; %bb.17:                               ;   in Loop: Header=BB220_15 Depth=1
	v_add_u32_e32 v6, 32, v6
	v_cmp_ge_i32_e32 vcc, v6, v14
	v_add_u32_e32 v9, 0x3c0, v9
	s_or_b64 s[0:1], vcc, s[0:1]
	v_add_u32_e32 v10, 0x3c0, v10
	s_andn2_b64 exec, exec, s[0:1]
	s_cbranch_execnz .LBB220_15
; %bb.18:
	s_or_b64 exec, exec, s[0:1]
.LBB220_19:
	s_or_b64 exec, exec, s[6:7]
.LBB220_20:
	v_mov_b32_dpp v6, v18 row_shr:1 row_mask:0xf bank_mask:0xf
	v_mov_b32_dpp v8, v16 row_shr:1 row_mask:0xf bank_mask:0xf
	v_mov_b32_dpp v10, v17 row_shr:1 row_mask:0xf bank_mask:0xf
	v_mov_b32_dpp v12, v15 row_shr:1 row_mask:0xf bank_mask:0xf
	v_add_f32_e32 v6, v18, v6
	v_add_f32_e32 v8, v16, v8
	v_add_f32_e32 v10, v17, v10
	v_add_f32_e32 v12, v15, v12
	v_mov_b32_dpp v7, v6 row_shr:2 row_mask:0xf bank_mask:0xf
	v_mov_b32_dpp v9, v8 row_shr:2 row_mask:0xf bank_mask:0xf
	v_mov_b32_dpp v11, v10 row_shr:2 row_mask:0xf bank_mask:0xf
	v_mov_b32_dpp v13, v12 row_shr:2 row_mask:0xf bank_mask:0xf
	v_add_f32_e32 v6, v6, v7
	v_add_f32_e32 v8, v8, v9
	v_add_f32_e32 v10, v10, v11
	v_add_f32_e32 v12, v12, v13
	;; [unrolled: 8-line block ×4, first 2 shown]
	v_mov_b32_dpp v7, v6 row_bcast:15 row_mask:0xa bank_mask:0xf
	v_mov_b32_dpp v9, v8 row_bcast:15 row_mask:0xa bank_mask:0xf
	;; [unrolled: 1-line block ×4, first 2 shown]
	v_cmp_eq_u32_e32 vcc, 31, v0
	s_and_b64 exec, exec, vcc
	s_cbranch_execz .LBB220_25
; %bb.21:
	s_load_dwordx2 s[2:3], s[4:5], 0x38
	v_cmp_eq_f32_e32 vcc, 0, v3
	v_cmp_eq_f32_e64 s[0:1], 0, v4
	v_add_f32_e32 v7, v6, v7
	v_add_f32_e32 v8, v8, v9
	;; [unrolled: 1-line block ×4, first 2 shown]
	s_and_b64 s[0:1], vcc, s[0:1]
	s_and_saveexec_b64 s[4:5], s[0:1]
	s_xor_b64 s[0:1], exec, s[4:5]
	s_cbranch_execz .LBB220_23
; %bb.22:
	v_mul_f32_e64 v3, v8, -v2
	v_mul_f32_e32 v4, v1, v8
	v_fmac_f32_e32 v3, v1, v7
	v_fmac_f32_e32 v4, v2, v7
	v_lshlrev_b32_e32 v7, 1, v5
	v_ashrrev_i32_e32 v8, 31, v7
	v_lshlrev_b64 v[7:8], 3, v[7:8]
	s_waitcnt lgkmcnt(0)
	v_mov_b32_e32 v5, s3
	v_add_co_u32_e32 v7, vcc, s2, v7
	v_addc_co_u32_e32 v8, vcc, v5, v8, vcc
	v_mul_f32_e64 v5, v6, -v2
	v_mul_f32_e32 v6, v1, v6
	v_fmac_f32_e32 v5, v1, v0
	v_fmac_f32_e32 v6, v2, v0
	global_store_dwordx4 v[7:8], v[3:6], off
                                        ; implicit-def: $vgpr5
                                        ; implicit-def: $vgpr1_vgpr2
                                        ; implicit-def: $vgpr8
                                        ; implicit-def: $vgpr7
                                        ; implicit-def: $vgpr3_vgpr4
                                        ; implicit-def: $vgpr6
                                        ; implicit-def: $vgpr0
.LBB220_23:
	s_andn2_saveexec_b64 s[0:1], s[0:1]
	s_cbranch_execz .LBB220_25
; %bb.24:
	v_lshlrev_b32_e32 v9, 1, v5
	v_ashrrev_i32_e32 v10, 31, v9
	v_lshlrev_b64 v[9:10], 3, v[9:10]
	s_waitcnt lgkmcnt(0)
	v_mov_b32_e32 v5, s3
	v_add_co_u32_e32 v17, vcc, s2, v9
	v_addc_co_u32_e32 v18, vcc, v5, v10, vcc
	global_load_dwordx4 v[9:12], v[17:18], off
	v_mul_f32_e64 v5, v8, -v2
	v_mul_f32_e32 v14, v1, v8
	v_mul_f32_e64 v8, v6, -v2
	v_mul_f32_e32 v16, v1, v6
	v_fmac_f32_e32 v5, v1, v7
	v_fmac_f32_e32 v14, v2, v7
	;; [unrolled: 1-line block ×4, first 2 shown]
	s_waitcnt vmcnt(0)
	v_fmac_f32_e32 v5, v3, v9
	v_fmac_f32_e32 v14, v4, v9
	v_fmac_f32_e32 v8, v3, v11
	v_fmac_f32_e32 v16, v4, v11
	v_fma_f32 v13, -v4, v10, v5
	v_fmac_f32_e32 v14, v3, v10
	v_fma_f32 v15, -v4, v12, v8
	v_fmac_f32_e32 v16, v3, v12
	global_store_dwordx4 v[17:18], v[13:16], off
.LBB220_25:
	s_endpgm
	.section	.rodata,"a",@progbits
	.p2align	6, 0x0
	.amdhsa_kernel _ZN9rocsparseL19gebsrmvn_2xn_kernelILj128ELj15ELj32E21rocsparse_complex_numIfEEEvi20rocsparse_direction_NS_24const_host_device_scalarIT2_EEPKiS8_PKS5_SA_S6_PS5_21rocsparse_index_base_b
		.amdhsa_group_segment_fixed_size 0
		.amdhsa_private_segment_fixed_size 0
		.amdhsa_kernarg_size 72
		.amdhsa_user_sgpr_count 6
		.amdhsa_user_sgpr_private_segment_buffer 1
		.amdhsa_user_sgpr_dispatch_ptr 0
		.amdhsa_user_sgpr_queue_ptr 0
		.amdhsa_user_sgpr_kernarg_segment_ptr 1
		.amdhsa_user_sgpr_dispatch_id 0
		.amdhsa_user_sgpr_flat_scratch_init 0
		.amdhsa_user_sgpr_private_segment_size 0
		.amdhsa_uses_dynamic_stack 0
		.amdhsa_system_sgpr_private_segment_wavefront_offset 0
		.amdhsa_system_sgpr_workgroup_id_x 1
		.amdhsa_system_sgpr_workgroup_id_y 0
		.amdhsa_system_sgpr_workgroup_id_z 0
		.amdhsa_system_sgpr_workgroup_info 0
		.amdhsa_system_vgpr_workitem_id 0
		.amdhsa_next_free_vgpr 66
		.amdhsa_next_free_sgpr 16
		.amdhsa_reserve_vcc 1
		.amdhsa_reserve_flat_scratch 0
		.amdhsa_float_round_mode_32 0
		.amdhsa_float_round_mode_16_64 0
		.amdhsa_float_denorm_mode_32 3
		.amdhsa_float_denorm_mode_16_64 3
		.amdhsa_dx10_clamp 1
		.amdhsa_ieee_mode 1
		.amdhsa_fp16_overflow 0
		.amdhsa_exception_fp_ieee_invalid_op 0
		.amdhsa_exception_fp_denorm_src 0
		.amdhsa_exception_fp_ieee_div_zero 0
		.amdhsa_exception_fp_ieee_overflow 0
		.amdhsa_exception_fp_ieee_underflow 0
		.amdhsa_exception_fp_ieee_inexact 0
		.amdhsa_exception_int_div_zero 0
	.end_amdhsa_kernel
	.section	.text._ZN9rocsparseL19gebsrmvn_2xn_kernelILj128ELj15ELj32E21rocsparse_complex_numIfEEEvi20rocsparse_direction_NS_24const_host_device_scalarIT2_EEPKiS8_PKS5_SA_S6_PS5_21rocsparse_index_base_b,"axG",@progbits,_ZN9rocsparseL19gebsrmvn_2xn_kernelILj128ELj15ELj32E21rocsparse_complex_numIfEEEvi20rocsparse_direction_NS_24const_host_device_scalarIT2_EEPKiS8_PKS5_SA_S6_PS5_21rocsparse_index_base_b,comdat
.Lfunc_end220:
	.size	_ZN9rocsparseL19gebsrmvn_2xn_kernelILj128ELj15ELj32E21rocsparse_complex_numIfEEEvi20rocsparse_direction_NS_24const_host_device_scalarIT2_EEPKiS8_PKS5_SA_S6_PS5_21rocsparse_index_base_b, .Lfunc_end220-_ZN9rocsparseL19gebsrmvn_2xn_kernelILj128ELj15ELj32E21rocsparse_complex_numIfEEEvi20rocsparse_direction_NS_24const_host_device_scalarIT2_EEPKiS8_PKS5_SA_S6_PS5_21rocsparse_index_base_b
                                        ; -- End function
	.set _ZN9rocsparseL19gebsrmvn_2xn_kernelILj128ELj15ELj32E21rocsparse_complex_numIfEEEvi20rocsparse_direction_NS_24const_host_device_scalarIT2_EEPKiS8_PKS5_SA_S6_PS5_21rocsparse_index_base_b.num_vgpr, 66
	.set _ZN9rocsparseL19gebsrmvn_2xn_kernelILj128ELj15ELj32E21rocsparse_complex_numIfEEEvi20rocsparse_direction_NS_24const_host_device_scalarIT2_EEPKiS8_PKS5_SA_S6_PS5_21rocsparse_index_base_b.num_agpr, 0
	.set _ZN9rocsparseL19gebsrmvn_2xn_kernelILj128ELj15ELj32E21rocsparse_complex_numIfEEEvi20rocsparse_direction_NS_24const_host_device_scalarIT2_EEPKiS8_PKS5_SA_S6_PS5_21rocsparse_index_base_b.numbered_sgpr, 16
	.set _ZN9rocsparseL19gebsrmvn_2xn_kernelILj128ELj15ELj32E21rocsparse_complex_numIfEEEvi20rocsparse_direction_NS_24const_host_device_scalarIT2_EEPKiS8_PKS5_SA_S6_PS5_21rocsparse_index_base_b.num_named_barrier, 0
	.set _ZN9rocsparseL19gebsrmvn_2xn_kernelILj128ELj15ELj32E21rocsparse_complex_numIfEEEvi20rocsparse_direction_NS_24const_host_device_scalarIT2_EEPKiS8_PKS5_SA_S6_PS5_21rocsparse_index_base_b.private_seg_size, 0
	.set _ZN9rocsparseL19gebsrmvn_2xn_kernelILj128ELj15ELj32E21rocsparse_complex_numIfEEEvi20rocsparse_direction_NS_24const_host_device_scalarIT2_EEPKiS8_PKS5_SA_S6_PS5_21rocsparse_index_base_b.uses_vcc, 1
	.set _ZN9rocsparseL19gebsrmvn_2xn_kernelILj128ELj15ELj32E21rocsparse_complex_numIfEEEvi20rocsparse_direction_NS_24const_host_device_scalarIT2_EEPKiS8_PKS5_SA_S6_PS5_21rocsparse_index_base_b.uses_flat_scratch, 0
	.set _ZN9rocsparseL19gebsrmvn_2xn_kernelILj128ELj15ELj32E21rocsparse_complex_numIfEEEvi20rocsparse_direction_NS_24const_host_device_scalarIT2_EEPKiS8_PKS5_SA_S6_PS5_21rocsparse_index_base_b.has_dyn_sized_stack, 0
	.set _ZN9rocsparseL19gebsrmvn_2xn_kernelILj128ELj15ELj32E21rocsparse_complex_numIfEEEvi20rocsparse_direction_NS_24const_host_device_scalarIT2_EEPKiS8_PKS5_SA_S6_PS5_21rocsparse_index_base_b.has_recursion, 0
	.set _ZN9rocsparseL19gebsrmvn_2xn_kernelILj128ELj15ELj32E21rocsparse_complex_numIfEEEvi20rocsparse_direction_NS_24const_host_device_scalarIT2_EEPKiS8_PKS5_SA_S6_PS5_21rocsparse_index_base_b.has_indirect_call, 0
	.section	.AMDGPU.csdata,"",@progbits
; Kernel info:
; codeLenInByte = 2384
; TotalNumSgprs: 20
; NumVgprs: 66
; ScratchSize: 0
; MemoryBound: 0
; FloatMode: 240
; IeeeMode: 1
; LDSByteSize: 0 bytes/workgroup (compile time only)
; SGPRBlocks: 2
; VGPRBlocks: 16
; NumSGPRsForWavesPerEU: 20
; NumVGPRsForWavesPerEU: 66
; Occupancy: 3
; WaveLimiterHint : 1
; COMPUTE_PGM_RSRC2:SCRATCH_EN: 0
; COMPUTE_PGM_RSRC2:USER_SGPR: 6
; COMPUTE_PGM_RSRC2:TRAP_HANDLER: 0
; COMPUTE_PGM_RSRC2:TGID_X_EN: 1
; COMPUTE_PGM_RSRC2:TGID_Y_EN: 0
; COMPUTE_PGM_RSRC2:TGID_Z_EN: 0
; COMPUTE_PGM_RSRC2:TIDIG_COMP_CNT: 0
	.section	.text._ZN9rocsparseL19gebsrmvn_2xn_kernelILj128ELj15ELj64E21rocsparse_complex_numIfEEEvi20rocsparse_direction_NS_24const_host_device_scalarIT2_EEPKiS8_PKS5_SA_S6_PS5_21rocsparse_index_base_b,"axG",@progbits,_ZN9rocsparseL19gebsrmvn_2xn_kernelILj128ELj15ELj64E21rocsparse_complex_numIfEEEvi20rocsparse_direction_NS_24const_host_device_scalarIT2_EEPKiS8_PKS5_SA_S6_PS5_21rocsparse_index_base_b,comdat
	.globl	_ZN9rocsparseL19gebsrmvn_2xn_kernelILj128ELj15ELj64E21rocsparse_complex_numIfEEEvi20rocsparse_direction_NS_24const_host_device_scalarIT2_EEPKiS8_PKS5_SA_S6_PS5_21rocsparse_index_base_b ; -- Begin function _ZN9rocsparseL19gebsrmvn_2xn_kernelILj128ELj15ELj64E21rocsparse_complex_numIfEEEvi20rocsparse_direction_NS_24const_host_device_scalarIT2_EEPKiS8_PKS5_SA_S6_PS5_21rocsparse_index_base_b
	.p2align	8
	.type	_ZN9rocsparseL19gebsrmvn_2xn_kernelILj128ELj15ELj64E21rocsparse_complex_numIfEEEvi20rocsparse_direction_NS_24const_host_device_scalarIT2_EEPKiS8_PKS5_SA_S6_PS5_21rocsparse_index_base_b,@function
_ZN9rocsparseL19gebsrmvn_2xn_kernelILj128ELj15ELj64E21rocsparse_complex_numIfEEEvi20rocsparse_direction_NS_24const_host_device_scalarIT2_EEPKiS8_PKS5_SA_S6_PS5_21rocsparse_index_base_b: ; @_ZN9rocsparseL19gebsrmvn_2xn_kernelILj128ELj15ELj64E21rocsparse_complex_numIfEEEvi20rocsparse_direction_NS_24const_host_device_scalarIT2_EEPKiS8_PKS5_SA_S6_PS5_21rocsparse_index_base_b
; %bb.0:
	s_load_dwordx2 s[0:1], s[4:5], 0x8
	s_load_dwordx2 s[8:9], s[4:5], 0x30
	;; [unrolled: 1-line block ×3, first 2 shown]
	s_add_u32 s7, s4, 8
	s_addc_u32 s10, s5, 0
	s_add_u32 s11, s4, 48
	s_addc_u32 s12, s5, 0
	s_waitcnt lgkmcnt(0)
	s_bitcmp1_b32 s3, 0
	s_cselect_b32 s1, s10, s1
	s_cselect_b32 s0, s7, s0
	v_mov_b32_e32 v1, s0
	v_mov_b32_e32 v2, s1
	flat_load_dwordx2 v[1:2], v[1:2]
	s_cselect_b32 s0, s12, s9
	s_cselect_b32 s1, s11, s8
	v_mov_b32_e32 v3, s1
	v_mov_b32_e32 v4, s0
	flat_load_dwordx2 v[3:4], v[3:4]
	s_waitcnt vmcnt(0) lgkmcnt(0)
	v_cmp_eq_f32_e32 vcc, 0, v1
	v_cmp_eq_f32_e64 s[0:1], 0, v2
	s_and_b64 s[10:11], vcc, s[0:1]
	s_mov_b64 s[0:1], -1
	s_and_saveexec_b64 s[8:9], s[10:11]
; %bb.1:
	v_cmp_neq_f32_e32 vcc, 1.0, v3
	v_cmp_neq_f32_e64 s[0:1], 0, v4
	s_or_b64 s[0:1], vcc, s[0:1]
	s_orn2_b64 s[0:1], s[0:1], exec
; %bb.2:
	s_or_b64 exec, exec, s[8:9]
	s_and_saveexec_b64 s[8:9], s[0:1]
	s_cbranch_execz .LBB221_25
; %bb.3:
	s_load_dwordx2 s[0:1], s[4:5], 0x0
	v_lshrrev_b32_e32 v5, 6, v0
	v_lshl_or_b32 v5, s6, 1, v5
	s_waitcnt lgkmcnt(0)
	v_cmp_gt_i32_e32 vcc, s0, v5
	s_and_b64 exec, exec, vcc
	s_cbranch_execz .LBB221_25
; %bb.4:
	s_load_dwordx8 s[8:15], s[4:5], 0x10
	v_ashrrev_i32_e32 v6, 31, v5
	v_lshlrev_b64 v[6:7], 2, v[5:6]
	v_and_b32_e32 v0, 63, v0
	s_cmp_lg_u32 s1, 0
	s_waitcnt lgkmcnt(0)
	v_mov_b32_e32 v8, s9
	v_add_co_u32_e32 v6, vcc, s8, v6
	v_addc_co_u32_e32 v7, vcc, v8, v7, vcc
	global_load_dwordx2 v[7:8], v[6:7], off
	s_waitcnt vmcnt(0)
	v_subrev_u32_e32 v6, s2, v7
	v_subrev_u32_e32 v15, s2, v8
	v_add_u32_e32 v6, v6, v0
	v_cmp_lt_i32_e64 s[0:1], v6, v15
	s_cbranch_scc0 .LBB221_12
; %bb.5:
	v_mov_b32_e32 v16, 0
	v_mov_b32_e32 v18, 0
	;; [unrolled: 1-line block ×4, first 2 shown]
	s_and_saveexec_b64 s[6:7], s[0:1]
	s_cbranch_execz .LBB221_11
; %bb.6:
	v_mad_u64_u32 v[8:9], s[8:9], v6, 30, 8
	v_mov_b32_e32 v10, 0
	s_mov_b64 s[8:9], 0
	v_mov_b32_e32 v19, s11
	v_mov_b32_e32 v20, s13
	;; [unrolled: 1-line block ×8, first 2 shown]
.LBB221_7:                              ; =>This Loop Header: Depth=1
                                        ;     Child Loop BB221_8 Depth 2
	v_ashrrev_i32_e32 v12, 31, v11
	v_lshlrev_b64 v[12:13], 2, v[11:12]
	s_mov_b32 s3, 0
	v_add_co_u32_e32 v12, vcc, s10, v12
	v_addc_co_u32_e32 v13, vcc, v19, v13, vcc
	global_load_dword v9, v[12:13], off
	v_mov_b32_e32 v12, v8
	s_waitcnt vmcnt(0)
	v_subrev_u32_e32 v9, s2, v9
	v_mul_lo_u32 v22, v9, 15
.LBB221_8:                              ;   Parent Loop BB221_7 Depth=1
                                        ; =>  This Inner Loop Header: Depth=2
	v_add_u32_e32 v9, -8, v12
	v_lshlrev_b64 v[32:33], 3, v[9:10]
	v_add_u32_e32 v23, -6, v12
	v_mov_b32_e32 v24, v10
	v_lshlrev_b64 v[34:35], 3, v[23:24]
	v_add_co_u32_e32 v44, vcc, s12, v32
	v_add_u32_e32 v26, -4, v12
	v_mov_b32_e32 v27, v10
	v_addc_co_u32_e32 v45, vcc, v20, v33, vcc
	v_lshlrev_b64 v[36:37], 3, v[26:27]
	v_add_co_u32_e32 v48, vcc, s12, v34
	v_add_u32_e32 v29, -2, v12
	v_mov_b32_e32 v30, v10
	v_addc_co_u32_e32 v49, vcc, v20, v35, vcc
	v_lshlrev_b64 v[38:39], 3, v[29:30]
	v_add_co_u32_e32 v54, vcc, s12, v36
	v_mov_b32_e32 v13, v10
	v_addc_co_u32_e32 v55, vcc, v20, v37, vcc
	v_lshlrev_b64 v[40:41], 3, v[12:13]
	v_add_co_u32_e32 v56, vcc, s12, v38
	v_add_u32_e32 v9, s3, v22
	v_addc_co_u32_e32 v57, vcc, v20, v39, vcc
	v_lshlrev_b64 v[42:43], 3, v[9:10]
	v_add_co_u32_e32 v60, vcc, s12, v40
	v_mov_b32_e32 v25, v10
	v_add_u32_e32 v24, 1, v9
	v_addc_co_u32_e32 v61, vcc, v20, v41, vcc
	v_lshlrev_b64 v[46:47], 3, v[24:25]
	v_add_co_u32_e32 v62, vcc, s14, v42
	v_mov_b32_e32 v28, v10
	v_add_u32_e32 v27, 2, v9
	v_addc_co_u32_e32 v63, vcc, v21, v43, vcc
	v_mov_b32_e32 v31, v10
	v_add_u32_e32 v30, 3, v9
	v_lshlrev_b64 v[50:51], 3, v[27:28]
	v_add_co_u32_e32 v43, vcc, s14, v46
	v_lshlrev_b64 v[52:53], 3, v[30:31]
	global_load_dwordx4 v[23:26], v[44:45], off
	global_load_dwordx4 v[27:30], v[48:49], off
	;; [unrolled: 1-line block ×5, first 2 shown]
	global_load_dwordx2 v[64:65], v[62:63], off
	v_addc_co_u32_e32 v44, vcc, v21, v47, vcc
	v_add_co_u32_e32 v45, vcc, s14, v50
	v_add_u32_e32 v9, 4, v9
	v_addc_co_u32_e32 v46, vcc, v21, v51, vcc
	v_lshlrev_b64 v[58:59], 3, v[9:10]
	v_add_co_u32_e32 v47, vcc, s14, v52
	v_addc_co_u32_e32 v48, vcc, v21, v53, vcc
	v_add_co_u32_e32 v49, vcc, s14, v58
	v_addc_co_u32_e32 v50, vcc, v21, v59, vcc
	global_load_dwordx2 v[51:52], v[43:44], off
	global_load_dwordx2 v[53:54], v[45:46], off
	;; [unrolled: 1-line block ×4, first 2 shown]
	s_add_i32 s3, s3, 5
	v_add_u32_e32 v12, 10, v12
	s_cmp_eq_u32 s3, 15
	s_waitcnt vmcnt(4)
	v_fmac_f32_e32 v18, v23, v64
	v_fmac_f32_e32 v16, v24, v64
	v_fmac_f32_e32 v17, v25, v64
	v_fmac_f32_e32 v14, v26, v64
	v_fma_f32 v9, -v24, v65, v18
	v_fmac_f32_e32 v16, v23, v65
	v_fma_f32 v13, -v26, v65, v17
	v_fmac_f32_e32 v14, v25, v65
	s_waitcnt vmcnt(3)
	v_fmac_f32_e32 v9, v27, v51
	v_fmac_f32_e32 v16, v28, v51
	v_fmac_f32_e32 v13, v29, v51
	v_fmac_f32_e32 v14, v30, v51
	v_fma_f32 v9, -v28, v52, v9
	v_fmac_f32_e32 v16, v27, v52
	v_fma_f32 v13, -v30, v52, v13
	v_fmac_f32_e32 v14, v29, v52
	;; [unrolled: 9-line block ×5, first 2 shown]
	s_cbranch_scc0 .LBB221_8
; %bb.9:                                ;   in Loop: Header=BB221_7 Depth=1
	v_add_u32_e32 v11, 64, v11
	v_cmp_ge_i32_e32 vcc, v11, v15
	s_or_b64 s[8:9], vcc, s[8:9]
	v_add_u32_e32 v8, 0x780, v8
	s_andn2_b64 exec, exec, s[8:9]
	s_cbranch_execnz .LBB221_7
; %bb.10:
	s_or_b64 exec, exec, s[8:9]
.LBB221_11:
	s_or_b64 exec, exec, s[6:7]
	s_cbranch_execz .LBB221_13
	s_branch .LBB221_20
.LBB221_12:
                                        ; implicit-def: $vgpr16
                                        ; implicit-def: $vgpr18
                                        ; implicit-def: $vgpr17
                                        ; implicit-def: $vgpr14
.LBB221_13:
	v_mov_b32_e32 v16, 0
	v_mov_b32_e32 v18, 0
	;; [unrolled: 1-line block ×4, first 2 shown]
	s_and_saveexec_b64 s[6:7], s[0:1]
	s_cbranch_execz .LBB221_19
; %bb.14:
	v_mul_lo_u32 v7, v7, 30
	v_mul_lo_u32 v9, v6, 30
	s_mul_i32 s0, s2, 30
	v_mov_b32_e32 v8, 0
	v_mad_u32_u24 v7, v0, 30, v7
	v_subrev_u32_e32 v10, s0, v7
	s_mov_b64 s[0:1], 0
	v_mov_b32_e32 v11, s11
	v_mov_b32_e32 v12, s13
	;; [unrolled: 1-line block ×7, first 2 shown]
.LBB221_15:                             ; =>This Loop Header: Depth=1
                                        ;     Child Loop BB221_16 Depth 2
	v_ashrrev_i32_e32 v7, 31, v6
	v_lshlrev_b64 v[19:20], 2, v[6:7]
	s_mov_b32 s3, 0
	v_add_co_u32_e32 v19, vcc, s10, v19
	v_addc_co_u32_e32 v20, vcc, v11, v20, vcc
	global_load_dword v7, v[19:20], off
	s_waitcnt vmcnt(0)
	v_subrev_u32_e32 v7, s2, v7
	v_mul_lo_u32 v19, v7, 15
.LBB221_16:                             ;   Parent Loop BB221_15 Depth=1
                                        ; =>  This Inner Loop Header: Depth=2
	v_add_u32_e32 v7, s3, v10
	v_lshlrev_b64 v[35:36], 3, v[7:8]
	v_add_u32_e32 v7, s3, v19
	v_add_u32_e32 v49, s3, v9
	v_lshlrev_b64 v[37:38], 3, v[7:8]
	v_add_co_u32_e32 v35, vcc, s12, v35
	v_mov_b32_e32 v21, v8
	v_add_u32_e32 v20, 15, v49
	v_addc_co_u32_e32 v36, vcc, v12, v36, vcc
	v_lshlrev_b64 v[20:21], 3, v[20:21]
	v_add_co_u32_e32 v37, vcc, s14, v37
	v_mov_b32_e32 v23, v8
	v_add_u32_e32 v22, 1, v49
	v_addc_co_u32_e32 v38, vcc, v13, v38, vcc
	v_lshlrev_b64 v[22:23], 3, v[22:23]
	v_add_co_u32_e32 v20, vcc, s12, v20
	v_addc_co_u32_e32 v21, vcc, v12, v21, vcc
	v_add_co_u32_e32 v39, vcc, s12, v22
	v_addc_co_u32_e32 v40, vcc, v12, v23, vcc
	global_load_dwordx2 v[22:23], v[35:36], off
	global_load_dwordx2 v[43:44], v[37:38], off
	v_mov_b32_e32 v31, v8
	v_mov_b32_e32 v34, v8
	v_add_u32_e32 v30, 3, v49
	v_add_u32_e32 v33, 18, v49
	v_mov_b32_e32 v32, v8
	v_mov_b32_e32 v35, v8
	v_lshlrev_b64 v[36:37], 3, v[30:31]
	v_add_u32_e32 v31, 2, v7
	v_lshlrev_b64 v[45:46], 3, v[33:34]
	v_add_u32_e32 v34, 3, v7
	v_lshlrev_b64 v[30:31], 3, v[31:32]
	v_lshlrev_b64 v[32:33], 3, v[34:35]
	global_load_dwordx2 v[34:35], v[20:21], off
	global_load_dwordx2 v[47:48], v[39:40], off
	v_mov_b32_e32 v24, v8
	v_mov_b32_e32 v26, v8
	v_add_u32_e32 v25, 2, v49
	v_mov_b32_e32 v29, v8
	v_add_u32_e32 v28, 17, v49
	v_lshlrev_b64 v[28:29], 3, v[28:29]
	v_mov_b32_e32 v42, v8
	v_add_u32_e32 v41, 4, v49
	v_lshlrev_b64 v[41:42], 3, v[41:42]
	v_mov_b32_e32 v27, v8
	s_add_i32 s3, s3, 5
	s_cmp_eq_u32 s3, 15
	s_waitcnt vmcnt(2)
	v_fmac_f32_e32 v18, v22, v43
	v_fmac_f32_e32 v16, v23, v43
	v_fma_f32 v63, -v23, v44, v18
	v_add_u32_e32 v23, 16, v49
	v_fmac_f32_e32 v16, v22, v44
	v_lshlrev_b64 v[22:23], 3, v[23:24]
	v_lshlrev_b64 v[24:25], 3, v[25:26]
	v_add_co_u32_e32 v20, vcc, s12, v22
	v_addc_co_u32_e32 v21, vcc, v12, v23, vcc
	v_add_co_u32_e32 v22, vcc, s12, v24
	v_addc_co_u32_e32 v23, vcc, v12, v25, vcc
	;; [unrolled: 2-line block ×3, first 2 shown]
	v_add_co_u32_e32 v28, vcc, s12, v36
	s_waitcnt vmcnt(1)
	v_fmac_f32_e32 v14, v35, v43
	v_addc_co_u32_e32 v29, vcc, v12, v37, vcc
	v_fmac_f32_e32 v17, v34, v43
	v_fmac_f32_e32 v14, v34, v44
	v_add_co_u32_e32 v34, vcc, s12, v45
	v_add_u32_e32 v26, 1, v7
	v_fma_f32 v64, -v35, v44, v17
	v_addc_co_u32_e32 v35, vcc, v12, v46, vcc
	v_lshlrev_b64 v[26:27], 3, v[26:27]
	v_add_co_u32_e32 v36, vcc, s12, v41
	v_addc_co_u32_e32 v37, vcc, v12, v42, vcc
	v_add_co_u32_e32 v26, vcc, s14, v26
	v_addc_co_u32_e32 v27, vcc, v13, v27, vcc
	v_add_co_u32_e32 v30, vcc, s14, v30
	v_add_u32_e32 v7, 4, v7
	v_addc_co_u32_e32 v31, vcc, v13, v31, vcc
	v_lshlrev_b64 v[17:18], 3, v[7:8]
	v_add_co_u32_e32 v32, vcc, s14, v32
	v_add_u32_e32 v7, 19, v49
	v_addc_co_u32_e32 v33, vcc, v13, v33, vcc
	v_add_co_u32_e32 v17, vcc, s14, v17
	v_lshlrev_b64 v[38:39], 3, v[7:8]
	v_addc_co_u32_e32 v18, vcc, v13, v18, vcc
	v_add_co_u32_e32 v38, vcc, s12, v38
	v_addc_co_u32_e32 v39, vcc, v12, v39, vcc
	global_load_dwordx2 v[40:41], v[20:21], off
	global_load_dwordx2 v[42:43], v[22:23], off
	;; [unrolled: 1-line block ×10, first 2 shown]
                                        ; kill: killed $vgpr30 killed $vgpr31
                                        ; kill: killed $vgpr20 killed $vgpr21
                                        ; kill: killed $vgpr17 killed $vgpr18
                                        ; kill: killed $vgpr34 killed $vgpr35
                                        ; kill: killed $vgpr24 killed $vgpr25
                                        ; kill: killed $vgpr28 killed $vgpr29
                                        ; kill: killed $vgpr22 killed $vgpr23
                                        ; kill: killed $vgpr26 killed $vgpr27
                                        ; kill: killed $vgpr36 killed $vgpr37
                                        ; kill: killed $vgpr32 killed $vgpr33
	global_load_dwordx2 v[20:21], v[38:39], off
	s_waitcnt vmcnt(4)
	v_fmac_f32_e32 v63, v47, v55
	v_fmac_f32_e32 v16, v48, v55
	v_fmac_f32_e32 v64, v40, v55
	v_fmac_f32_e32 v14, v41, v55
	v_fma_f32 v7, -v48, v56, v63
	v_fmac_f32_e32 v16, v47, v56
	v_fma_f32 v17, -v41, v56, v64
	v_fmac_f32_e32 v14, v40, v56
	s_waitcnt vmcnt(3)
	v_fmac_f32_e32 v7, v42, v57
	v_fmac_f32_e32 v16, v43, v57
	v_fmac_f32_e32 v17, v44, v57
	v_fmac_f32_e32 v14, v45, v57
	v_fma_f32 v7, -v43, v58, v7
	v_fmac_f32_e32 v16, v42, v58
	v_fma_f32 v17, -v45, v58, v17
	v_fmac_f32_e32 v14, v44, v58
	;; [unrolled: 9-line block ×3, first 2 shown]
	s_waitcnt vmcnt(1)
	v_fmac_f32_e32 v7, v53, v61
	v_fmac_f32_e32 v16, v54, v61
	s_waitcnt vmcnt(0)
	v_fmac_f32_e32 v17, v20, v61
	v_fmac_f32_e32 v14, v21, v61
	v_fma_f32 v18, -v54, v62, v7
	v_fmac_f32_e32 v16, v53, v62
	v_fma_f32 v17, -v21, v62, v17
	v_fmac_f32_e32 v14, v20, v62
	s_cbranch_scc0 .LBB221_16
; %bb.17:                               ;   in Loop: Header=BB221_15 Depth=1
	v_add_u32_e32 v6, 64, v6
	v_cmp_ge_i32_e32 vcc, v6, v15
	v_add_u32_e32 v9, 0x780, v9
	s_or_b64 s[0:1], vcc, s[0:1]
	v_add_u32_e32 v10, 0x780, v10
	s_andn2_b64 exec, exec, s[0:1]
	s_cbranch_execnz .LBB221_15
; %bb.18:
	s_or_b64 exec, exec, s[0:1]
.LBB221_19:
	s_or_b64 exec, exec, s[6:7]
.LBB221_20:
	v_mov_b32_dpp v6, v18 row_shr:1 row_mask:0xf bank_mask:0xf
	v_mov_b32_dpp v8, v16 row_shr:1 row_mask:0xf bank_mask:0xf
	v_mov_b32_dpp v10, v17 row_shr:1 row_mask:0xf bank_mask:0xf
	v_mov_b32_dpp v12, v14 row_shr:1 row_mask:0xf bank_mask:0xf
	v_add_f32_e32 v6, v18, v6
	v_add_f32_e32 v8, v16, v8
	v_add_f32_e32 v10, v17, v10
	v_add_f32_e32 v12, v14, v12
	v_mov_b32_dpp v7, v6 row_shr:2 row_mask:0xf bank_mask:0xf
	v_mov_b32_dpp v9, v8 row_shr:2 row_mask:0xf bank_mask:0xf
	v_mov_b32_dpp v11, v10 row_shr:2 row_mask:0xf bank_mask:0xf
	v_mov_b32_dpp v13, v12 row_shr:2 row_mask:0xf bank_mask:0xf
	v_add_f32_e32 v6, v6, v7
	v_add_f32_e32 v8, v8, v9
	v_add_f32_e32 v10, v10, v11
	v_add_f32_e32 v12, v12, v13
	;; [unrolled: 8-line block ×4, first 2 shown]
	v_mov_b32_dpp v7, v6 row_bcast:15 row_mask:0xa bank_mask:0xf
	v_mov_b32_dpp v9, v8 row_bcast:15 row_mask:0xa bank_mask:0xf
	;; [unrolled: 1-line block ×4, first 2 shown]
	v_add_f32_e32 v6, v6, v7
	v_add_f32_e32 v8, v8, v9
	;; [unrolled: 1-line block ×4, first 2 shown]
	v_mov_b32_dpp v7, v6 row_bcast:31 row_mask:0xc bank_mask:0xf
	v_mov_b32_dpp v9, v8 row_bcast:31 row_mask:0xc bank_mask:0xf
	;; [unrolled: 1-line block ×4, first 2 shown]
	v_cmp_eq_u32_e32 vcc, 63, v0
	s_and_b64 exec, exec, vcc
	s_cbranch_execz .LBB221_25
; %bb.21:
	s_load_dwordx2 s[2:3], s[4:5], 0x38
	v_cmp_eq_f32_e32 vcc, 0, v3
	v_cmp_eq_f32_e64 s[0:1], 0, v4
	v_add_f32_e32 v7, v6, v7
	v_add_f32_e32 v8, v8, v9
	;; [unrolled: 1-line block ×4, first 2 shown]
	s_and_b64 s[0:1], vcc, s[0:1]
	s_and_saveexec_b64 s[4:5], s[0:1]
	s_xor_b64 s[0:1], exec, s[4:5]
	s_cbranch_execz .LBB221_23
; %bb.22:
	v_mul_f32_e64 v3, v8, -v2
	v_mul_f32_e32 v4, v1, v8
	v_fmac_f32_e32 v3, v1, v7
	v_fmac_f32_e32 v4, v2, v7
	v_lshlrev_b32_e32 v7, 1, v5
	v_ashrrev_i32_e32 v8, 31, v7
	v_lshlrev_b64 v[7:8], 3, v[7:8]
	s_waitcnt lgkmcnt(0)
	v_mov_b32_e32 v5, s3
	v_add_co_u32_e32 v7, vcc, s2, v7
	v_addc_co_u32_e32 v8, vcc, v5, v8, vcc
	v_mul_f32_e64 v5, v6, -v2
	v_mul_f32_e32 v6, v1, v6
	v_fmac_f32_e32 v5, v1, v0
	v_fmac_f32_e32 v6, v2, v0
	global_store_dwordx4 v[7:8], v[3:6], off
                                        ; implicit-def: $vgpr5
                                        ; implicit-def: $vgpr1_vgpr2
                                        ; implicit-def: $vgpr8
                                        ; implicit-def: $vgpr7
                                        ; implicit-def: $vgpr3_vgpr4
                                        ; implicit-def: $vgpr6
                                        ; implicit-def: $vgpr0
.LBB221_23:
	s_andn2_saveexec_b64 s[0:1], s[0:1]
	s_cbranch_execz .LBB221_25
; %bb.24:
	v_lshlrev_b32_e32 v9, 1, v5
	v_ashrrev_i32_e32 v10, 31, v9
	v_lshlrev_b64 v[9:10], 3, v[9:10]
	s_waitcnt lgkmcnt(0)
	v_mov_b32_e32 v5, s3
	v_add_co_u32_e32 v17, vcc, s2, v9
	v_addc_co_u32_e32 v18, vcc, v5, v10, vcc
	global_load_dwordx4 v[9:12], v[17:18], off
	v_mul_f32_e64 v5, v8, -v2
	v_mul_f32_e32 v14, v1, v8
	v_mul_f32_e64 v8, v6, -v2
	v_mul_f32_e32 v16, v1, v6
	v_fmac_f32_e32 v5, v1, v7
	v_fmac_f32_e32 v14, v2, v7
	;; [unrolled: 1-line block ×4, first 2 shown]
	s_waitcnt vmcnt(0)
	v_fmac_f32_e32 v5, v3, v9
	v_fmac_f32_e32 v14, v4, v9
	;; [unrolled: 1-line block ×4, first 2 shown]
	v_fma_f32 v13, -v4, v10, v5
	v_fmac_f32_e32 v14, v3, v10
	v_fma_f32 v15, -v4, v12, v8
	v_fmac_f32_e32 v16, v3, v12
	global_store_dwordx4 v[17:18], v[13:16], off
.LBB221_25:
	s_endpgm
	.section	.rodata,"a",@progbits
	.p2align	6, 0x0
	.amdhsa_kernel _ZN9rocsparseL19gebsrmvn_2xn_kernelILj128ELj15ELj64E21rocsparse_complex_numIfEEEvi20rocsparse_direction_NS_24const_host_device_scalarIT2_EEPKiS8_PKS5_SA_S6_PS5_21rocsparse_index_base_b
		.amdhsa_group_segment_fixed_size 0
		.amdhsa_private_segment_fixed_size 0
		.amdhsa_kernarg_size 72
		.amdhsa_user_sgpr_count 6
		.amdhsa_user_sgpr_private_segment_buffer 1
		.amdhsa_user_sgpr_dispatch_ptr 0
		.amdhsa_user_sgpr_queue_ptr 0
		.amdhsa_user_sgpr_kernarg_segment_ptr 1
		.amdhsa_user_sgpr_dispatch_id 0
		.amdhsa_user_sgpr_flat_scratch_init 0
		.amdhsa_user_sgpr_private_segment_size 0
		.amdhsa_uses_dynamic_stack 0
		.amdhsa_system_sgpr_private_segment_wavefront_offset 0
		.amdhsa_system_sgpr_workgroup_id_x 1
		.amdhsa_system_sgpr_workgroup_id_y 0
		.amdhsa_system_sgpr_workgroup_id_z 0
		.amdhsa_system_sgpr_workgroup_info 0
		.amdhsa_system_vgpr_workitem_id 0
		.amdhsa_next_free_vgpr 66
		.amdhsa_next_free_sgpr 16
		.amdhsa_reserve_vcc 1
		.amdhsa_reserve_flat_scratch 0
		.amdhsa_float_round_mode_32 0
		.amdhsa_float_round_mode_16_64 0
		.amdhsa_float_denorm_mode_32 3
		.amdhsa_float_denorm_mode_16_64 3
		.amdhsa_dx10_clamp 1
		.amdhsa_ieee_mode 1
		.amdhsa_fp16_overflow 0
		.amdhsa_exception_fp_ieee_invalid_op 0
		.amdhsa_exception_fp_denorm_src 0
		.amdhsa_exception_fp_ieee_div_zero 0
		.amdhsa_exception_fp_ieee_overflow 0
		.amdhsa_exception_fp_ieee_underflow 0
		.amdhsa_exception_fp_ieee_inexact 0
		.amdhsa_exception_int_div_zero 0
	.end_amdhsa_kernel
	.section	.text._ZN9rocsparseL19gebsrmvn_2xn_kernelILj128ELj15ELj64E21rocsparse_complex_numIfEEEvi20rocsparse_direction_NS_24const_host_device_scalarIT2_EEPKiS8_PKS5_SA_S6_PS5_21rocsparse_index_base_b,"axG",@progbits,_ZN9rocsparseL19gebsrmvn_2xn_kernelILj128ELj15ELj64E21rocsparse_complex_numIfEEEvi20rocsparse_direction_NS_24const_host_device_scalarIT2_EEPKiS8_PKS5_SA_S6_PS5_21rocsparse_index_base_b,comdat
.Lfunc_end221:
	.size	_ZN9rocsparseL19gebsrmvn_2xn_kernelILj128ELj15ELj64E21rocsparse_complex_numIfEEEvi20rocsparse_direction_NS_24const_host_device_scalarIT2_EEPKiS8_PKS5_SA_S6_PS5_21rocsparse_index_base_b, .Lfunc_end221-_ZN9rocsparseL19gebsrmvn_2xn_kernelILj128ELj15ELj64E21rocsparse_complex_numIfEEEvi20rocsparse_direction_NS_24const_host_device_scalarIT2_EEPKiS8_PKS5_SA_S6_PS5_21rocsparse_index_base_b
                                        ; -- End function
	.set _ZN9rocsparseL19gebsrmvn_2xn_kernelILj128ELj15ELj64E21rocsparse_complex_numIfEEEvi20rocsparse_direction_NS_24const_host_device_scalarIT2_EEPKiS8_PKS5_SA_S6_PS5_21rocsparse_index_base_b.num_vgpr, 66
	.set _ZN9rocsparseL19gebsrmvn_2xn_kernelILj128ELj15ELj64E21rocsparse_complex_numIfEEEvi20rocsparse_direction_NS_24const_host_device_scalarIT2_EEPKiS8_PKS5_SA_S6_PS5_21rocsparse_index_base_b.num_agpr, 0
	.set _ZN9rocsparseL19gebsrmvn_2xn_kernelILj128ELj15ELj64E21rocsparse_complex_numIfEEEvi20rocsparse_direction_NS_24const_host_device_scalarIT2_EEPKiS8_PKS5_SA_S6_PS5_21rocsparse_index_base_b.numbered_sgpr, 16
	.set _ZN9rocsparseL19gebsrmvn_2xn_kernelILj128ELj15ELj64E21rocsparse_complex_numIfEEEvi20rocsparse_direction_NS_24const_host_device_scalarIT2_EEPKiS8_PKS5_SA_S6_PS5_21rocsparse_index_base_b.num_named_barrier, 0
	.set _ZN9rocsparseL19gebsrmvn_2xn_kernelILj128ELj15ELj64E21rocsparse_complex_numIfEEEvi20rocsparse_direction_NS_24const_host_device_scalarIT2_EEPKiS8_PKS5_SA_S6_PS5_21rocsparse_index_base_b.private_seg_size, 0
	.set _ZN9rocsparseL19gebsrmvn_2xn_kernelILj128ELj15ELj64E21rocsparse_complex_numIfEEEvi20rocsparse_direction_NS_24const_host_device_scalarIT2_EEPKiS8_PKS5_SA_S6_PS5_21rocsparse_index_base_b.uses_vcc, 1
	.set _ZN9rocsparseL19gebsrmvn_2xn_kernelILj128ELj15ELj64E21rocsparse_complex_numIfEEEvi20rocsparse_direction_NS_24const_host_device_scalarIT2_EEPKiS8_PKS5_SA_S6_PS5_21rocsparse_index_base_b.uses_flat_scratch, 0
	.set _ZN9rocsparseL19gebsrmvn_2xn_kernelILj128ELj15ELj64E21rocsparse_complex_numIfEEEvi20rocsparse_direction_NS_24const_host_device_scalarIT2_EEPKiS8_PKS5_SA_S6_PS5_21rocsparse_index_base_b.has_dyn_sized_stack, 0
	.set _ZN9rocsparseL19gebsrmvn_2xn_kernelILj128ELj15ELj64E21rocsparse_complex_numIfEEEvi20rocsparse_direction_NS_24const_host_device_scalarIT2_EEPKiS8_PKS5_SA_S6_PS5_21rocsparse_index_base_b.has_recursion, 0
	.set _ZN9rocsparseL19gebsrmvn_2xn_kernelILj128ELj15ELj64E21rocsparse_complex_numIfEEEvi20rocsparse_direction_NS_24const_host_device_scalarIT2_EEPKiS8_PKS5_SA_S6_PS5_21rocsparse_index_base_b.has_indirect_call, 0
	.section	.AMDGPU.csdata,"",@progbits
; Kernel info:
; codeLenInByte = 2432
; TotalNumSgprs: 20
; NumVgprs: 66
; ScratchSize: 0
; MemoryBound: 0
; FloatMode: 240
; IeeeMode: 1
; LDSByteSize: 0 bytes/workgroup (compile time only)
; SGPRBlocks: 2
; VGPRBlocks: 16
; NumSGPRsForWavesPerEU: 20
; NumVGPRsForWavesPerEU: 66
; Occupancy: 3
; WaveLimiterHint : 1
; COMPUTE_PGM_RSRC2:SCRATCH_EN: 0
; COMPUTE_PGM_RSRC2:USER_SGPR: 6
; COMPUTE_PGM_RSRC2:TRAP_HANDLER: 0
; COMPUTE_PGM_RSRC2:TGID_X_EN: 1
; COMPUTE_PGM_RSRC2:TGID_Y_EN: 0
; COMPUTE_PGM_RSRC2:TGID_Z_EN: 0
; COMPUTE_PGM_RSRC2:TIDIG_COMP_CNT: 0
	.section	.text._ZN9rocsparseL19gebsrmvn_2xn_kernelILj128ELj16ELj4E21rocsparse_complex_numIfEEEvi20rocsparse_direction_NS_24const_host_device_scalarIT2_EEPKiS8_PKS5_SA_S6_PS5_21rocsparse_index_base_b,"axG",@progbits,_ZN9rocsparseL19gebsrmvn_2xn_kernelILj128ELj16ELj4E21rocsparse_complex_numIfEEEvi20rocsparse_direction_NS_24const_host_device_scalarIT2_EEPKiS8_PKS5_SA_S6_PS5_21rocsparse_index_base_b,comdat
	.globl	_ZN9rocsparseL19gebsrmvn_2xn_kernelILj128ELj16ELj4E21rocsparse_complex_numIfEEEvi20rocsparse_direction_NS_24const_host_device_scalarIT2_EEPKiS8_PKS5_SA_S6_PS5_21rocsparse_index_base_b ; -- Begin function _ZN9rocsparseL19gebsrmvn_2xn_kernelILj128ELj16ELj4E21rocsparse_complex_numIfEEEvi20rocsparse_direction_NS_24const_host_device_scalarIT2_EEPKiS8_PKS5_SA_S6_PS5_21rocsparse_index_base_b
	.p2align	8
	.type	_ZN9rocsparseL19gebsrmvn_2xn_kernelILj128ELj16ELj4E21rocsparse_complex_numIfEEEvi20rocsparse_direction_NS_24const_host_device_scalarIT2_EEPKiS8_PKS5_SA_S6_PS5_21rocsparse_index_base_b,@function
_ZN9rocsparseL19gebsrmvn_2xn_kernelILj128ELj16ELj4E21rocsparse_complex_numIfEEEvi20rocsparse_direction_NS_24const_host_device_scalarIT2_EEPKiS8_PKS5_SA_S6_PS5_21rocsparse_index_base_b: ; @_ZN9rocsparseL19gebsrmvn_2xn_kernelILj128ELj16ELj4E21rocsparse_complex_numIfEEEvi20rocsparse_direction_NS_24const_host_device_scalarIT2_EEPKiS8_PKS5_SA_S6_PS5_21rocsparse_index_base_b
; %bb.0:
	s_load_dwordx2 s[0:1], s[4:5], 0x8
	s_load_dwordx2 s[8:9], s[4:5], 0x30
	;; [unrolled: 1-line block ×3, first 2 shown]
	s_add_u32 s7, s4, 8
	s_addc_u32 s10, s5, 0
	s_add_u32 s11, s4, 48
	s_addc_u32 s12, s5, 0
	s_waitcnt lgkmcnt(0)
	s_bitcmp1_b32 s3, 0
	s_cselect_b32 s1, s10, s1
	s_cselect_b32 s0, s7, s0
	v_mov_b32_e32 v1, s0
	v_mov_b32_e32 v2, s1
	flat_load_dwordx2 v[1:2], v[1:2]
	s_cselect_b32 s0, s12, s9
	s_cselect_b32 s1, s11, s8
	v_mov_b32_e32 v3, s1
	v_mov_b32_e32 v4, s0
	flat_load_dwordx2 v[3:4], v[3:4]
	s_waitcnt vmcnt(0) lgkmcnt(0)
	v_cmp_eq_f32_e32 vcc, 0, v1
	v_cmp_eq_f32_e64 s[0:1], 0, v2
	s_and_b64 s[10:11], vcc, s[0:1]
	s_mov_b64 s[0:1], -1
	s_and_saveexec_b64 s[8:9], s[10:11]
; %bb.1:
	v_cmp_neq_f32_e32 vcc, 1.0, v3
	v_cmp_neq_f32_e64 s[0:1], 0, v4
	s_or_b64 s[0:1], vcc, s[0:1]
	s_orn2_b64 s[0:1], s[0:1], exec
; %bb.2:
	s_or_b64 exec, exec, s[8:9]
	s_and_saveexec_b64 s[8:9], s[0:1]
	s_cbranch_execz .LBB222_25
; %bb.3:
	s_load_dwordx2 s[0:1], s[4:5], 0x0
	v_lshrrev_b32_e32 v5, 2, v0
	v_lshl_or_b32 v5, s6, 5, v5
	s_waitcnt lgkmcnt(0)
	v_cmp_gt_i32_e32 vcc, s0, v5
	s_and_b64 exec, exec, vcc
	s_cbranch_execz .LBB222_25
; %bb.4:
	s_load_dwordx8 s[8:15], s[4:5], 0x10
	v_ashrrev_i32_e32 v6, 31, v5
	v_lshlrev_b64 v[6:7], 2, v[5:6]
	v_and_b32_e32 v0, 3, v0
	s_cmp_lg_u32 s1, 0
	s_waitcnt lgkmcnt(0)
	v_mov_b32_e32 v8, s9
	v_add_co_u32_e32 v6, vcc, s8, v6
	v_addc_co_u32_e32 v7, vcc, v8, v7, vcc
	global_load_dwordx2 v[6:7], v[6:7], off
	s_waitcnt vmcnt(0)
	v_subrev_u32_e32 v6, s2, v6
	v_subrev_u32_e32 v15, s2, v7
	v_add_u32_e32 v6, v6, v0
	v_cmp_lt_i32_e64 s[0:1], v6, v15
	s_cbranch_scc0 .LBB222_12
; %bb.5:
	v_mov_b32_e32 v16, 0
	v_mov_b32_e32 v19, 0
	;; [unrolled: 1-line block ×4, first 2 shown]
	s_and_saveexec_b64 s[6:7], s[0:1]
	s_cbranch_execz .LBB222_11
; %bb.6:
	s_add_u32 s3, s12, 8
	v_lshlrev_b32_e32 v7, 5, v6
	s_addc_u32 s16, s13, 0
	v_or_b32_e32 v20, 6, v7
	v_mov_b32_e32 v9, 0
	s_mov_b64 s[8:9], 0
	v_mov_b32_e32 v21, s16
	v_mov_b32_e32 v22, s11
	;; [unrolled: 1-line block ×9, first 2 shown]
.LBB222_7:                              ; =>This Loop Header: Depth=1
                                        ;     Child Loop BB222_8 Depth 2
	v_ashrrev_i32_e32 v11, 31, v10
	v_lshlrev_b64 v[11:12], 2, v[10:11]
	v_mov_b32_e32 v8, v9
	v_add_co_u32_e32 v11, vcc, s10, v11
	v_addc_co_u32_e32 v12, vcc, v22, v12, vcc
	global_load_dword v12, v[11:12], off
	v_lshlrev_b64 v[13:14], 3, v[7:8]
	v_mov_b32_e32 v11, v20
	v_add_co_u32_e32 v13, vcc, s3, v13
	v_addc_co_u32_e32 v14, vcc, v21, v14, vcc
	s_mov_b64 s[16:17], 0
	s_waitcnt vmcnt(0)
	v_subrev_u32_e32 v8, s2, v12
	v_lshlrev_b32_e32 v8, 4, v8
	v_lshlrev_b64 v[25:26], 3, v[8:9]
	v_add_co_u32_e32 v25, vcc, s14, v25
	v_addc_co_u32_e32 v26, vcc, v23, v26, vcc
.LBB222_8:                              ;   Parent Loop BB222_7 Depth=1
                                        ; =>  This Inner Loop Header: Depth=2
	v_add_u32_e32 v8, -4, v11
	v_mov_b32_e32 v31, s17
	v_add_co_u32_e32 v39, vcc, s16, v25
	v_lshlrev_b64 v[41:42], 3, v[8:9]
	v_mov_b32_e32 v12, v9
	v_addc_co_u32_e32 v40, vcc, v26, v31, vcc
	global_load_dwordx4 v[27:30], v[13:14], off offset:-8
	v_lshlrev_b64 v[43:44], 3, v[11:12]
	global_load_dwordx4 v[31:34], v[39:40], off
	global_load_dwordx4 v[35:38], v[39:40], off offset:16
	v_add_co_u32_e32 v39, vcc, s12, v41
	v_add_u32_e32 v8, -2, v11
	v_addc_co_u32_e32 v40, vcc, v24, v42, vcc
	v_lshlrev_b64 v[45:46], 3, v[8:9]
	v_add_co_u32_e32 v51, vcc, s12, v43
	v_addc_co_u32_e32 v52, vcc, v24, v44, vcc
	global_load_dwordx4 v[39:42], v[39:40], off
	v_add_co_u32_e32 v53, vcc, s12, v45
	v_addc_co_u32_e32 v54, vcc, v24, v46, vcc
	global_load_dwordx4 v[43:46], v[53:54], off
	global_load_dwordx4 v[47:50], v[51:52], off
	s_add_u32 s16, s16, 32
	v_add_co_u32_e32 v13, vcc, 64, v13
	s_addc_u32 s17, s17, 0
	v_addc_co_u32_e32 v14, vcc, 0, v14, vcc
	v_add_u32_e32 v11, 8, v11
	s_cmpk_eq_i32 s16, 0x80
	s_waitcnt vmcnt(4)
	v_fmac_f32_e32 v19, v27, v31
	v_fmac_f32_e32 v16, v28, v31
	v_fmac_f32_e32 v18, v29, v31
	v_fmac_f32_e32 v17, v30, v31
	v_fma_f32 v8, -v28, v32, v19
	v_fmac_f32_e32 v16, v27, v32
	v_fma_f32 v12, -v30, v32, v18
	v_fmac_f32_e32 v17, v29, v32
	s_waitcnt vmcnt(2)
	v_fmac_f32_e32 v8, v39, v33
	v_fmac_f32_e32 v16, v40, v33
	v_fmac_f32_e32 v12, v41, v33
	v_fmac_f32_e32 v17, v42, v33
	v_fma_f32 v8, -v40, v34, v8
	v_fmac_f32_e32 v16, v39, v34
	v_fma_f32 v12, -v42, v34, v12
	v_fmac_f32_e32 v17, v41, v34
	;; [unrolled: 9-line block ×4, first 2 shown]
	s_cbranch_scc0 .LBB222_8
; %bb.9:                                ;   in Loop: Header=BB222_7 Depth=1
	v_add_u32_e32 v10, 4, v10
	v_cmp_ge_i32_e32 vcc, v10, v15
	v_add_u32_e32 v20, 0x80, v20
	s_or_b64 s[8:9], vcc, s[8:9]
	v_add_u32_e32 v7, 0x80, v7
	s_andn2_b64 exec, exec, s[8:9]
	s_cbranch_execnz .LBB222_7
; %bb.10:
	s_or_b64 exec, exec, s[8:9]
.LBB222_11:
	s_or_b64 exec, exec, s[6:7]
	s_cbranch_execz .LBB222_13
	s_branch .LBB222_20
.LBB222_12:
                                        ; implicit-def: $vgpr16
                                        ; implicit-def: $vgpr19
                                        ; implicit-def: $vgpr18
                                        ; implicit-def: $vgpr17
.LBB222_13:
	v_mov_b32_e32 v16, 0
	v_mov_b32_e32 v19, 0
	;; [unrolled: 1-line block ×4, first 2 shown]
	s_and_saveexec_b64 s[6:7], s[0:1]
	s_cbranch_execz .LBB222_19
; %bb.14:
	v_mov_b32_e32 v9, 0
	v_lshlrev_b32_e32 v8, 5, v6
	s_mov_b64 s[8:9], 0
	v_mov_b32_e32 v10, s13
	v_mov_b32_e32 v11, s11
	;; [unrolled: 1-line block ×7, first 2 shown]
.LBB222_15:                             ; =>This Loop Header: Depth=1
                                        ;     Child Loop BB222_16 Depth 2
	v_ashrrev_i32_e32 v7, 31, v6
	v_lshlrev_b64 v[13:14], 2, v[6:7]
	v_mov_b32_e32 v21, v9
	v_add_co_u32_e32 v13, vcc, s10, v13
	v_addc_co_u32_e32 v14, vcc, v11, v14, vcc
	global_load_dword v20, v[13:14], off
	v_lshlrev_b64 v[13:14], 3, v[8:9]
	s_mov_b64 s[16:17], 0
	v_add_co_u32_e32 v7, vcc, s12, v13
	v_addc_co_u32_e32 v13, vcc, v10, v14, vcc
	s_waitcnt vmcnt(0)
	v_subrev_u32_e32 v14, s2, v20
	v_lshlrev_b32_e32 v20, 4, v14
	v_lshlrev_b64 v[20:21], 3, v[20:21]
	v_add_co_u32_e32 v14, vcc, s14, v20
	v_addc_co_u32_e32 v20, vcc, v12, v21, vcc
.LBB222_16:                             ;   Parent Loop BB222_15 Depth=1
                                        ; =>  This Inner Loop Header: Depth=2
	v_mov_b32_e32 v21, s17
	v_add_co_u32_e64 v47, s[0:1], s16, v7
	v_add_co_u32_e32 v45, vcc, s16, v14
	v_addc_co_u32_e64 v48, s[0:1], v13, v21, s[0:1]
	v_addc_co_u32_e32 v46, vcc, v20, v21, vcc
	global_load_dwordx4 v[21:24], v[47:48], off
	global_load_dwordx4 v[25:28], v[45:46], off
	global_load_dwordx4 v[29:32], v[47:48], off offset:128
	global_load_dwordx4 v[33:36], v[47:48], off offset:16
	;; [unrolled: 1-line block ×4, first 2 shown]
	s_add_u32 s16, s16, 32
	s_addc_u32 s17, s17, 0
	s_cmpk_eq_i32 s16, 0x80
	s_waitcnt vmcnt(4)
	v_fmac_f32_e32 v19, v21, v25
	v_fmac_f32_e32 v16, v22, v25
	s_waitcnt vmcnt(3)
	v_fmac_f32_e32 v18, v29, v25
	v_fmac_f32_e32 v17, v30, v25
	v_fma_f32 v19, -v22, v26, v19
	v_fmac_f32_e32 v16, v21, v26
	v_fma_f32 v18, -v30, v26, v18
	v_fmac_f32_e32 v17, v29, v26
	v_fmac_f32_e32 v19, v23, v27
	;; [unrolled: 1-line block ×5, first 2 shown]
	v_fma_f32 v19, -v24, v28, v19
	v_fmac_f32_e32 v16, v23, v28
	v_fma_f32 v18, -v32, v28, v18
	v_fmac_f32_e32 v17, v31, v28
	s_waitcnt vmcnt(1)
	v_fmac_f32_e32 v19, v33, v37
	v_fmac_f32_e32 v16, v34, v37
	s_waitcnt vmcnt(0)
	v_fmac_f32_e32 v18, v41, v37
	v_fmac_f32_e32 v17, v42, v37
	v_fma_f32 v19, -v34, v38, v19
	v_fmac_f32_e32 v16, v33, v38
	v_fma_f32 v18, -v42, v38, v18
	v_fmac_f32_e32 v17, v41, v38
	v_fmac_f32_e32 v19, v35, v39
	;; [unrolled: 1-line block ×5, first 2 shown]
	v_fma_f32 v19, -v36, v40, v19
	v_fmac_f32_e32 v16, v35, v40
	v_fma_f32 v18, -v44, v40, v18
	v_fmac_f32_e32 v17, v43, v40
	s_cbranch_scc0 .LBB222_16
; %bb.17:                               ;   in Loop: Header=BB222_15 Depth=1
	v_add_u32_e32 v6, 4, v6
	v_cmp_ge_i32_e32 vcc, v6, v15
	s_or_b64 s[8:9], vcc, s[8:9]
	v_add_u32_e32 v8, 0x80, v8
	s_andn2_b64 exec, exec, s[8:9]
	s_cbranch_execnz .LBB222_15
; %bb.18:
	s_or_b64 exec, exec, s[8:9]
.LBB222_19:
	s_or_b64 exec, exec, s[6:7]
.LBB222_20:
	v_mov_b32_dpp v6, v19 row_shr:1 row_mask:0xf bank_mask:0xf
	v_mov_b32_dpp v8, v16 row_shr:1 row_mask:0xf bank_mask:0xf
	;; [unrolled: 1-line block ×4, first 2 shown]
	v_add_f32_e32 v6, v19, v6
	v_add_f32_e32 v8, v16, v8
	;; [unrolled: 1-line block ×4, first 2 shown]
	v_mov_b32_dpp v7, v6 row_shr:2 row_mask:0xf bank_mask:0xf
	v_mov_b32_dpp v9, v8 row_shr:2 row_mask:0xf bank_mask:0xf
	;; [unrolled: 1-line block ×4, first 2 shown]
	v_cmp_eq_u32_e32 vcc, 3, v0
	s_and_b64 exec, exec, vcc
	s_cbranch_execz .LBB222_25
; %bb.21:
	s_load_dwordx2 s[2:3], s[4:5], 0x38
	v_cmp_eq_f32_e32 vcc, 0, v3
	v_cmp_eq_f32_e64 s[0:1], 0, v4
	v_add_f32_e32 v7, v6, v7
	v_add_f32_e32 v8, v8, v9
	;; [unrolled: 1-line block ×4, first 2 shown]
	s_and_b64 s[0:1], vcc, s[0:1]
	s_and_saveexec_b64 s[4:5], s[0:1]
	s_xor_b64 s[0:1], exec, s[4:5]
	s_cbranch_execz .LBB222_23
; %bb.22:
	v_mul_f32_e64 v3, v8, -v2
	v_mul_f32_e32 v4, v1, v8
	v_fmac_f32_e32 v3, v1, v7
	v_fmac_f32_e32 v4, v2, v7
	v_lshlrev_b32_e32 v7, 1, v5
	v_ashrrev_i32_e32 v8, 31, v7
	v_lshlrev_b64 v[7:8], 3, v[7:8]
	s_waitcnt lgkmcnt(0)
	v_mov_b32_e32 v5, s3
	v_add_co_u32_e32 v7, vcc, s2, v7
	v_addc_co_u32_e32 v8, vcc, v5, v8, vcc
	v_mul_f32_e64 v5, v6, -v2
	v_mul_f32_e32 v6, v1, v6
	v_fmac_f32_e32 v5, v1, v0
	v_fmac_f32_e32 v6, v2, v0
	global_store_dwordx4 v[7:8], v[3:6], off
                                        ; implicit-def: $vgpr5
                                        ; implicit-def: $vgpr1_vgpr2
                                        ; implicit-def: $vgpr8
                                        ; implicit-def: $vgpr7
                                        ; implicit-def: $vgpr3_vgpr4
                                        ; implicit-def: $vgpr6
                                        ; implicit-def: $vgpr0
.LBB222_23:
	s_andn2_saveexec_b64 s[0:1], s[0:1]
	s_cbranch_execz .LBB222_25
; %bb.24:
	v_lshlrev_b32_e32 v9, 1, v5
	v_ashrrev_i32_e32 v10, 31, v9
	v_lshlrev_b64 v[9:10], 3, v[9:10]
	s_waitcnt lgkmcnt(0)
	v_mov_b32_e32 v5, s3
	v_add_co_u32_e32 v17, vcc, s2, v9
	v_addc_co_u32_e32 v18, vcc, v5, v10, vcc
	global_load_dwordx4 v[9:12], v[17:18], off
	v_mul_f32_e64 v5, v8, -v2
	v_mul_f32_e32 v14, v1, v8
	v_mul_f32_e64 v8, v6, -v2
	v_mul_f32_e32 v16, v1, v6
	v_fmac_f32_e32 v5, v1, v7
	v_fmac_f32_e32 v14, v2, v7
	;; [unrolled: 1-line block ×4, first 2 shown]
	s_waitcnt vmcnt(0)
	v_fmac_f32_e32 v5, v3, v9
	v_fmac_f32_e32 v14, v4, v9
	v_fmac_f32_e32 v8, v3, v11
	v_fmac_f32_e32 v16, v4, v11
	v_fma_f32 v13, -v4, v10, v5
	v_fmac_f32_e32 v14, v3, v10
	v_fma_f32 v15, -v4, v12, v8
	v_fmac_f32_e32 v16, v3, v12
	global_store_dwordx4 v[17:18], v[13:16], off
.LBB222_25:
	s_endpgm
	.section	.rodata,"a",@progbits
	.p2align	6, 0x0
	.amdhsa_kernel _ZN9rocsparseL19gebsrmvn_2xn_kernelILj128ELj16ELj4E21rocsparse_complex_numIfEEEvi20rocsparse_direction_NS_24const_host_device_scalarIT2_EEPKiS8_PKS5_SA_S6_PS5_21rocsparse_index_base_b
		.amdhsa_group_segment_fixed_size 0
		.amdhsa_private_segment_fixed_size 0
		.amdhsa_kernarg_size 72
		.amdhsa_user_sgpr_count 6
		.amdhsa_user_sgpr_private_segment_buffer 1
		.amdhsa_user_sgpr_dispatch_ptr 0
		.amdhsa_user_sgpr_queue_ptr 0
		.amdhsa_user_sgpr_kernarg_segment_ptr 1
		.amdhsa_user_sgpr_dispatch_id 0
		.amdhsa_user_sgpr_flat_scratch_init 0
		.amdhsa_user_sgpr_private_segment_size 0
		.amdhsa_uses_dynamic_stack 0
		.amdhsa_system_sgpr_private_segment_wavefront_offset 0
		.amdhsa_system_sgpr_workgroup_id_x 1
		.amdhsa_system_sgpr_workgroup_id_y 0
		.amdhsa_system_sgpr_workgroup_id_z 0
		.amdhsa_system_sgpr_workgroup_info 0
		.amdhsa_system_vgpr_workitem_id 0
		.amdhsa_next_free_vgpr 55
		.amdhsa_next_free_sgpr 18
		.amdhsa_reserve_vcc 1
		.amdhsa_reserve_flat_scratch 0
		.amdhsa_float_round_mode_32 0
		.amdhsa_float_round_mode_16_64 0
		.amdhsa_float_denorm_mode_32 3
		.amdhsa_float_denorm_mode_16_64 3
		.amdhsa_dx10_clamp 1
		.amdhsa_ieee_mode 1
		.amdhsa_fp16_overflow 0
		.amdhsa_exception_fp_ieee_invalid_op 0
		.amdhsa_exception_fp_denorm_src 0
		.amdhsa_exception_fp_ieee_div_zero 0
		.amdhsa_exception_fp_ieee_overflow 0
		.amdhsa_exception_fp_ieee_underflow 0
		.amdhsa_exception_fp_ieee_inexact 0
		.amdhsa_exception_int_div_zero 0
	.end_amdhsa_kernel
	.section	.text._ZN9rocsparseL19gebsrmvn_2xn_kernelILj128ELj16ELj4E21rocsparse_complex_numIfEEEvi20rocsparse_direction_NS_24const_host_device_scalarIT2_EEPKiS8_PKS5_SA_S6_PS5_21rocsparse_index_base_b,"axG",@progbits,_ZN9rocsparseL19gebsrmvn_2xn_kernelILj128ELj16ELj4E21rocsparse_complex_numIfEEEvi20rocsparse_direction_NS_24const_host_device_scalarIT2_EEPKiS8_PKS5_SA_S6_PS5_21rocsparse_index_base_b,comdat
.Lfunc_end222:
	.size	_ZN9rocsparseL19gebsrmvn_2xn_kernelILj128ELj16ELj4E21rocsparse_complex_numIfEEEvi20rocsparse_direction_NS_24const_host_device_scalarIT2_EEPKiS8_PKS5_SA_S6_PS5_21rocsparse_index_base_b, .Lfunc_end222-_ZN9rocsparseL19gebsrmvn_2xn_kernelILj128ELj16ELj4E21rocsparse_complex_numIfEEEvi20rocsparse_direction_NS_24const_host_device_scalarIT2_EEPKiS8_PKS5_SA_S6_PS5_21rocsparse_index_base_b
                                        ; -- End function
	.set _ZN9rocsparseL19gebsrmvn_2xn_kernelILj128ELj16ELj4E21rocsparse_complex_numIfEEEvi20rocsparse_direction_NS_24const_host_device_scalarIT2_EEPKiS8_PKS5_SA_S6_PS5_21rocsparse_index_base_b.num_vgpr, 55
	.set _ZN9rocsparseL19gebsrmvn_2xn_kernelILj128ELj16ELj4E21rocsparse_complex_numIfEEEvi20rocsparse_direction_NS_24const_host_device_scalarIT2_EEPKiS8_PKS5_SA_S6_PS5_21rocsparse_index_base_b.num_agpr, 0
	.set _ZN9rocsparseL19gebsrmvn_2xn_kernelILj128ELj16ELj4E21rocsparse_complex_numIfEEEvi20rocsparse_direction_NS_24const_host_device_scalarIT2_EEPKiS8_PKS5_SA_S6_PS5_21rocsparse_index_base_b.numbered_sgpr, 18
	.set _ZN9rocsparseL19gebsrmvn_2xn_kernelILj128ELj16ELj4E21rocsparse_complex_numIfEEEvi20rocsparse_direction_NS_24const_host_device_scalarIT2_EEPKiS8_PKS5_SA_S6_PS5_21rocsparse_index_base_b.num_named_barrier, 0
	.set _ZN9rocsparseL19gebsrmvn_2xn_kernelILj128ELj16ELj4E21rocsparse_complex_numIfEEEvi20rocsparse_direction_NS_24const_host_device_scalarIT2_EEPKiS8_PKS5_SA_S6_PS5_21rocsparse_index_base_b.private_seg_size, 0
	.set _ZN9rocsparseL19gebsrmvn_2xn_kernelILj128ELj16ELj4E21rocsparse_complex_numIfEEEvi20rocsparse_direction_NS_24const_host_device_scalarIT2_EEPKiS8_PKS5_SA_S6_PS5_21rocsparse_index_base_b.uses_vcc, 1
	.set _ZN9rocsparseL19gebsrmvn_2xn_kernelILj128ELj16ELj4E21rocsparse_complex_numIfEEEvi20rocsparse_direction_NS_24const_host_device_scalarIT2_EEPKiS8_PKS5_SA_S6_PS5_21rocsparse_index_base_b.uses_flat_scratch, 0
	.set _ZN9rocsparseL19gebsrmvn_2xn_kernelILj128ELj16ELj4E21rocsparse_complex_numIfEEEvi20rocsparse_direction_NS_24const_host_device_scalarIT2_EEPKiS8_PKS5_SA_S6_PS5_21rocsparse_index_base_b.has_dyn_sized_stack, 0
	.set _ZN9rocsparseL19gebsrmvn_2xn_kernelILj128ELj16ELj4E21rocsparse_complex_numIfEEEvi20rocsparse_direction_NS_24const_host_device_scalarIT2_EEPKiS8_PKS5_SA_S6_PS5_21rocsparse_index_base_b.has_recursion, 0
	.set _ZN9rocsparseL19gebsrmvn_2xn_kernelILj128ELj16ELj4E21rocsparse_complex_numIfEEEvi20rocsparse_direction_NS_24const_host_device_scalarIT2_EEPKiS8_PKS5_SA_S6_PS5_21rocsparse_index_base_b.has_indirect_call, 0
	.section	.AMDGPU.csdata,"",@progbits
; Kernel info:
; codeLenInByte = 1632
; TotalNumSgprs: 22
; NumVgprs: 55
; ScratchSize: 0
; MemoryBound: 0
; FloatMode: 240
; IeeeMode: 1
; LDSByteSize: 0 bytes/workgroup (compile time only)
; SGPRBlocks: 2
; VGPRBlocks: 13
; NumSGPRsForWavesPerEU: 22
; NumVGPRsForWavesPerEU: 55
; Occupancy: 4
; WaveLimiterHint : 1
; COMPUTE_PGM_RSRC2:SCRATCH_EN: 0
; COMPUTE_PGM_RSRC2:USER_SGPR: 6
; COMPUTE_PGM_RSRC2:TRAP_HANDLER: 0
; COMPUTE_PGM_RSRC2:TGID_X_EN: 1
; COMPUTE_PGM_RSRC2:TGID_Y_EN: 0
; COMPUTE_PGM_RSRC2:TGID_Z_EN: 0
; COMPUTE_PGM_RSRC2:TIDIG_COMP_CNT: 0
	.section	.text._ZN9rocsparseL19gebsrmvn_2xn_kernelILj128ELj16ELj8E21rocsparse_complex_numIfEEEvi20rocsparse_direction_NS_24const_host_device_scalarIT2_EEPKiS8_PKS5_SA_S6_PS5_21rocsparse_index_base_b,"axG",@progbits,_ZN9rocsparseL19gebsrmvn_2xn_kernelILj128ELj16ELj8E21rocsparse_complex_numIfEEEvi20rocsparse_direction_NS_24const_host_device_scalarIT2_EEPKiS8_PKS5_SA_S6_PS5_21rocsparse_index_base_b,comdat
	.globl	_ZN9rocsparseL19gebsrmvn_2xn_kernelILj128ELj16ELj8E21rocsparse_complex_numIfEEEvi20rocsparse_direction_NS_24const_host_device_scalarIT2_EEPKiS8_PKS5_SA_S6_PS5_21rocsparse_index_base_b ; -- Begin function _ZN9rocsparseL19gebsrmvn_2xn_kernelILj128ELj16ELj8E21rocsparse_complex_numIfEEEvi20rocsparse_direction_NS_24const_host_device_scalarIT2_EEPKiS8_PKS5_SA_S6_PS5_21rocsparse_index_base_b
	.p2align	8
	.type	_ZN9rocsparseL19gebsrmvn_2xn_kernelILj128ELj16ELj8E21rocsparse_complex_numIfEEEvi20rocsparse_direction_NS_24const_host_device_scalarIT2_EEPKiS8_PKS5_SA_S6_PS5_21rocsparse_index_base_b,@function
_ZN9rocsparseL19gebsrmvn_2xn_kernelILj128ELj16ELj8E21rocsparse_complex_numIfEEEvi20rocsparse_direction_NS_24const_host_device_scalarIT2_EEPKiS8_PKS5_SA_S6_PS5_21rocsparse_index_base_b: ; @_ZN9rocsparseL19gebsrmvn_2xn_kernelILj128ELj16ELj8E21rocsparse_complex_numIfEEEvi20rocsparse_direction_NS_24const_host_device_scalarIT2_EEPKiS8_PKS5_SA_S6_PS5_21rocsparse_index_base_b
; %bb.0:
	s_load_dwordx2 s[0:1], s[4:5], 0x8
	s_load_dwordx2 s[8:9], s[4:5], 0x30
	;; [unrolled: 1-line block ×3, first 2 shown]
	s_add_u32 s7, s4, 8
	s_addc_u32 s10, s5, 0
	s_add_u32 s11, s4, 48
	s_addc_u32 s12, s5, 0
	s_waitcnt lgkmcnt(0)
	s_bitcmp1_b32 s3, 0
	s_cselect_b32 s1, s10, s1
	s_cselect_b32 s0, s7, s0
	v_mov_b32_e32 v1, s0
	v_mov_b32_e32 v2, s1
	flat_load_dwordx2 v[1:2], v[1:2]
	s_cselect_b32 s0, s12, s9
	s_cselect_b32 s1, s11, s8
	v_mov_b32_e32 v3, s1
	v_mov_b32_e32 v4, s0
	flat_load_dwordx2 v[3:4], v[3:4]
	s_waitcnt vmcnt(0) lgkmcnt(0)
	v_cmp_eq_f32_e32 vcc, 0, v1
	v_cmp_eq_f32_e64 s[0:1], 0, v2
	s_and_b64 s[10:11], vcc, s[0:1]
	s_mov_b64 s[0:1], -1
	s_and_saveexec_b64 s[8:9], s[10:11]
; %bb.1:
	v_cmp_neq_f32_e32 vcc, 1.0, v3
	v_cmp_neq_f32_e64 s[0:1], 0, v4
	s_or_b64 s[0:1], vcc, s[0:1]
	s_orn2_b64 s[0:1], s[0:1], exec
; %bb.2:
	s_or_b64 exec, exec, s[8:9]
	s_and_saveexec_b64 s[8:9], s[0:1]
	s_cbranch_execz .LBB223_25
; %bb.3:
	s_load_dwordx2 s[0:1], s[4:5], 0x0
	v_lshrrev_b32_e32 v5, 3, v0
	v_lshl_or_b32 v5, s6, 4, v5
	s_waitcnt lgkmcnt(0)
	v_cmp_gt_i32_e32 vcc, s0, v5
	s_and_b64 exec, exec, vcc
	s_cbranch_execz .LBB223_25
; %bb.4:
	s_load_dwordx8 s[8:15], s[4:5], 0x10
	v_ashrrev_i32_e32 v6, 31, v5
	v_lshlrev_b64 v[6:7], 2, v[5:6]
	v_and_b32_e32 v0, 7, v0
	s_cmp_lg_u32 s1, 0
	s_waitcnt lgkmcnt(0)
	v_mov_b32_e32 v8, s9
	v_add_co_u32_e32 v6, vcc, s8, v6
	v_addc_co_u32_e32 v7, vcc, v8, v7, vcc
	global_load_dwordx2 v[6:7], v[6:7], off
	s_waitcnt vmcnt(0)
	v_subrev_u32_e32 v6, s2, v6
	v_subrev_u32_e32 v15, s2, v7
	v_add_u32_e32 v6, v6, v0
	v_cmp_lt_i32_e64 s[0:1], v6, v15
	s_cbranch_scc0 .LBB223_12
; %bb.5:
	v_mov_b32_e32 v16, 0
	v_mov_b32_e32 v19, 0
	v_mov_b32_e32 v18, 0
	v_mov_b32_e32 v17, 0
	s_and_saveexec_b64 s[6:7], s[0:1]
	s_cbranch_execz .LBB223_11
; %bb.6:
	s_add_u32 s3, s12, 8
	v_lshlrev_b32_e32 v7, 5, v6
	s_addc_u32 s16, s13, 0
	v_or_b32_e32 v20, 6, v7
	v_mov_b32_e32 v9, 0
	s_mov_b64 s[8:9], 0
	v_mov_b32_e32 v21, s16
	v_mov_b32_e32 v22, s11
	;; [unrolled: 1-line block ×9, first 2 shown]
.LBB223_7:                              ; =>This Loop Header: Depth=1
                                        ;     Child Loop BB223_8 Depth 2
	v_ashrrev_i32_e32 v11, 31, v10
	v_lshlrev_b64 v[11:12], 2, v[10:11]
	v_mov_b32_e32 v8, v9
	v_add_co_u32_e32 v11, vcc, s10, v11
	v_addc_co_u32_e32 v12, vcc, v22, v12, vcc
	global_load_dword v12, v[11:12], off
	v_lshlrev_b64 v[13:14], 3, v[7:8]
	v_mov_b32_e32 v11, v20
	v_add_co_u32_e32 v13, vcc, s3, v13
	v_addc_co_u32_e32 v14, vcc, v21, v14, vcc
	s_mov_b64 s[16:17], 0
	s_waitcnt vmcnt(0)
	v_subrev_u32_e32 v8, s2, v12
	v_lshlrev_b32_e32 v8, 4, v8
	v_lshlrev_b64 v[25:26], 3, v[8:9]
	v_add_co_u32_e32 v25, vcc, s14, v25
	v_addc_co_u32_e32 v26, vcc, v23, v26, vcc
.LBB223_8:                              ;   Parent Loop BB223_7 Depth=1
                                        ; =>  This Inner Loop Header: Depth=2
	v_add_u32_e32 v8, -4, v11
	v_mov_b32_e32 v31, s17
	v_add_co_u32_e32 v39, vcc, s16, v25
	v_lshlrev_b64 v[41:42], 3, v[8:9]
	v_mov_b32_e32 v12, v9
	v_addc_co_u32_e32 v40, vcc, v26, v31, vcc
	global_load_dwordx4 v[27:30], v[13:14], off offset:-8
	v_lshlrev_b64 v[43:44], 3, v[11:12]
	global_load_dwordx4 v[31:34], v[39:40], off
	global_load_dwordx4 v[35:38], v[39:40], off offset:16
	v_add_co_u32_e32 v39, vcc, s12, v41
	v_add_u32_e32 v8, -2, v11
	v_addc_co_u32_e32 v40, vcc, v24, v42, vcc
	v_lshlrev_b64 v[45:46], 3, v[8:9]
	v_add_co_u32_e32 v51, vcc, s12, v43
	v_addc_co_u32_e32 v52, vcc, v24, v44, vcc
	global_load_dwordx4 v[39:42], v[39:40], off
	v_add_co_u32_e32 v53, vcc, s12, v45
	v_addc_co_u32_e32 v54, vcc, v24, v46, vcc
	global_load_dwordx4 v[43:46], v[53:54], off
	global_load_dwordx4 v[47:50], v[51:52], off
	s_add_u32 s16, s16, 32
	v_add_co_u32_e32 v13, vcc, 64, v13
	s_addc_u32 s17, s17, 0
	v_addc_co_u32_e32 v14, vcc, 0, v14, vcc
	v_add_u32_e32 v11, 8, v11
	s_cmpk_eq_i32 s16, 0x80
	s_waitcnt vmcnt(4)
	v_fmac_f32_e32 v19, v27, v31
	v_fmac_f32_e32 v16, v28, v31
	v_fmac_f32_e32 v18, v29, v31
	v_fmac_f32_e32 v17, v30, v31
	v_fma_f32 v8, -v28, v32, v19
	v_fmac_f32_e32 v16, v27, v32
	v_fma_f32 v12, -v30, v32, v18
	v_fmac_f32_e32 v17, v29, v32
	s_waitcnt vmcnt(2)
	v_fmac_f32_e32 v8, v39, v33
	v_fmac_f32_e32 v16, v40, v33
	v_fmac_f32_e32 v12, v41, v33
	v_fmac_f32_e32 v17, v42, v33
	v_fma_f32 v8, -v40, v34, v8
	v_fmac_f32_e32 v16, v39, v34
	v_fma_f32 v12, -v42, v34, v12
	v_fmac_f32_e32 v17, v41, v34
	;; [unrolled: 9-line block ×4, first 2 shown]
	s_cbranch_scc0 .LBB223_8
; %bb.9:                                ;   in Loop: Header=BB223_7 Depth=1
	v_add_u32_e32 v10, 8, v10
	v_cmp_ge_i32_e32 vcc, v10, v15
	v_add_u32_e32 v20, 0x100, v20
	s_or_b64 s[8:9], vcc, s[8:9]
	v_add_u32_e32 v7, 0x100, v7
	s_andn2_b64 exec, exec, s[8:9]
	s_cbranch_execnz .LBB223_7
; %bb.10:
	s_or_b64 exec, exec, s[8:9]
.LBB223_11:
	s_or_b64 exec, exec, s[6:7]
	s_cbranch_execz .LBB223_13
	s_branch .LBB223_20
.LBB223_12:
                                        ; implicit-def: $vgpr16
                                        ; implicit-def: $vgpr19
                                        ; implicit-def: $vgpr18
                                        ; implicit-def: $vgpr17
.LBB223_13:
	v_mov_b32_e32 v16, 0
	v_mov_b32_e32 v19, 0
	;; [unrolled: 1-line block ×4, first 2 shown]
	s_and_saveexec_b64 s[6:7], s[0:1]
	s_cbranch_execz .LBB223_19
; %bb.14:
	v_mov_b32_e32 v9, 0
	v_lshlrev_b32_e32 v8, 5, v6
	s_mov_b64 s[8:9], 0
	v_mov_b32_e32 v10, s13
	v_mov_b32_e32 v11, s11
	;; [unrolled: 1-line block ×7, first 2 shown]
.LBB223_15:                             ; =>This Loop Header: Depth=1
                                        ;     Child Loop BB223_16 Depth 2
	v_ashrrev_i32_e32 v7, 31, v6
	v_lshlrev_b64 v[13:14], 2, v[6:7]
	v_mov_b32_e32 v21, v9
	v_add_co_u32_e32 v13, vcc, s10, v13
	v_addc_co_u32_e32 v14, vcc, v11, v14, vcc
	global_load_dword v20, v[13:14], off
	v_lshlrev_b64 v[13:14], 3, v[8:9]
	s_mov_b64 s[16:17], 0
	v_add_co_u32_e32 v7, vcc, s12, v13
	v_addc_co_u32_e32 v13, vcc, v10, v14, vcc
	s_waitcnt vmcnt(0)
	v_subrev_u32_e32 v14, s2, v20
	v_lshlrev_b32_e32 v20, 4, v14
	v_lshlrev_b64 v[20:21], 3, v[20:21]
	v_add_co_u32_e32 v14, vcc, s14, v20
	v_addc_co_u32_e32 v20, vcc, v12, v21, vcc
.LBB223_16:                             ;   Parent Loop BB223_15 Depth=1
                                        ; =>  This Inner Loop Header: Depth=2
	v_mov_b32_e32 v21, s17
	v_add_co_u32_e64 v47, s[0:1], s16, v7
	v_add_co_u32_e32 v45, vcc, s16, v14
	v_addc_co_u32_e64 v48, s[0:1], v13, v21, s[0:1]
	v_addc_co_u32_e32 v46, vcc, v20, v21, vcc
	global_load_dwordx4 v[21:24], v[47:48], off
	global_load_dwordx4 v[25:28], v[45:46], off
	global_load_dwordx4 v[29:32], v[47:48], off offset:128
	global_load_dwordx4 v[33:36], v[47:48], off offset:16
	;; [unrolled: 1-line block ×4, first 2 shown]
	s_add_u32 s16, s16, 32
	s_addc_u32 s17, s17, 0
	s_cmpk_eq_i32 s16, 0x80
	s_waitcnt vmcnt(4)
	v_fmac_f32_e32 v19, v21, v25
	v_fmac_f32_e32 v16, v22, v25
	s_waitcnt vmcnt(3)
	v_fmac_f32_e32 v18, v29, v25
	v_fmac_f32_e32 v17, v30, v25
	v_fma_f32 v19, -v22, v26, v19
	v_fmac_f32_e32 v16, v21, v26
	v_fma_f32 v18, -v30, v26, v18
	v_fmac_f32_e32 v17, v29, v26
	v_fmac_f32_e32 v19, v23, v27
	;; [unrolled: 1-line block ×5, first 2 shown]
	v_fma_f32 v19, -v24, v28, v19
	v_fmac_f32_e32 v16, v23, v28
	v_fma_f32 v18, -v32, v28, v18
	v_fmac_f32_e32 v17, v31, v28
	s_waitcnt vmcnt(1)
	v_fmac_f32_e32 v19, v33, v37
	v_fmac_f32_e32 v16, v34, v37
	s_waitcnt vmcnt(0)
	v_fmac_f32_e32 v18, v41, v37
	v_fmac_f32_e32 v17, v42, v37
	v_fma_f32 v19, -v34, v38, v19
	v_fmac_f32_e32 v16, v33, v38
	v_fma_f32 v18, -v42, v38, v18
	v_fmac_f32_e32 v17, v41, v38
	v_fmac_f32_e32 v19, v35, v39
	;; [unrolled: 1-line block ×5, first 2 shown]
	v_fma_f32 v19, -v36, v40, v19
	v_fmac_f32_e32 v16, v35, v40
	v_fma_f32 v18, -v44, v40, v18
	v_fmac_f32_e32 v17, v43, v40
	s_cbranch_scc0 .LBB223_16
; %bb.17:                               ;   in Loop: Header=BB223_15 Depth=1
	v_add_u32_e32 v6, 8, v6
	v_cmp_ge_i32_e32 vcc, v6, v15
	s_or_b64 s[8:9], vcc, s[8:9]
	v_add_u32_e32 v8, 0x100, v8
	s_andn2_b64 exec, exec, s[8:9]
	s_cbranch_execnz .LBB223_15
; %bb.18:
	s_or_b64 exec, exec, s[8:9]
.LBB223_19:
	s_or_b64 exec, exec, s[6:7]
.LBB223_20:
	v_mov_b32_dpp v6, v19 row_shr:1 row_mask:0xf bank_mask:0xf
	v_mov_b32_dpp v8, v16 row_shr:1 row_mask:0xf bank_mask:0xf
	;; [unrolled: 1-line block ×4, first 2 shown]
	v_add_f32_e32 v6, v19, v6
	v_add_f32_e32 v8, v16, v8
	;; [unrolled: 1-line block ×4, first 2 shown]
	v_mov_b32_dpp v7, v6 row_shr:2 row_mask:0xf bank_mask:0xf
	v_mov_b32_dpp v9, v8 row_shr:2 row_mask:0xf bank_mask:0xf
	;; [unrolled: 1-line block ×4, first 2 shown]
	v_add_f32_e32 v6, v6, v7
	v_add_f32_e32 v8, v8, v9
	;; [unrolled: 1-line block ×4, first 2 shown]
	v_mov_b32_dpp v7, v6 row_shr:4 row_mask:0xf bank_mask:0xe
	v_mov_b32_dpp v9, v8 row_shr:4 row_mask:0xf bank_mask:0xe
	;; [unrolled: 1-line block ×4, first 2 shown]
	v_cmp_eq_u32_e32 vcc, 7, v0
	s_and_b64 exec, exec, vcc
	s_cbranch_execz .LBB223_25
; %bb.21:
	s_load_dwordx2 s[2:3], s[4:5], 0x38
	v_cmp_eq_f32_e32 vcc, 0, v3
	v_cmp_eq_f32_e64 s[0:1], 0, v4
	v_add_f32_e32 v7, v6, v7
	v_add_f32_e32 v8, v8, v9
	;; [unrolled: 1-line block ×4, first 2 shown]
	s_and_b64 s[0:1], vcc, s[0:1]
	s_and_saveexec_b64 s[4:5], s[0:1]
	s_xor_b64 s[0:1], exec, s[4:5]
	s_cbranch_execz .LBB223_23
; %bb.22:
	v_mul_f32_e64 v3, v8, -v2
	v_mul_f32_e32 v4, v1, v8
	v_fmac_f32_e32 v3, v1, v7
	v_fmac_f32_e32 v4, v2, v7
	v_lshlrev_b32_e32 v7, 1, v5
	v_ashrrev_i32_e32 v8, 31, v7
	v_lshlrev_b64 v[7:8], 3, v[7:8]
	s_waitcnt lgkmcnt(0)
	v_mov_b32_e32 v5, s3
	v_add_co_u32_e32 v7, vcc, s2, v7
	v_addc_co_u32_e32 v8, vcc, v5, v8, vcc
	v_mul_f32_e64 v5, v6, -v2
	v_mul_f32_e32 v6, v1, v6
	v_fmac_f32_e32 v5, v1, v0
	v_fmac_f32_e32 v6, v2, v0
	global_store_dwordx4 v[7:8], v[3:6], off
                                        ; implicit-def: $vgpr5
                                        ; implicit-def: $vgpr1_vgpr2
                                        ; implicit-def: $vgpr8
                                        ; implicit-def: $vgpr7
                                        ; implicit-def: $vgpr3_vgpr4
                                        ; implicit-def: $vgpr6
                                        ; implicit-def: $vgpr0
.LBB223_23:
	s_andn2_saveexec_b64 s[0:1], s[0:1]
	s_cbranch_execz .LBB223_25
; %bb.24:
	v_lshlrev_b32_e32 v9, 1, v5
	v_ashrrev_i32_e32 v10, 31, v9
	v_lshlrev_b64 v[9:10], 3, v[9:10]
	s_waitcnt lgkmcnt(0)
	v_mov_b32_e32 v5, s3
	v_add_co_u32_e32 v17, vcc, s2, v9
	v_addc_co_u32_e32 v18, vcc, v5, v10, vcc
	global_load_dwordx4 v[9:12], v[17:18], off
	v_mul_f32_e64 v5, v8, -v2
	v_mul_f32_e32 v14, v1, v8
	v_mul_f32_e64 v8, v6, -v2
	v_mul_f32_e32 v16, v1, v6
	v_fmac_f32_e32 v5, v1, v7
	v_fmac_f32_e32 v14, v2, v7
	;; [unrolled: 1-line block ×4, first 2 shown]
	s_waitcnt vmcnt(0)
	v_fmac_f32_e32 v5, v3, v9
	v_fmac_f32_e32 v14, v4, v9
	;; [unrolled: 1-line block ×4, first 2 shown]
	v_fma_f32 v13, -v4, v10, v5
	v_fmac_f32_e32 v14, v3, v10
	v_fma_f32 v15, -v4, v12, v8
	v_fmac_f32_e32 v16, v3, v12
	global_store_dwordx4 v[17:18], v[13:16], off
.LBB223_25:
	s_endpgm
	.section	.rodata,"a",@progbits
	.p2align	6, 0x0
	.amdhsa_kernel _ZN9rocsparseL19gebsrmvn_2xn_kernelILj128ELj16ELj8E21rocsparse_complex_numIfEEEvi20rocsparse_direction_NS_24const_host_device_scalarIT2_EEPKiS8_PKS5_SA_S6_PS5_21rocsparse_index_base_b
		.amdhsa_group_segment_fixed_size 0
		.amdhsa_private_segment_fixed_size 0
		.amdhsa_kernarg_size 72
		.amdhsa_user_sgpr_count 6
		.amdhsa_user_sgpr_private_segment_buffer 1
		.amdhsa_user_sgpr_dispatch_ptr 0
		.amdhsa_user_sgpr_queue_ptr 0
		.amdhsa_user_sgpr_kernarg_segment_ptr 1
		.amdhsa_user_sgpr_dispatch_id 0
		.amdhsa_user_sgpr_flat_scratch_init 0
		.amdhsa_user_sgpr_private_segment_size 0
		.amdhsa_uses_dynamic_stack 0
		.amdhsa_system_sgpr_private_segment_wavefront_offset 0
		.amdhsa_system_sgpr_workgroup_id_x 1
		.amdhsa_system_sgpr_workgroup_id_y 0
		.amdhsa_system_sgpr_workgroup_id_z 0
		.amdhsa_system_sgpr_workgroup_info 0
		.amdhsa_system_vgpr_workitem_id 0
		.amdhsa_next_free_vgpr 55
		.amdhsa_next_free_sgpr 18
		.amdhsa_reserve_vcc 1
		.amdhsa_reserve_flat_scratch 0
		.amdhsa_float_round_mode_32 0
		.amdhsa_float_round_mode_16_64 0
		.amdhsa_float_denorm_mode_32 3
		.amdhsa_float_denorm_mode_16_64 3
		.amdhsa_dx10_clamp 1
		.amdhsa_ieee_mode 1
		.amdhsa_fp16_overflow 0
		.amdhsa_exception_fp_ieee_invalid_op 0
		.amdhsa_exception_fp_denorm_src 0
		.amdhsa_exception_fp_ieee_div_zero 0
		.amdhsa_exception_fp_ieee_overflow 0
		.amdhsa_exception_fp_ieee_underflow 0
		.amdhsa_exception_fp_ieee_inexact 0
		.amdhsa_exception_int_div_zero 0
	.end_amdhsa_kernel
	.section	.text._ZN9rocsparseL19gebsrmvn_2xn_kernelILj128ELj16ELj8E21rocsparse_complex_numIfEEEvi20rocsparse_direction_NS_24const_host_device_scalarIT2_EEPKiS8_PKS5_SA_S6_PS5_21rocsparse_index_base_b,"axG",@progbits,_ZN9rocsparseL19gebsrmvn_2xn_kernelILj128ELj16ELj8E21rocsparse_complex_numIfEEEvi20rocsparse_direction_NS_24const_host_device_scalarIT2_EEPKiS8_PKS5_SA_S6_PS5_21rocsparse_index_base_b,comdat
.Lfunc_end223:
	.size	_ZN9rocsparseL19gebsrmvn_2xn_kernelILj128ELj16ELj8E21rocsparse_complex_numIfEEEvi20rocsparse_direction_NS_24const_host_device_scalarIT2_EEPKiS8_PKS5_SA_S6_PS5_21rocsparse_index_base_b, .Lfunc_end223-_ZN9rocsparseL19gebsrmvn_2xn_kernelILj128ELj16ELj8E21rocsparse_complex_numIfEEEvi20rocsparse_direction_NS_24const_host_device_scalarIT2_EEPKiS8_PKS5_SA_S6_PS5_21rocsparse_index_base_b
                                        ; -- End function
	.set _ZN9rocsparseL19gebsrmvn_2xn_kernelILj128ELj16ELj8E21rocsparse_complex_numIfEEEvi20rocsparse_direction_NS_24const_host_device_scalarIT2_EEPKiS8_PKS5_SA_S6_PS5_21rocsparse_index_base_b.num_vgpr, 55
	.set _ZN9rocsparseL19gebsrmvn_2xn_kernelILj128ELj16ELj8E21rocsparse_complex_numIfEEEvi20rocsparse_direction_NS_24const_host_device_scalarIT2_EEPKiS8_PKS5_SA_S6_PS5_21rocsparse_index_base_b.num_agpr, 0
	.set _ZN9rocsparseL19gebsrmvn_2xn_kernelILj128ELj16ELj8E21rocsparse_complex_numIfEEEvi20rocsparse_direction_NS_24const_host_device_scalarIT2_EEPKiS8_PKS5_SA_S6_PS5_21rocsparse_index_base_b.numbered_sgpr, 18
	.set _ZN9rocsparseL19gebsrmvn_2xn_kernelILj128ELj16ELj8E21rocsparse_complex_numIfEEEvi20rocsparse_direction_NS_24const_host_device_scalarIT2_EEPKiS8_PKS5_SA_S6_PS5_21rocsparse_index_base_b.num_named_barrier, 0
	.set _ZN9rocsparseL19gebsrmvn_2xn_kernelILj128ELj16ELj8E21rocsparse_complex_numIfEEEvi20rocsparse_direction_NS_24const_host_device_scalarIT2_EEPKiS8_PKS5_SA_S6_PS5_21rocsparse_index_base_b.private_seg_size, 0
	.set _ZN9rocsparseL19gebsrmvn_2xn_kernelILj128ELj16ELj8E21rocsparse_complex_numIfEEEvi20rocsparse_direction_NS_24const_host_device_scalarIT2_EEPKiS8_PKS5_SA_S6_PS5_21rocsparse_index_base_b.uses_vcc, 1
	.set _ZN9rocsparseL19gebsrmvn_2xn_kernelILj128ELj16ELj8E21rocsparse_complex_numIfEEEvi20rocsparse_direction_NS_24const_host_device_scalarIT2_EEPKiS8_PKS5_SA_S6_PS5_21rocsparse_index_base_b.uses_flat_scratch, 0
	.set _ZN9rocsparseL19gebsrmvn_2xn_kernelILj128ELj16ELj8E21rocsparse_complex_numIfEEEvi20rocsparse_direction_NS_24const_host_device_scalarIT2_EEPKiS8_PKS5_SA_S6_PS5_21rocsparse_index_base_b.has_dyn_sized_stack, 0
	.set _ZN9rocsparseL19gebsrmvn_2xn_kernelILj128ELj16ELj8E21rocsparse_complex_numIfEEEvi20rocsparse_direction_NS_24const_host_device_scalarIT2_EEPKiS8_PKS5_SA_S6_PS5_21rocsparse_index_base_b.has_recursion, 0
	.set _ZN9rocsparseL19gebsrmvn_2xn_kernelILj128ELj16ELj8E21rocsparse_complex_numIfEEEvi20rocsparse_direction_NS_24const_host_device_scalarIT2_EEPKiS8_PKS5_SA_S6_PS5_21rocsparse_index_base_b.has_indirect_call, 0
	.section	.AMDGPU.csdata,"",@progbits
; Kernel info:
; codeLenInByte = 1680
; TotalNumSgprs: 22
; NumVgprs: 55
; ScratchSize: 0
; MemoryBound: 0
; FloatMode: 240
; IeeeMode: 1
; LDSByteSize: 0 bytes/workgroup (compile time only)
; SGPRBlocks: 2
; VGPRBlocks: 13
; NumSGPRsForWavesPerEU: 22
; NumVGPRsForWavesPerEU: 55
; Occupancy: 4
; WaveLimiterHint : 1
; COMPUTE_PGM_RSRC2:SCRATCH_EN: 0
; COMPUTE_PGM_RSRC2:USER_SGPR: 6
; COMPUTE_PGM_RSRC2:TRAP_HANDLER: 0
; COMPUTE_PGM_RSRC2:TGID_X_EN: 1
; COMPUTE_PGM_RSRC2:TGID_Y_EN: 0
; COMPUTE_PGM_RSRC2:TGID_Z_EN: 0
; COMPUTE_PGM_RSRC2:TIDIG_COMP_CNT: 0
	.section	.text._ZN9rocsparseL19gebsrmvn_2xn_kernelILj128ELj16ELj16E21rocsparse_complex_numIfEEEvi20rocsparse_direction_NS_24const_host_device_scalarIT2_EEPKiS8_PKS5_SA_S6_PS5_21rocsparse_index_base_b,"axG",@progbits,_ZN9rocsparseL19gebsrmvn_2xn_kernelILj128ELj16ELj16E21rocsparse_complex_numIfEEEvi20rocsparse_direction_NS_24const_host_device_scalarIT2_EEPKiS8_PKS5_SA_S6_PS5_21rocsparse_index_base_b,comdat
	.globl	_ZN9rocsparseL19gebsrmvn_2xn_kernelILj128ELj16ELj16E21rocsparse_complex_numIfEEEvi20rocsparse_direction_NS_24const_host_device_scalarIT2_EEPKiS8_PKS5_SA_S6_PS5_21rocsparse_index_base_b ; -- Begin function _ZN9rocsparseL19gebsrmvn_2xn_kernelILj128ELj16ELj16E21rocsparse_complex_numIfEEEvi20rocsparse_direction_NS_24const_host_device_scalarIT2_EEPKiS8_PKS5_SA_S6_PS5_21rocsparse_index_base_b
	.p2align	8
	.type	_ZN9rocsparseL19gebsrmvn_2xn_kernelILj128ELj16ELj16E21rocsparse_complex_numIfEEEvi20rocsparse_direction_NS_24const_host_device_scalarIT2_EEPKiS8_PKS5_SA_S6_PS5_21rocsparse_index_base_b,@function
_ZN9rocsparseL19gebsrmvn_2xn_kernelILj128ELj16ELj16E21rocsparse_complex_numIfEEEvi20rocsparse_direction_NS_24const_host_device_scalarIT2_EEPKiS8_PKS5_SA_S6_PS5_21rocsparse_index_base_b: ; @_ZN9rocsparseL19gebsrmvn_2xn_kernelILj128ELj16ELj16E21rocsparse_complex_numIfEEEvi20rocsparse_direction_NS_24const_host_device_scalarIT2_EEPKiS8_PKS5_SA_S6_PS5_21rocsparse_index_base_b
; %bb.0:
	s_load_dwordx2 s[0:1], s[4:5], 0x8
	s_load_dwordx2 s[8:9], s[4:5], 0x30
	;; [unrolled: 1-line block ×3, first 2 shown]
	s_add_u32 s7, s4, 8
	s_addc_u32 s10, s5, 0
	s_add_u32 s11, s4, 48
	s_addc_u32 s12, s5, 0
	s_waitcnt lgkmcnt(0)
	s_bitcmp1_b32 s3, 0
	s_cselect_b32 s1, s10, s1
	s_cselect_b32 s0, s7, s0
	v_mov_b32_e32 v1, s0
	v_mov_b32_e32 v2, s1
	flat_load_dwordx2 v[1:2], v[1:2]
	s_cselect_b32 s0, s12, s9
	s_cselect_b32 s1, s11, s8
	v_mov_b32_e32 v3, s1
	v_mov_b32_e32 v4, s0
	flat_load_dwordx2 v[3:4], v[3:4]
	s_waitcnt vmcnt(0) lgkmcnt(0)
	v_cmp_eq_f32_e32 vcc, 0, v1
	v_cmp_eq_f32_e64 s[0:1], 0, v2
	s_and_b64 s[10:11], vcc, s[0:1]
	s_mov_b64 s[0:1], -1
	s_and_saveexec_b64 s[8:9], s[10:11]
; %bb.1:
	v_cmp_neq_f32_e32 vcc, 1.0, v3
	v_cmp_neq_f32_e64 s[0:1], 0, v4
	s_or_b64 s[0:1], vcc, s[0:1]
	s_orn2_b64 s[0:1], s[0:1], exec
; %bb.2:
	s_or_b64 exec, exec, s[8:9]
	s_and_saveexec_b64 s[8:9], s[0:1]
	s_cbranch_execz .LBB224_25
; %bb.3:
	s_load_dwordx2 s[0:1], s[4:5], 0x0
	v_lshrrev_b32_e32 v5, 4, v0
	v_lshl_or_b32 v5, s6, 3, v5
	s_waitcnt lgkmcnt(0)
	v_cmp_gt_i32_e32 vcc, s0, v5
	s_and_b64 exec, exec, vcc
	s_cbranch_execz .LBB224_25
; %bb.4:
	s_load_dwordx8 s[8:15], s[4:5], 0x10
	v_ashrrev_i32_e32 v6, 31, v5
	v_lshlrev_b64 v[6:7], 2, v[5:6]
	v_and_b32_e32 v0, 15, v0
	s_cmp_lg_u32 s1, 0
	s_waitcnt lgkmcnt(0)
	v_mov_b32_e32 v8, s9
	v_add_co_u32_e32 v6, vcc, s8, v6
	v_addc_co_u32_e32 v7, vcc, v8, v7, vcc
	global_load_dwordx2 v[6:7], v[6:7], off
	s_waitcnt vmcnt(0)
	v_subrev_u32_e32 v6, s2, v6
	v_subrev_u32_e32 v15, s2, v7
	v_add_u32_e32 v6, v6, v0
	v_cmp_lt_i32_e64 s[0:1], v6, v15
	s_cbranch_scc0 .LBB224_12
; %bb.5:
	v_mov_b32_e32 v16, 0
	v_mov_b32_e32 v19, 0
	;; [unrolled: 1-line block ×4, first 2 shown]
	s_and_saveexec_b64 s[6:7], s[0:1]
	s_cbranch_execz .LBB224_11
; %bb.6:
	s_add_u32 s3, s12, 8
	v_lshlrev_b32_e32 v7, 5, v6
	s_addc_u32 s16, s13, 0
	v_or_b32_e32 v20, 6, v7
	v_mov_b32_e32 v9, 0
	s_mov_b64 s[8:9], 0
	v_mov_b32_e32 v21, s16
	v_mov_b32_e32 v22, s11
	;; [unrolled: 1-line block ×9, first 2 shown]
.LBB224_7:                              ; =>This Loop Header: Depth=1
                                        ;     Child Loop BB224_8 Depth 2
	v_ashrrev_i32_e32 v11, 31, v10
	v_lshlrev_b64 v[11:12], 2, v[10:11]
	v_mov_b32_e32 v8, v9
	v_add_co_u32_e32 v11, vcc, s10, v11
	v_addc_co_u32_e32 v12, vcc, v22, v12, vcc
	global_load_dword v12, v[11:12], off
	v_lshlrev_b64 v[13:14], 3, v[7:8]
	v_mov_b32_e32 v11, v20
	v_add_co_u32_e32 v13, vcc, s3, v13
	v_addc_co_u32_e32 v14, vcc, v21, v14, vcc
	s_mov_b64 s[16:17], 0
	s_waitcnt vmcnt(0)
	v_subrev_u32_e32 v8, s2, v12
	v_lshlrev_b32_e32 v8, 4, v8
	v_lshlrev_b64 v[25:26], 3, v[8:9]
	v_add_co_u32_e32 v25, vcc, s14, v25
	v_addc_co_u32_e32 v26, vcc, v23, v26, vcc
.LBB224_8:                              ;   Parent Loop BB224_7 Depth=1
                                        ; =>  This Inner Loop Header: Depth=2
	v_add_u32_e32 v8, -4, v11
	v_mov_b32_e32 v31, s17
	v_add_co_u32_e32 v39, vcc, s16, v25
	v_lshlrev_b64 v[41:42], 3, v[8:9]
	v_mov_b32_e32 v12, v9
	v_addc_co_u32_e32 v40, vcc, v26, v31, vcc
	global_load_dwordx4 v[27:30], v[13:14], off offset:-8
	v_lshlrev_b64 v[43:44], 3, v[11:12]
	global_load_dwordx4 v[31:34], v[39:40], off
	global_load_dwordx4 v[35:38], v[39:40], off offset:16
	v_add_co_u32_e32 v39, vcc, s12, v41
	v_add_u32_e32 v8, -2, v11
	v_addc_co_u32_e32 v40, vcc, v24, v42, vcc
	v_lshlrev_b64 v[45:46], 3, v[8:9]
	v_add_co_u32_e32 v51, vcc, s12, v43
	v_addc_co_u32_e32 v52, vcc, v24, v44, vcc
	global_load_dwordx4 v[39:42], v[39:40], off
	v_add_co_u32_e32 v53, vcc, s12, v45
	v_addc_co_u32_e32 v54, vcc, v24, v46, vcc
	global_load_dwordx4 v[43:46], v[53:54], off
	global_load_dwordx4 v[47:50], v[51:52], off
	s_add_u32 s16, s16, 32
	v_add_co_u32_e32 v13, vcc, 64, v13
	s_addc_u32 s17, s17, 0
	v_addc_co_u32_e32 v14, vcc, 0, v14, vcc
	v_add_u32_e32 v11, 8, v11
	s_cmpk_eq_i32 s16, 0x80
	s_waitcnt vmcnt(4)
	v_fmac_f32_e32 v19, v27, v31
	v_fmac_f32_e32 v16, v28, v31
	v_fmac_f32_e32 v18, v29, v31
	v_fmac_f32_e32 v17, v30, v31
	v_fma_f32 v8, -v28, v32, v19
	v_fmac_f32_e32 v16, v27, v32
	v_fma_f32 v12, -v30, v32, v18
	v_fmac_f32_e32 v17, v29, v32
	s_waitcnt vmcnt(2)
	v_fmac_f32_e32 v8, v39, v33
	v_fmac_f32_e32 v16, v40, v33
	v_fmac_f32_e32 v12, v41, v33
	v_fmac_f32_e32 v17, v42, v33
	v_fma_f32 v8, -v40, v34, v8
	v_fmac_f32_e32 v16, v39, v34
	v_fma_f32 v12, -v42, v34, v12
	v_fmac_f32_e32 v17, v41, v34
	;; [unrolled: 9-line block ×4, first 2 shown]
	s_cbranch_scc0 .LBB224_8
; %bb.9:                                ;   in Loop: Header=BB224_7 Depth=1
	v_add_u32_e32 v10, 16, v10
	v_cmp_ge_i32_e32 vcc, v10, v15
	v_add_u32_e32 v20, 0x200, v20
	s_or_b64 s[8:9], vcc, s[8:9]
	v_add_u32_e32 v7, 0x200, v7
	s_andn2_b64 exec, exec, s[8:9]
	s_cbranch_execnz .LBB224_7
; %bb.10:
	s_or_b64 exec, exec, s[8:9]
.LBB224_11:
	s_or_b64 exec, exec, s[6:7]
	s_cbranch_execz .LBB224_13
	s_branch .LBB224_20
.LBB224_12:
                                        ; implicit-def: $vgpr16
                                        ; implicit-def: $vgpr19
                                        ; implicit-def: $vgpr18
                                        ; implicit-def: $vgpr17
.LBB224_13:
	v_mov_b32_e32 v16, 0
	v_mov_b32_e32 v19, 0
	;; [unrolled: 1-line block ×4, first 2 shown]
	s_and_saveexec_b64 s[6:7], s[0:1]
	s_cbranch_execz .LBB224_19
; %bb.14:
	v_mov_b32_e32 v9, 0
	v_lshlrev_b32_e32 v8, 5, v6
	s_mov_b64 s[8:9], 0
	v_mov_b32_e32 v10, s13
	v_mov_b32_e32 v11, s11
	;; [unrolled: 1-line block ×7, first 2 shown]
.LBB224_15:                             ; =>This Loop Header: Depth=1
                                        ;     Child Loop BB224_16 Depth 2
	v_ashrrev_i32_e32 v7, 31, v6
	v_lshlrev_b64 v[13:14], 2, v[6:7]
	v_mov_b32_e32 v21, v9
	v_add_co_u32_e32 v13, vcc, s10, v13
	v_addc_co_u32_e32 v14, vcc, v11, v14, vcc
	global_load_dword v20, v[13:14], off
	v_lshlrev_b64 v[13:14], 3, v[8:9]
	s_mov_b64 s[16:17], 0
	v_add_co_u32_e32 v7, vcc, s12, v13
	v_addc_co_u32_e32 v13, vcc, v10, v14, vcc
	s_waitcnt vmcnt(0)
	v_subrev_u32_e32 v14, s2, v20
	v_lshlrev_b32_e32 v20, 4, v14
	v_lshlrev_b64 v[20:21], 3, v[20:21]
	v_add_co_u32_e32 v14, vcc, s14, v20
	v_addc_co_u32_e32 v20, vcc, v12, v21, vcc
.LBB224_16:                             ;   Parent Loop BB224_15 Depth=1
                                        ; =>  This Inner Loop Header: Depth=2
	v_mov_b32_e32 v21, s17
	v_add_co_u32_e64 v47, s[0:1], s16, v7
	v_add_co_u32_e32 v45, vcc, s16, v14
	v_addc_co_u32_e64 v48, s[0:1], v13, v21, s[0:1]
	v_addc_co_u32_e32 v46, vcc, v20, v21, vcc
	global_load_dwordx4 v[21:24], v[47:48], off
	global_load_dwordx4 v[25:28], v[45:46], off
	global_load_dwordx4 v[29:32], v[47:48], off offset:128
	global_load_dwordx4 v[33:36], v[47:48], off offset:16
	global_load_dwordx4 v[37:40], v[45:46], off offset:16
	global_load_dwordx4 v[41:44], v[47:48], off offset:144
	s_add_u32 s16, s16, 32
	s_addc_u32 s17, s17, 0
	s_cmpk_eq_i32 s16, 0x80
	s_waitcnt vmcnt(4)
	v_fmac_f32_e32 v19, v21, v25
	v_fmac_f32_e32 v16, v22, v25
	s_waitcnt vmcnt(3)
	v_fmac_f32_e32 v18, v29, v25
	v_fmac_f32_e32 v17, v30, v25
	v_fma_f32 v19, -v22, v26, v19
	v_fmac_f32_e32 v16, v21, v26
	v_fma_f32 v18, -v30, v26, v18
	v_fmac_f32_e32 v17, v29, v26
	v_fmac_f32_e32 v19, v23, v27
	;; [unrolled: 1-line block ×5, first 2 shown]
	v_fma_f32 v19, -v24, v28, v19
	v_fmac_f32_e32 v16, v23, v28
	v_fma_f32 v18, -v32, v28, v18
	v_fmac_f32_e32 v17, v31, v28
	s_waitcnt vmcnt(1)
	v_fmac_f32_e32 v19, v33, v37
	v_fmac_f32_e32 v16, v34, v37
	s_waitcnt vmcnt(0)
	v_fmac_f32_e32 v18, v41, v37
	v_fmac_f32_e32 v17, v42, v37
	v_fma_f32 v19, -v34, v38, v19
	v_fmac_f32_e32 v16, v33, v38
	v_fma_f32 v18, -v42, v38, v18
	v_fmac_f32_e32 v17, v41, v38
	v_fmac_f32_e32 v19, v35, v39
	;; [unrolled: 1-line block ×5, first 2 shown]
	v_fma_f32 v19, -v36, v40, v19
	v_fmac_f32_e32 v16, v35, v40
	v_fma_f32 v18, -v44, v40, v18
	v_fmac_f32_e32 v17, v43, v40
	s_cbranch_scc0 .LBB224_16
; %bb.17:                               ;   in Loop: Header=BB224_15 Depth=1
	v_add_u32_e32 v6, 16, v6
	v_cmp_ge_i32_e32 vcc, v6, v15
	s_or_b64 s[8:9], vcc, s[8:9]
	v_add_u32_e32 v8, 0x200, v8
	s_andn2_b64 exec, exec, s[8:9]
	s_cbranch_execnz .LBB224_15
; %bb.18:
	s_or_b64 exec, exec, s[8:9]
.LBB224_19:
	s_or_b64 exec, exec, s[6:7]
.LBB224_20:
	v_mov_b32_dpp v6, v19 row_shr:1 row_mask:0xf bank_mask:0xf
	v_mov_b32_dpp v8, v16 row_shr:1 row_mask:0xf bank_mask:0xf
	v_mov_b32_dpp v10, v18 row_shr:1 row_mask:0xf bank_mask:0xf
	v_mov_b32_dpp v12, v17 row_shr:1 row_mask:0xf bank_mask:0xf
	v_add_f32_e32 v6, v19, v6
	v_add_f32_e32 v8, v16, v8
	v_add_f32_e32 v10, v18, v10
	v_add_f32_e32 v12, v17, v12
	v_mov_b32_dpp v7, v6 row_shr:2 row_mask:0xf bank_mask:0xf
	v_mov_b32_dpp v9, v8 row_shr:2 row_mask:0xf bank_mask:0xf
	v_mov_b32_dpp v11, v10 row_shr:2 row_mask:0xf bank_mask:0xf
	v_mov_b32_dpp v13, v12 row_shr:2 row_mask:0xf bank_mask:0xf
	v_add_f32_e32 v6, v6, v7
	v_add_f32_e32 v8, v8, v9
	v_add_f32_e32 v10, v10, v11
	v_add_f32_e32 v12, v12, v13
	;; [unrolled: 8-line block ×3, first 2 shown]
	v_mov_b32_dpp v7, v6 row_shr:8 row_mask:0xf bank_mask:0xc
	v_mov_b32_dpp v9, v8 row_shr:8 row_mask:0xf bank_mask:0xc
	;; [unrolled: 1-line block ×4, first 2 shown]
	v_cmp_eq_u32_e32 vcc, 15, v0
	s_and_b64 exec, exec, vcc
	s_cbranch_execz .LBB224_25
; %bb.21:
	s_load_dwordx2 s[2:3], s[4:5], 0x38
	v_cmp_eq_f32_e32 vcc, 0, v3
	v_cmp_eq_f32_e64 s[0:1], 0, v4
	v_add_f32_e32 v7, v6, v7
	v_add_f32_e32 v8, v8, v9
	v_add_f32_e32 v0, v10, v11
	v_add_f32_e32 v6, v12, v13
	s_and_b64 s[0:1], vcc, s[0:1]
	s_and_saveexec_b64 s[4:5], s[0:1]
	s_xor_b64 s[0:1], exec, s[4:5]
	s_cbranch_execz .LBB224_23
; %bb.22:
	v_mul_f32_e64 v3, v8, -v2
	v_mul_f32_e32 v4, v1, v8
	v_fmac_f32_e32 v3, v1, v7
	v_fmac_f32_e32 v4, v2, v7
	v_lshlrev_b32_e32 v7, 1, v5
	v_ashrrev_i32_e32 v8, 31, v7
	v_lshlrev_b64 v[7:8], 3, v[7:8]
	s_waitcnt lgkmcnt(0)
	v_mov_b32_e32 v5, s3
	v_add_co_u32_e32 v7, vcc, s2, v7
	v_addc_co_u32_e32 v8, vcc, v5, v8, vcc
	v_mul_f32_e64 v5, v6, -v2
	v_mul_f32_e32 v6, v1, v6
	v_fmac_f32_e32 v5, v1, v0
	v_fmac_f32_e32 v6, v2, v0
	global_store_dwordx4 v[7:8], v[3:6], off
                                        ; implicit-def: $vgpr5
                                        ; implicit-def: $vgpr1_vgpr2
                                        ; implicit-def: $vgpr8
                                        ; implicit-def: $vgpr7
                                        ; implicit-def: $vgpr3_vgpr4
                                        ; implicit-def: $vgpr6
                                        ; implicit-def: $vgpr0
.LBB224_23:
	s_andn2_saveexec_b64 s[0:1], s[0:1]
	s_cbranch_execz .LBB224_25
; %bb.24:
	v_lshlrev_b32_e32 v9, 1, v5
	v_ashrrev_i32_e32 v10, 31, v9
	v_lshlrev_b64 v[9:10], 3, v[9:10]
	s_waitcnt lgkmcnt(0)
	v_mov_b32_e32 v5, s3
	v_add_co_u32_e32 v17, vcc, s2, v9
	v_addc_co_u32_e32 v18, vcc, v5, v10, vcc
	global_load_dwordx4 v[9:12], v[17:18], off
	v_mul_f32_e64 v5, v8, -v2
	v_mul_f32_e32 v14, v1, v8
	v_mul_f32_e64 v8, v6, -v2
	v_mul_f32_e32 v16, v1, v6
	v_fmac_f32_e32 v5, v1, v7
	v_fmac_f32_e32 v14, v2, v7
	v_fmac_f32_e32 v8, v1, v0
	v_fmac_f32_e32 v16, v2, v0
	s_waitcnt vmcnt(0)
	v_fmac_f32_e32 v5, v3, v9
	v_fmac_f32_e32 v14, v4, v9
	;; [unrolled: 1-line block ×4, first 2 shown]
	v_fma_f32 v13, -v4, v10, v5
	v_fmac_f32_e32 v14, v3, v10
	v_fma_f32 v15, -v4, v12, v8
	v_fmac_f32_e32 v16, v3, v12
	global_store_dwordx4 v[17:18], v[13:16], off
.LBB224_25:
	s_endpgm
	.section	.rodata,"a",@progbits
	.p2align	6, 0x0
	.amdhsa_kernel _ZN9rocsparseL19gebsrmvn_2xn_kernelILj128ELj16ELj16E21rocsparse_complex_numIfEEEvi20rocsparse_direction_NS_24const_host_device_scalarIT2_EEPKiS8_PKS5_SA_S6_PS5_21rocsparse_index_base_b
		.amdhsa_group_segment_fixed_size 0
		.amdhsa_private_segment_fixed_size 0
		.amdhsa_kernarg_size 72
		.amdhsa_user_sgpr_count 6
		.amdhsa_user_sgpr_private_segment_buffer 1
		.amdhsa_user_sgpr_dispatch_ptr 0
		.amdhsa_user_sgpr_queue_ptr 0
		.amdhsa_user_sgpr_kernarg_segment_ptr 1
		.amdhsa_user_sgpr_dispatch_id 0
		.amdhsa_user_sgpr_flat_scratch_init 0
		.amdhsa_user_sgpr_private_segment_size 0
		.amdhsa_uses_dynamic_stack 0
		.amdhsa_system_sgpr_private_segment_wavefront_offset 0
		.amdhsa_system_sgpr_workgroup_id_x 1
		.amdhsa_system_sgpr_workgroup_id_y 0
		.amdhsa_system_sgpr_workgroup_id_z 0
		.amdhsa_system_sgpr_workgroup_info 0
		.amdhsa_system_vgpr_workitem_id 0
		.amdhsa_next_free_vgpr 55
		.amdhsa_next_free_sgpr 18
		.amdhsa_reserve_vcc 1
		.amdhsa_reserve_flat_scratch 0
		.amdhsa_float_round_mode_32 0
		.amdhsa_float_round_mode_16_64 0
		.amdhsa_float_denorm_mode_32 3
		.amdhsa_float_denorm_mode_16_64 3
		.amdhsa_dx10_clamp 1
		.amdhsa_ieee_mode 1
		.amdhsa_fp16_overflow 0
		.amdhsa_exception_fp_ieee_invalid_op 0
		.amdhsa_exception_fp_denorm_src 0
		.amdhsa_exception_fp_ieee_div_zero 0
		.amdhsa_exception_fp_ieee_overflow 0
		.amdhsa_exception_fp_ieee_underflow 0
		.amdhsa_exception_fp_ieee_inexact 0
		.amdhsa_exception_int_div_zero 0
	.end_amdhsa_kernel
	.section	.text._ZN9rocsparseL19gebsrmvn_2xn_kernelILj128ELj16ELj16E21rocsparse_complex_numIfEEEvi20rocsparse_direction_NS_24const_host_device_scalarIT2_EEPKiS8_PKS5_SA_S6_PS5_21rocsparse_index_base_b,"axG",@progbits,_ZN9rocsparseL19gebsrmvn_2xn_kernelILj128ELj16ELj16E21rocsparse_complex_numIfEEEvi20rocsparse_direction_NS_24const_host_device_scalarIT2_EEPKiS8_PKS5_SA_S6_PS5_21rocsparse_index_base_b,comdat
.Lfunc_end224:
	.size	_ZN9rocsparseL19gebsrmvn_2xn_kernelILj128ELj16ELj16E21rocsparse_complex_numIfEEEvi20rocsparse_direction_NS_24const_host_device_scalarIT2_EEPKiS8_PKS5_SA_S6_PS5_21rocsparse_index_base_b, .Lfunc_end224-_ZN9rocsparseL19gebsrmvn_2xn_kernelILj128ELj16ELj16E21rocsparse_complex_numIfEEEvi20rocsparse_direction_NS_24const_host_device_scalarIT2_EEPKiS8_PKS5_SA_S6_PS5_21rocsparse_index_base_b
                                        ; -- End function
	.set _ZN9rocsparseL19gebsrmvn_2xn_kernelILj128ELj16ELj16E21rocsparse_complex_numIfEEEvi20rocsparse_direction_NS_24const_host_device_scalarIT2_EEPKiS8_PKS5_SA_S6_PS5_21rocsparse_index_base_b.num_vgpr, 55
	.set _ZN9rocsparseL19gebsrmvn_2xn_kernelILj128ELj16ELj16E21rocsparse_complex_numIfEEEvi20rocsparse_direction_NS_24const_host_device_scalarIT2_EEPKiS8_PKS5_SA_S6_PS5_21rocsparse_index_base_b.num_agpr, 0
	.set _ZN9rocsparseL19gebsrmvn_2xn_kernelILj128ELj16ELj16E21rocsparse_complex_numIfEEEvi20rocsparse_direction_NS_24const_host_device_scalarIT2_EEPKiS8_PKS5_SA_S6_PS5_21rocsparse_index_base_b.numbered_sgpr, 18
	.set _ZN9rocsparseL19gebsrmvn_2xn_kernelILj128ELj16ELj16E21rocsparse_complex_numIfEEEvi20rocsparse_direction_NS_24const_host_device_scalarIT2_EEPKiS8_PKS5_SA_S6_PS5_21rocsparse_index_base_b.num_named_barrier, 0
	.set _ZN9rocsparseL19gebsrmvn_2xn_kernelILj128ELj16ELj16E21rocsparse_complex_numIfEEEvi20rocsparse_direction_NS_24const_host_device_scalarIT2_EEPKiS8_PKS5_SA_S6_PS5_21rocsparse_index_base_b.private_seg_size, 0
	.set _ZN9rocsparseL19gebsrmvn_2xn_kernelILj128ELj16ELj16E21rocsparse_complex_numIfEEEvi20rocsparse_direction_NS_24const_host_device_scalarIT2_EEPKiS8_PKS5_SA_S6_PS5_21rocsparse_index_base_b.uses_vcc, 1
	.set _ZN9rocsparseL19gebsrmvn_2xn_kernelILj128ELj16ELj16E21rocsparse_complex_numIfEEEvi20rocsparse_direction_NS_24const_host_device_scalarIT2_EEPKiS8_PKS5_SA_S6_PS5_21rocsparse_index_base_b.uses_flat_scratch, 0
	.set _ZN9rocsparseL19gebsrmvn_2xn_kernelILj128ELj16ELj16E21rocsparse_complex_numIfEEEvi20rocsparse_direction_NS_24const_host_device_scalarIT2_EEPKiS8_PKS5_SA_S6_PS5_21rocsparse_index_base_b.has_dyn_sized_stack, 0
	.set _ZN9rocsparseL19gebsrmvn_2xn_kernelILj128ELj16ELj16E21rocsparse_complex_numIfEEEvi20rocsparse_direction_NS_24const_host_device_scalarIT2_EEPKiS8_PKS5_SA_S6_PS5_21rocsparse_index_base_b.has_recursion, 0
	.set _ZN9rocsparseL19gebsrmvn_2xn_kernelILj128ELj16ELj16E21rocsparse_complex_numIfEEEvi20rocsparse_direction_NS_24const_host_device_scalarIT2_EEPKiS8_PKS5_SA_S6_PS5_21rocsparse_index_base_b.has_indirect_call, 0
	.section	.AMDGPU.csdata,"",@progbits
; Kernel info:
; codeLenInByte = 1728
; TotalNumSgprs: 22
; NumVgprs: 55
; ScratchSize: 0
; MemoryBound: 0
; FloatMode: 240
; IeeeMode: 1
; LDSByteSize: 0 bytes/workgroup (compile time only)
; SGPRBlocks: 2
; VGPRBlocks: 13
; NumSGPRsForWavesPerEU: 22
; NumVGPRsForWavesPerEU: 55
; Occupancy: 4
; WaveLimiterHint : 1
; COMPUTE_PGM_RSRC2:SCRATCH_EN: 0
; COMPUTE_PGM_RSRC2:USER_SGPR: 6
; COMPUTE_PGM_RSRC2:TRAP_HANDLER: 0
; COMPUTE_PGM_RSRC2:TGID_X_EN: 1
; COMPUTE_PGM_RSRC2:TGID_Y_EN: 0
; COMPUTE_PGM_RSRC2:TGID_Z_EN: 0
; COMPUTE_PGM_RSRC2:TIDIG_COMP_CNT: 0
	.section	.text._ZN9rocsparseL19gebsrmvn_2xn_kernelILj128ELj16ELj32E21rocsparse_complex_numIfEEEvi20rocsparse_direction_NS_24const_host_device_scalarIT2_EEPKiS8_PKS5_SA_S6_PS5_21rocsparse_index_base_b,"axG",@progbits,_ZN9rocsparseL19gebsrmvn_2xn_kernelILj128ELj16ELj32E21rocsparse_complex_numIfEEEvi20rocsparse_direction_NS_24const_host_device_scalarIT2_EEPKiS8_PKS5_SA_S6_PS5_21rocsparse_index_base_b,comdat
	.globl	_ZN9rocsparseL19gebsrmvn_2xn_kernelILj128ELj16ELj32E21rocsparse_complex_numIfEEEvi20rocsparse_direction_NS_24const_host_device_scalarIT2_EEPKiS8_PKS5_SA_S6_PS5_21rocsparse_index_base_b ; -- Begin function _ZN9rocsparseL19gebsrmvn_2xn_kernelILj128ELj16ELj32E21rocsparse_complex_numIfEEEvi20rocsparse_direction_NS_24const_host_device_scalarIT2_EEPKiS8_PKS5_SA_S6_PS5_21rocsparse_index_base_b
	.p2align	8
	.type	_ZN9rocsparseL19gebsrmvn_2xn_kernelILj128ELj16ELj32E21rocsparse_complex_numIfEEEvi20rocsparse_direction_NS_24const_host_device_scalarIT2_EEPKiS8_PKS5_SA_S6_PS5_21rocsparse_index_base_b,@function
_ZN9rocsparseL19gebsrmvn_2xn_kernelILj128ELj16ELj32E21rocsparse_complex_numIfEEEvi20rocsparse_direction_NS_24const_host_device_scalarIT2_EEPKiS8_PKS5_SA_S6_PS5_21rocsparse_index_base_b: ; @_ZN9rocsparseL19gebsrmvn_2xn_kernelILj128ELj16ELj32E21rocsparse_complex_numIfEEEvi20rocsparse_direction_NS_24const_host_device_scalarIT2_EEPKiS8_PKS5_SA_S6_PS5_21rocsparse_index_base_b
; %bb.0:
	s_load_dwordx2 s[0:1], s[4:5], 0x8
	s_load_dwordx2 s[8:9], s[4:5], 0x30
	;; [unrolled: 1-line block ×3, first 2 shown]
	s_add_u32 s7, s4, 8
	s_addc_u32 s10, s5, 0
	s_add_u32 s11, s4, 48
	s_addc_u32 s12, s5, 0
	s_waitcnt lgkmcnt(0)
	s_bitcmp1_b32 s3, 0
	s_cselect_b32 s1, s10, s1
	s_cselect_b32 s0, s7, s0
	v_mov_b32_e32 v1, s0
	v_mov_b32_e32 v2, s1
	flat_load_dwordx2 v[1:2], v[1:2]
	s_cselect_b32 s0, s12, s9
	s_cselect_b32 s1, s11, s8
	v_mov_b32_e32 v3, s1
	v_mov_b32_e32 v4, s0
	flat_load_dwordx2 v[3:4], v[3:4]
	s_waitcnt vmcnt(0) lgkmcnt(0)
	v_cmp_eq_f32_e32 vcc, 0, v1
	v_cmp_eq_f32_e64 s[0:1], 0, v2
	s_and_b64 s[10:11], vcc, s[0:1]
	s_mov_b64 s[0:1], -1
	s_and_saveexec_b64 s[8:9], s[10:11]
; %bb.1:
	v_cmp_neq_f32_e32 vcc, 1.0, v3
	v_cmp_neq_f32_e64 s[0:1], 0, v4
	s_or_b64 s[0:1], vcc, s[0:1]
	s_orn2_b64 s[0:1], s[0:1], exec
; %bb.2:
	s_or_b64 exec, exec, s[8:9]
	s_and_saveexec_b64 s[8:9], s[0:1]
	s_cbranch_execz .LBB225_25
; %bb.3:
	s_load_dwordx2 s[0:1], s[4:5], 0x0
	v_lshrrev_b32_e32 v5, 5, v0
	v_lshl_or_b32 v5, s6, 2, v5
	s_waitcnt lgkmcnt(0)
	v_cmp_gt_i32_e32 vcc, s0, v5
	s_and_b64 exec, exec, vcc
	s_cbranch_execz .LBB225_25
; %bb.4:
	s_load_dwordx8 s[8:15], s[4:5], 0x10
	v_ashrrev_i32_e32 v6, 31, v5
	v_lshlrev_b64 v[6:7], 2, v[5:6]
	v_and_b32_e32 v0, 31, v0
	s_cmp_lg_u32 s1, 0
	s_waitcnt lgkmcnt(0)
	v_mov_b32_e32 v8, s9
	v_add_co_u32_e32 v6, vcc, s8, v6
	v_addc_co_u32_e32 v7, vcc, v8, v7, vcc
	global_load_dwordx2 v[6:7], v[6:7], off
	s_waitcnt vmcnt(0)
	v_subrev_u32_e32 v6, s2, v6
	v_subrev_u32_e32 v15, s2, v7
	v_add_u32_e32 v6, v6, v0
	v_cmp_lt_i32_e64 s[0:1], v6, v15
	s_cbranch_scc0 .LBB225_12
; %bb.5:
	v_mov_b32_e32 v17, 0
	v_mov_b32_e32 v19, 0
	;; [unrolled: 1-line block ×4, first 2 shown]
	s_and_saveexec_b64 s[6:7], s[0:1]
	s_cbranch_execz .LBB225_11
; %bb.6:
	s_add_u32 s3, s12, 8
	v_lshlrev_b32_e32 v7, 5, v6
	s_addc_u32 s16, s13, 0
	v_or_b32_e32 v20, 6, v7
	v_mov_b32_e32 v9, 0
	s_mov_b64 s[8:9], 0
	v_mov_b32_e32 v21, s16
	v_mov_b32_e32 v22, s11
	;; [unrolled: 1-line block ×9, first 2 shown]
.LBB225_7:                              ; =>This Loop Header: Depth=1
                                        ;     Child Loop BB225_8 Depth 2
	v_ashrrev_i32_e32 v11, 31, v10
	v_lshlrev_b64 v[11:12], 2, v[10:11]
	v_mov_b32_e32 v8, v9
	v_add_co_u32_e32 v11, vcc, s10, v11
	v_addc_co_u32_e32 v12, vcc, v22, v12, vcc
	global_load_dword v12, v[11:12], off
	v_lshlrev_b64 v[13:14], 3, v[7:8]
	v_mov_b32_e32 v11, v20
	v_add_co_u32_e32 v13, vcc, s3, v13
	v_addc_co_u32_e32 v14, vcc, v21, v14, vcc
	s_mov_b64 s[16:17], 0
	s_waitcnt vmcnt(0)
	v_subrev_u32_e32 v8, s2, v12
	v_lshlrev_b32_e32 v8, 4, v8
	v_lshlrev_b64 v[25:26], 3, v[8:9]
	v_add_co_u32_e32 v25, vcc, s14, v25
	v_addc_co_u32_e32 v26, vcc, v23, v26, vcc
.LBB225_8:                              ;   Parent Loop BB225_7 Depth=1
                                        ; =>  This Inner Loop Header: Depth=2
	v_add_u32_e32 v8, -4, v11
	v_mov_b32_e32 v31, s17
	v_add_co_u32_e32 v39, vcc, s16, v25
	v_lshlrev_b64 v[41:42], 3, v[8:9]
	v_mov_b32_e32 v12, v9
	v_addc_co_u32_e32 v40, vcc, v26, v31, vcc
	global_load_dwordx4 v[27:30], v[13:14], off offset:-8
	v_lshlrev_b64 v[43:44], 3, v[11:12]
	global_load_dwordx4 v[31:34], v[39:40], off
	global_load_dwordx4 v[35:38], v[39:40], off offset:16
	v_add_co_u32_e32 v39, vcc, s12, v41
	v_add_u32_e32 v8, -2, v11
	v_addc_co_u32_e32 v40, vcc, v24, v42, vcc
	v_lshlrev_b64 v[45:46], 3, v[8:9]
	v_add_co_u32_e32 v51, vcc, s12, v43
	v_addc_co_u32_e32 v52, vcc, v24, v44, vcc
	global_load_dwordx4 v[39:42], v[39:40], off
	v_add_co_u32_e32 v53, vcc, s12, v45
	v_addc_co_u32_e32 v54, vcc, v24, v46, vcc
	global_load_dwordx4 v[43:46], v[53:54], off
	global_load_dwordx4 v[47:50], v[51:52], off
	s_add_u32 s16, s16, 32
	v_add_co_u32_e32 v13, vcc, 64, v13
	s_addc_u32 s17, s17, 0
	v_addc_co_u32_e32 v14, vcc, 0, v14, vcc
	v_add_u32_e32 v11, 8, v11
	s_cmpk_eq_i32 s16, 0x80
	s_waitcnt vmcnt(4)
	v_fmac_f32_e32 v19, v27, v31
	v_fmac_f32_e32 v17, v28, v31
	v_fmac_f32_e32 v18, v29, v31
	v_fmac_f32_e32 v16, v30, v31
	v_fma_f32 v8, -v28, v32, v19
	v_fmac_f32_e32 v17, v27, v32
	v_fma_f32 v12, -v30, v32, v18
	v_fmac_f32_e32 v16, v29, v32
	s_waitcnt vmcnt(2)
	v_fmac_f32_e32 v8, v39, v33
	v_fmac_f32_e32 v17, v40, v33
	v_fmac_f32_e32 v12, v41, v33
	v_fmac_f32_e32 v16, v42, v33
	v_fma_f32 v8, -v40, v34, v8
	v_fmac_f32_e32 v17, v39, v34
	v_fma_f32 v12, -v42, v34, v12
	v_fmac_f32_e32 v16, v41, v34
	;; [unrolled: 9-line block ×4, first 2 shown]
	s_cbranch_scc0 .LBB225_8
; %bb.9:                                ;   in Loop: Header=BB225_7 Depth=1
	v_add_u32_e32 v10, 32, v10
	v_cmp_ge_i32_e32 vcc, v10, v15
	v_add_u32_e32 v20, 0x400, v20
	s_or_b64 s[8:9], vcc, s[8:9]
	v_add_u32_e32 v7, 0x400, v7
	s_andn2_b64 exec, exec, s[8:9]
	s_cbranch_execnz .LBB225_7
; %bb.10:
	s_or_b64 exec, exec, s[8:9]
.LBB225_11:
	s_or_b64 exec, exec, s[6:7]
	s_cbranch_execz .LBB225_13
	s_branch .LBB225_20
.LBB225_12:
                                        ; implicit-def: $vgpr17
                                        ; implicit-def: $vgpr19
                                        ; implicit-def: $vgpr18
                                        ; implicit-def: $vgpr16
.LBB225_13:
	v_mov_b32_e32 v17, 0
	v_mov_b32_e32 v19, 0
	;; [unrolled: 1-line block ×4, first 2 shown]
	s_and_saveexec_b64 s[6:7], s[0:1]
	s_cbranch_execz .LBB225_19
; %bb.14:
	v_mov_b32_e32 v9, 0
	v_lshlrev_b32_e32 v8, 5, v6
	s_mov_b64 s[8:9], 0
	v_mov_b32_e32 v10, s13
	v_mov_b32_e32 v11, s11
	;; [unrolled: 1-line block ×7, first 2 shown]
.LBB225_15:                             ; =>This Loop Header: Depth=1
                                        ;     Child Loop BB225_16 Depth 2
	v_ashrrev_i32_e32 v7, 31, v6
	v_lshlrev_b64 v[13:14], 2, v[6:7]
	v_mov_b32_e32 v21, v9
	v_add_co_u32_e32 v13, vcc, s10, v13
	v_addc_co_u32_e32 v14, vcc, v11, v14, vcc
	global_load_dword v20, v[13:14], off
	v_lshlrev_b64 v[13:14], 3, v[8:9]
	s_mov_b64 s[16:17], 0
	v_add_co_u32_e32 v7, vcc, s12, v13
	v_addc_co_u32_e32 v13, vcc, v10, v14, vcc
	s_waitcnt vmcnt(0)
	v_subrev_u32_e32 v14, s2, v20
	v_lshlrev_b32_e32 v20, 4, v14
	v_lshlrev_b64 v[20:21], 3, v[20:21]
	v_add_co_u32_e32 v14, vcc, s14, v20
	v_addc_co_u32_e32 v20, vcc, v12, v21, vcc
.LBB225_16:                             ;   Parent Loop BB225_15 Depth=1
                                        ; =>  This Inner Loop Header: Depth=2
	v_mov_b32_e32 v21, s17
	v_add_co_u32_e64 v47, s[0:1], s16, v7
	v_add_co_u32_e32 v45, vcc, s16, v14
	v_addc_co_u32_e64 v48, s[0:1], v13, v21, s[0:1]
	v_addc_co_u32_e32 v46, vcc, v20, v21, vcc
	global_load_dwordx4 v[21:24], v[47:48], off
	global_load_dwordx4 v[25:28], v[45:46], off
	global_load_dwordx4 v[29:32], v[47:48], off offset:128
	global_load_dwordx4 v[33:36], v[47:48], off offset:16
	;; [unrolled: 1-line block ×4, first 2 shown]
	s_add_u32 s16, s16, 32
	s_addc_u32 s17, s17, 0
	s_cmpk_eq_i32 s16, 0x80
	s_waitcnt vmcnt(4)
	v_fmac_f32_e32 v19, v21, v25
	v_fmac_f32_e32 v17, v22, v25
	s_waitcnt vmcnt(3)
	v_fmac_f32_e32 v18, v29, v25
	v_fmac_f32_e32 v16, v30, v25
	v_fma_f32 v19, -v22, v26, v19
	v_fmac_f32_e32 v17, v21, v26
	v_fma_f32 v18, -v30, v26, v18
	v_fmac_f32_e32 v16, v29, v26
	v_fmac_f32_e32 v19, v23, v27
	;; [unrolled: 1-line block ×5, first 2 shown]
	v_fma_f32 v19, -v24, v28, v19
	v_fmac_f32_e32 v17, v23, v28
	v_fma_f32 v18, -v32, v28, v18
	v_fmac_f32_e32 v16, v31, v28
	s_waitcnt vmcnt(1)
	v_fmac_f32_e32 v19, v33, v37
	v_fmac_f32_e32 v17, v34, v37
	s_waitcnt vmcnt(0)
	v_fmac_f32_e32 v18, v41, v37
	v_fmac_f32_e32 v16, v42, v37
	v_fma_f32 v19, -v34, v38, v19
	v_fmac_f32_e32 v17, v33, v38
	v_fma_f32 v18, -v42, v38, v18
	v_fmac_f32_e32 v16, v41, v38
	v_fmac_f32_e32 v19, v35, v39
	;; [unrolled: 1-line block ×5, first 2 shown]
	v_fma_f32 v19, -v36, v40, v19
	v_fmac_f32_e32 v17, v35, v40
	v_fma_f32 v18, -v44, v40, v18
	v_fmac_f32_e32 v16, v43, v40
	s_cbranch_scc0 .LBB225_16
; %bb.17:                               ;   in Loop: Header=BB225_15 Depth=1
	v_add_u32_e32 v6, 32, v6
	v_cmp_ge_i32_e32 vcc, v6, v15
	s_or_b64 s[8:9], vcc, s[8:9]
	v_add_u32_e32 v8, 0x400, v8
	s_andn2_b64 exec, exec, s[8:9]
	s_cbranch_execnz .LBB225_15
; %bb.18:
	s_or_b64 exec, exec, s[8:9]
.LBB225_19:
	s_or_b64 exec, exec, s[6:7]
.LBB225_20:
	v_mov_b32_dpp v6, v19 row_shr:1 row_mask:0xf bank_mask:0xf
	v_mov_b32_dpp v8, v17 row_shr:1 row_mask:0xf bank_mask:0xf
	v_mov_b32_dpp v10, v18 row_shr:1 row_mask:0xf bank_mask:0xf
	v_mov_b32_dpp v12, v16 row_shr:1 row_mask:0xf bank_mask:0xf
	v_add_f32_e32 v6, v19, v6
	v_add_f32_e32 v8, v17, v8
	v_add_f32_e32 v10, v18, v10
	v_add_f32_e32 v12, v16, v12
	v_mov_b32_dpp v7, v6 row_shr:2 row_mask:0xf bank_mask:0xf
	v_mov_b32_dpp v9, v8 row_shr:2 row_mask:0xf bank_mask:0xf
	v_mov_b32_dpp v11, v10 row_shr:2 row_mask:0xf bank_mask:0xf
	v_mov_b32_dpp v13, v12 row_shr:2 row_mask:0xf bank_mask:0xf
	v_add_f32_e32 v6, v6, v7
	v_add_f32_e32 v8, v8, v9
	v_add_f32_e32 v10, v10, v11
	v_add_f32_e32 v12, v12, v13
	;; [unrolled: 8-line block ×4, first 2 shown]
	v_mov_b32_dpp v7, v6 row_bcast:15 row_mask:0xa bank_mask:0xf
	v_mov_b32_dpp v9, v8 row_bcast:15 row_mask:0xa bank_mask:0xf
	;; [unrolled: 1-line block ×4, first 2 shown]
	v_cmp_eq_u32_e32 vcc, 31, v0
	s_and_b64 exec, exec, vcc
	s_cbranch_execz .LBB225_25
; %bb.21:
	s_load_dwordx2 s[2:3], s[4:5], 0x38
	v_cmp_eq_f32_e32 vcc, 0, v3
	v_cmp_eq_f32_e64 s[0:1], 0, v4
	v_add_f32_e32 v7, v6, v7
	v_add_f32_e32 v8, v8, v9
	;; [unrolled: 1-line block ×4, first 2 shown]
	s_and_b64 s[0:1], vcc, s[0:1]
	s_and_saveexec_b64 s[4:5], s[0:1]
	s_xor_b64 s[0:1], exec, s[4:5]
	s_cbranch_execz .LBB225_23
; %bb.22:
	v_mul_f32_e64 v3, v8, -v2
	v_mul_f32_e32 v4, v1, v8
	v_fmac_f32_e32 v3, v1, v7
	v_fmac_f32_e32 v4, v2, v7
	v_lshlrev_b32_e32 v7, 1, v5
	v_ashrrev_i32_e32 v8, 31, v7
	v_lshlrev_b64 v[7:8], 3, v[7:8]
	s_waitcnt lgkmcnt(0)
	v_mov_b32_e32 v5, s3
	v_add_co_u32_e32 v7, vcc, s2, v7
	v_addc_co_u32_e32 v8, vcc, v5, v8, vcc
	v_mul_f32_e64 v5, v6, -v2
	v_mul_f32_e32 v6, v1, v6
	v_fmac_f32_e32 v5, v1, v0
	v_fmac_f32_e32 v6, v2, v0
	global_store_dwordx4 v[7:8], v[3:6], off
                                        ; implicit-def: $vgpr5
                                        ; implicit-def: $vgpr1_vgpr2
                                        ; implicit-def: $vgpr8
                                        ; implicit-def: $vgpr7
                                        ; implicit-def: $vgpr3_vgpr4
                                        ; implicit-def: $vgpr6
                                        ; implicit-def: $vgpr0
.LBB225_23:
	s_andn2_saveexec_b64 s[0:1], s[0:1]
	s_cbranch_execz .LBB225_25
; %bb.24:
	v_lshlrev_b32_e32 v9, 1, v5
	v_ashrrev_i32_e32 v10, 31, v9
	v_lshlrev_b64 v[9:10], 3, v[9:10]
	s_waitcnt lgkmcnt(0)
	v_mov_b32_e32 v5, s3
	v_add_co_u32_e32 v17, vcc, s2, v9
	v_addc_co_u32_e32 v18, vcc, v5, v10, vcc
	global_load_dwordx4 v[9:12], v[17:18], off
	v_mul_f32_e64 v5, v8, -v2
	v_mul_f32_e32 v14, v1, v8
	v_mul_f32_e64 v8, v6, -v2
	v_mul_f32_e32 v16, v1, v6
	v_fmac_f32_e32 v5, v1, v7
	v_fmac_f32_e32 v14, v2, v7
	;; [unrolled: 1-line block ×4, first 2 shown]
	s_waitcnt vmcnt(0)
	v_fmac_f32_e32 v5, v3, v9
	v_fmac_f32_e32 v14, v4, v9
	;; [unrolled: 1-line block ×4, first 2 shown]
	v_fma_f32 v13, -v4, v10, v5
	v_fmac_f32_e32 v14, v3, v10
	v_fma_f32 v15, -v4, v12, v8
	v_fmac_f32_e32 v16, v3, v12
	global_store_dwordx4 v[17:18], v[13:16], off
.LBB225_25:
	s_endpgm
	.section	.rodata,"a",@progbits
	.p2align	6, 0x0
	.amdhsa_kernel _ZN9rocsparseL19gebsrmvn_2xn_kernelILj128ELj16ELj32E21rocsparse_complex_numIfEEEvi20rocsparse_direction_NS_24const_host_device_scalarIT2_EEPKiS8_PKS5_SA_S6_PS5_21rocsparse_index_base_b
		.amdhsa_group_segment_fixed_size 0
		.amdhsa_private_segment_fixed_size 0
		.amdhsa_kernarg_size 72
		.amdhsa_user_sgpr_count 6
		.amdhsa_user_sgpr_private_segment_buffer 1
		.amdhsa_user_sgpr_dispatch_ptr 0
		.amdhsa_user_sgpr_queue_ptr 0
		.amdhsa_user_sgpr_kernarg_segment_ptr 1
		.amdhsa_user_sgpr_dispatch_id 0
		.amdhsa_user_sgpr_flat_scratch_init 0
		.amdhsa_user_sgpr_private_segment_size 0
		.amdhsa_uses_dynamic_stack 0
		.amdhsa_system_sgpr_private_segment_wavefront_offset 0
		.amdhsa_system_sgpr_workgroup_id_x 1
		.amdhsa_system_sgpr_workgroup_id_y 0
		.amdhsa_system_sgpr_workgroup_id_z 0
		.amdhsa_system_sgpr_workgroup_info 0
		.amdhsa_system_vgpr_workitem_id 0
		.amdhsa_next_free_vgpr 55
		.amdhsa_next_free_sgpr 18
		.amdhsa_reserve_vcc 1
		.amdhsa_reserve_flat_scratch 0
		.amdhsa_float_round_mode_32 0
		.amdhsa_float_round_mode_16_64 0
		.amdhsa_float_denorm_mode_32 3
		.amdhsa_float_denorm_mode_16_64 3
		.amdhsa_dx10_clamp 1
		.amdhsa_ieee_mode 1
		.amdhsa_fp16_overflow 0
		.amdhsa_exception_fp_ieee_invalid_op 0
		.amdhsa_exception_fp_denorm_src 0
		.amdhsa_exception_fp_ieee_div_zero 0
		.amdhsa_exception_fp_ieee_overflow 0
		.amdhsa_exception_fp_ieee_underflow 0
		.amdhsa_exception_fp_ieee_inexact 0
		.amdhsa_exception_int_div_zero 0
	.end_amdhsa_kernel
	.section	.text._ZN9rocsparseL19gebsrmvn_2xn_kernelILj128ELj16ELj32E21rocsparse_complex_numIfEEEvi20rocsparse_direction_NS_24const_host_device_scalarIT2_EEPKiS8_PKS5_SA_S6_PS5_21rocsparse_index_base_b,"axG",@progbits,_ZN9rocsparseL19gebsrmvn_2xn_kernelILj128ELj16ELj32E21rocsparse_complex_numIfEEEvi20rocsparse_direction_NS_24const_host_device_scalarIT2_EEPKiS8_PKS5_SA_S6_PS5_21rocsparse_index_base_b,comdat
.Lfunc_end225:
	.size	_ZN9rocsparseL19gebsrmvn_2xn_kernelILj128ELj16ELj32E21rocsparse_complex_numIfEEEvi20rocsparse_direction_NS_24const_host_device_scalarIT2_EEPKiS8_PKS5_SA_S6_PS5_21rocsparse_index_base_b, .Lfunc_end225-_ZN9rocsparseL19gebsrmvn_2xn_kernelILj128ELj16ELj32E21rocsparse_complex_numIfEEEvi20rocsparse_direction_NS_24const_host_device_scalarIT2_EEPKiS8_PKS5_SA_S6_PS5_21rocsparse_index_base_b
                                        ; -- End function
	.set _ZN9rocsparseL19gebsrmvn_2xn_kernelILj128ELj16ELj32E21rocsparse_complex_numIfEEEvi20rocsparse_direction_NS_24const_host_device_scalarIT2_EEPKiS8_PKS5_SA_S6_PS5_21rocsparse_index_base_b.num_vgpr, 55
	.set _ZN9rocsparseL19gebsrmvn_2xn_kernelILj128ELj16ELj32E21rocsparse_complex_numIfEEEvi20rocsparse_direction_NS_24const_host_device_scalarIT2_EEPKiS8_PKS5_SA_S6_PS5_21rocsparse_index_base_b.num_agpr, 0
	.set _ZN9rocsparseL19gebsrmvn_2xn_kernelILj128ELj16ELj32E21rocsparse_complex_numIfEEEvi20rocsparse_direction_NS_24const_host_device_scalarIT2_EEPKiS8_PKS5_SA_S6_PS5_21rocsparse_index_base_b.numbered_sgpr, 18
	.set _ZN9rocsparseL19gebsrmvn_2xn_kernelILj128ELj16ELj32E21rocsparse_complex_numIfEEEvi20rocsparse_direction_NS_24const_host_device_scalarIT2_EEPKiS8_PKS5_SA_S6_PS5_21rocsparse_index_base_b.num_named_barrier, 0
	.set _ZN9rocsparseL19gebsrmvn_2xn_kernelILj128ELj16ELj32E21rocsparse_complex_numIfEEEvi20rocsparse_direction_NS_24const_host_device_scalarIT2_EEPKiS8_PKS5_SA_S6_PS5_21rocsparse_index_base_b.private_seg_size, 0
	.set _ZN9rocsparseL19gebsrmvn_2xn_kernelILj128ELj16ELj32E21rocsparse_complex_numIfEEEvi20rocsparse_direction_NS_24const_host_device_scalarIT2_EEPKiS8_PKS5_SA_S6_PS5_21rocsparse_index_base_b.uses_vcc, 1
	.set _ZN9rocsparseL19gebsrmvn_2xn_kernelILj128ELj16ELj32E21rocsparse_complex_numIfEEEvi20rocsparse_direction_NS_24const_host_device_scalarIT2_EEPKiS8_PKS5_SA_S6_PS5_21rocsparse_index_base_b.uses_flat_scratch, 0
	.set _ZN9rocsparseL19gebsrmvn_2xn_kernelILj128ELj16ELj32E21rocsparse_complex_numIfEEEvi20rocsparse_direction_NS_24const_host_device_scalarIT2_EEPKiS8_PKS5_SA_S6_PS5_21rocsparse_index_base_b.has_dyn_sized_stack, 0
	.set _ZN9rocsparseL19gebsrmvn_2xn_kernelILj128ELj16ELj32E21rocsparse_complex_numIfEEEvi20rocsparse_direction_NS_24const_host_device_scalarIT2_EEPKiS8_PKS5_SA_S6_PS5_21rocsparse_index_base_b.has_recursion, 0
	.set _ZN9rocsparseL19gebsrmvn_2xn_kernelILj128ELj16ELj32E21rocsparse_complex_numIfEEEvi20rocsparse_direction_NS_24const_host_device_scalarIT2_EEPKiS8_PKS5_SA_S6_PS5_21rocsparse_index_base_b.has_indirect_call, 0
	.section	.AMDGPU.csdata,"",@progbits
; Kernel info:
; codeLenInByte = 1776
; TotalNumSgprs: 22
; NumVgprs: 55
; ScratchSize: 0
; MemoryBound: 0
; FloatMode: 240
; IeeeMode: 1
; LDSByteSize: 0 bytes/workgroup (compile time only)
; SGPRBlocks: 2
; VGPRBlocks: 13
; NumSGPRsForWavesPerEU: 22
; NumVGPRsForWavesPerEU: 55
; Occupancy: 4
; WaveLimiterHint : 1
; COMPUTE_PGM_RSRC2:SCRATCH_EN: 0
; COMPUTE_PGM_RSRC2:USER_SGPR: 6
; COMPUTE_PGM_RSRC2:TRAP_HANDLER: 0
; COMPUTE_PGM_RSRC2:TGID_X_EN: 1
; COMPUTE_PGM_RSRC2:TGID_Y_EN: 0
; COMPUTE_PGM_RSRC2:TGID_Z_EN: 0
; COMPUTE_PGM_RSRC2:TIDIG_COMP_CNT: 0
	.section	.text._ZN9rocsparseL19gebsrmvn_2xn_kernelILj128ELj16ELj64E21rocsparse_complex_numIfEEEvi20rocsparse_direction_NS_24const_host_device_scalarIT2_EEPKiS8_PKS5_SA_S6_PS5_21rocsparse_index_base_b,"axG",@progbits,_ZN9rocsparseL19gebsrmvn_2xn_kernelILj128ELj16ELj64E21rocsparse_complex_numIfEEEvi20rocsparse_direction_NS_24const_host_device_scalarIT2_EEPKiS8_PKS5_SA_S6_PS5_21rocsparse_index_base_b,comdat
	.globl	_ZN9rocsparseL19gebsrmvn_2xn_kernelILj128ELj16ELj64E21rocsparse_complex_numIfEEEvi20rocsparse_direction_NS_24const_host_device_scalarIT2_EEPKiS8_PKS5_SA_S6_PS5_21rocsparse_index_base_b ; -- Begin function _ZN9rocsparseL19gebsrmvn_2xn_kernelILj128ELj16ELj64E21rocsparse_complex_numIfEEEvi20rocsparse_direction_NS_24const_host_device_scalarIT2_EEPKiS8_PKS5_SA_S6_PS5_21rocsparse_index_base_b
	.p2align	8
	.type	_ZN9rocsparseL19gebsrmvn_2xn_kernelILj128ELj16ELj64E21rocsparse_complex_numIfEEEvi20rocsparse_direction_NS_24const_host_device_scalarIT2_EEPKiS8_PKS5_SA_S6_PS5_21rocsparse_index_base_b,@function
_ZN9rocsparseL19gebsrmvn_2xn_kernelILj128ELj16ELj64E21rocsparse_complex_numIfEEEvi20rocsparse_direction_NS_24const_host_device_scalarIT2_EEPKiS8_PKS5_SA_S6_PS5_21rocsparse_index_base_b: ; @_ZN9rocsparseL19gebsrmvn_2xn_kernelILj128ELj16ELj64E21rocsparse_complex_numIfEEEvi20rocsparse_direction_NS_24const_host_device_scalarIT2_EEPKiS8_PKS5_SA_S6_PS5_21rocsparse_index_base_b
; %bb.0:
	s_load_dwordx2 s[0:1], s[4:5], 0x8
	s_load_dwordx2 s[8:9], s[4:5], 0x30
	;; [unrolled: 1-line block ×3, first 2 shown]
	s_add_u32 s7, s4, 8
	s_addc_u32 s10, s5, 0
	s_add_u32 s11, s4, 48
	s_addc_u32 s12, s5, 0
	s_waitcnt lgkmcnt(0)
	s_bitcmp1_b32 s3, 0
	s_cselect_b32 s1, s10, s1
	s_cselect_b32 s0, s7, s0
	v_mov_b32_e32 v1, s0
	v_mov_b32_e32 v2, s1
	flat_load_dwordx2 v[1:2], v[1:2]
	s_cselect_b32 s0, s12, s9
	s_cselect_b32 s1, s11, s8
	v_mov_b32_e32 v3, s1
	v_mov_b32_e32 v4, s0
	flat_load_dwordx2 v[3:4], v[3:4]
	s_waitcnt vmcnt(0) lgkmcnt(0)
	v_cmp_eq_f32_e32 vcc, 0, v1
	v_cmp_eq_f32_e64 s[0:1], 0, v2
	s_and_b64 s[10:11], vcc, s[0:1]
	s_mov_b64 s[0:1], -1
	s_and_saveexec_b64 s[8:9], s[10:11]
; %bb.1:
	v_cmp_neq_f32_e32 vcc, 1.0, v3
	v_cmp_neq_f32_e64 s[0:1], 0, v4
	s_or_b64 s[0:1], vcc, s[0:1]
	s_orn2_b64 s[0:1], s[0:1], exec
; %bb.2:
	s_or_b64 exec, exec, s[8:9]
	s_and_saveexec_b64 s[8:9], s[0:1]
	s_cbranch_execz .LBB226_25
; %bb.3:
	s_load_dwordx2 s[0:1], s[4:5], 0x0
	v_lshrrev_b32_e32 v5, 6, v0
	v_lshl_or_b32 v5, s6, 1, v5
	s_waitcnt lgkmcnt(0)
	v_cmp_gt_i32_e32 vcc, s0, v5
	s_and_b64 exec, exec, vcc
	s_cbranch_execz .LBB226_25
; %bb.4:
	s_load_dwordx8 s[8:15], s[4:5], 0x10
	v_ashrrev_i32_e32 v6, 31, v5
	v_lshlrev_b64 v[6:7], 2, v[5:6]
	v_and_b32_e32 v0, 63, v0
	s_cmp_lg_u32 s1, 0
	s_waitcnt lgkmcnt(0)
	v_mov_b32_e32 v8, s9
	v_add_co_u32_e32 v6, vcc, s8, v6
	v_addc_co_u32_e32 v7, vcc, v8, v7, vcc
	global_load_dwordx2 v[6:7], v[6:7], off
	s_waitcnt vmcnt(0)
	v_subrev_u32_e32 v6, s2, v6
	v_subrev_u32_e32 v17, s2, v7
	v_add_u32_e32 v6, v6, v0
	v_cmp_lt_i32_e64 s[0:1], v6, v17
	s_cbranch_scc0 .LBB226_12
; %bb.5:
	v_mov_b32_e32 v16, 0
	v_mov_b32_e32 v19, 0
	;; [unrolled: 1-line block ×4, first 2 shown]
	s_and_saveexec_b64 s[6:7], s[0:1]
	s_cbranch_execz .LBB226_11
; %bb.6:
	s_add_u32 s3, s12, 8
	v_lshlrev_b32_e32 v7, 5, v6
	s_addc_u32 s16, s13, 0
	v_or_b32_e32 v20, 6, v7
	v_mov_b32_e32 v9, 0
	s_mov_b64 s[8:9], 0
	v_mov_b32_e32 v21, s16
	v_mov_b32_e32 v22, s11
	v_mov_b32_e32 v23, s15
	v_mov_b32_e32 v24, s13
	v_mov_b32_e32 v10, v6
	v_mov_b32_e32 v16, 0
	v_mov_b32_e32 v19, 0
	v_mov_b32_e32 v18, 0
	v_mov_b32_e32 v15, 0
.LBB226_7:                              ; =>This Loop Header: Depth=1
                                        ;     Child Loop BB226_8 Depth 2
	v_ashrrev_i32_e32 v11, 31, v10
	v_lshlrev_b64 v[11:12], 2, v[10:11]
	v_mov_b32_e32 v8, v9
	v_add_co_u32_e32 v11, vcc, s10, v11
	v_addc_co_u32_e32 v12, vcc, v22, v12, vcc
	global_load_dword v12, v[11:12], off
	v_lshlrev_b64 v[13:14], 3, v[7:8]
	v_mov_b32_e32 v11, v20
	v_add_co_u32_e32 v13, vcc, s3, v13
	v_addc_co_u32_e32 v14, vcc, v21, v14, vcc
	s_mov_b64 s[16:17], 0
	s_waitcnt vmcnt(0)
	v_subrev_u32_e32 v8, s2, v12
	v_lshlrev_b32_e32 v8, 4, v8
	v_lshlrev_b64 v[25:26], 3, v[8:9]
	v_add_co_u32_e32 v25, vcc, s14, v25
	v_addc_co_u32_e32 v26, vcc, v23, v26, vcc
.LBB226_8:                              ;   Parent Loop BB226_7 Depth=1
                                        ; =>  This Inner Loop Header: Depth=2
	v_add_u32_e32 v8, -4, v11
	v_mov_b32_e32 v31, s17
	v_add_co_u32_e32 v39, vcc, s16, v25
	v_lshlrev_b64 v[41:42], 3, v[8:9]
	v_mov_b32_e32 v12, v9
	v_addc_co_u32_e32 v40, vcc, v26, v31, vcc
	global_load_dwordx4 v[27:30], v[13:14], off offset:-8
	v_lshlrev_b64 v[43:44], 3, v[11:12]
	global_load_dwordx4 v[31:34], v[39:40], off
	global_load_dwordx4 v[35:38], v[39:40], off offset:16
	v_add_co_u32_e32 v39, vcc, s12, v41
	v_add_u32_e32 v8, -2, v11
	v_addc_co_u32_e32 v40, vcc, v24, v42, vcc
	v_lshlrev_b64 v[45:46], 3, v[8:9]
	v_add_co_u32_e32 v51, vcc, s12, v43
	v_addc_co_u32_e32 v52, vcc, v24, v44, vcc
	global_load_dwordx4 v[39:42], v[39:40], off
	v_add_co_u32_e32 v53, vcc, s12, v45
	v_addc_co_u32_e32 v54, vcc, v24, v46, vcc
	global_load_dwordx4 v[43:46], v[53:54], off
	global_load_dwordx4 v[47:50], v[51:52], off
	s_add_u32 s16, s16, 32
	v_add_co_u32_e32 v13, vcc, 64, v13
	s_addc_u32 s17, s17, 0
	v_addc_co_u32_e32 v14, vcc, 0, v14, vcc
	v_add_u32_e32 v11, 8, v11
	s_cmpk_eq_i32 s16, 0x80
	s_waitcnt vmcnt(4)
	v_fmac_f32_e32 v19, v27, v31
	v_fmac_f32_e32 v16, v28, v31
	v_fmac_f32_e32 v18, v29, v31
	v_fmac_f32_e32 v15, v30, v31
	v_fma_f32 v8, -v28, v32, v19
	v_fmac_f32_e32 v16, v27, v32
	v_fma_f32 v12, -v30, v32, v18
	v_fmac_f32_e32 v15, v29, v32
	s_waitcnt vmcnt(2)
	v_fmac_f32_e32 v8, v39, v33
	v_fmac_f32_e32 v16, v40, v33
	v_fmac_f32_e32 v12, v41, v33
	v_fmac_f32_e32 v15, v42, v33
	v_fma_f32 v8, -v40, v34, v8
	v_fmac_f32_e32 v16, v39, v34
	v_fma_f32 v12, -v42, v34, v12
	v_fmac_f32_e32 v15, v41, v34
	;; [unrolled: 9-line block ×4, first 2 shown]
	s_cbranch_scc0 .LBB226_8
; %bb.9:                                ;   in Loop: Header=BB226_7 Depth=1
	v_add_u32_e32 v10, 64, v10
	v_cmp_ge_i32_e32 vcc, v10, v17
	v_add_u32_e32 v20, 0x800, v20
	s_or_b64 s[8:9], vcc, s[8:9]
	v_add_u32_e32 v7, 0x800, v7
	s_andn2_b64 exec, exec, s[8:9]
	s_cbranch_execnz .LBB226_7
; %bb.10:
	s_or_b64 exec, exec, s[8:9]
.LBB226_11:
	s_or_b64 exec, exec, s[6:7]
	s_cbranch_execz .LBB226_13
	s_branch .LBB226_20
.LBB226_12:
                                        ; implicit-def: $vgpr16
                                        ; implicit-def: $vgpr19
                                        ; implicit-def: $vgpr18
                                        ; implicit-def: $vgpr15
.LBB226_13:
	v_mov_b32_e32 v16, 0
	v_mov_b32_e32 v19, 0
	;; [unrolled: 1-line block ×4, first 2 shown]
	s_and_saveexec_b64 s[6:7], s[0:1]
	s_cbranch_execz .LBB226_19
; %bb.14:
	v_mov_b32_e32 v9, 0
	v_lshlrev_b32_e32 v8, 5, v6
	s_mov_b64 s[8:9], 0
	v_mov_b32_e32 v10, s13
	v_mov_b32_e32 v11, s11
	;; [unrolled: 1-line block ×7, first 2 shown]
.LBB226_15:                             ; =>This Loop Header: Depth=1
                                        ;     Child Loop BB226_16 Depth 2
	v_ashrrev_i32_e32 v7, 31, v6
	v_lshlrev_b64 v[13:14], 2, v[6:7]
	v_mov_b32_e32 v21, v9
	v_add_co_u32_e32 v13, vcc, s10, v13
	v_addc_co_u32_e32 v14, vcc, v11, v14, vcc
	global_load_dword v20, v[13:14], off
	v_lshlrev_b64 v[13:14], 3, v[8:9]
	s_mov_b64 s[16:17], 0
	v_add_co_u32_e32 v7, vcc, s12, v13
	v_addc_co_u32_e32 v13, vcc, v10, v14, vcc
	s_waitcnt vmcnt(0)
	v_subrev_u32_e32 v14, s2, v20
	v_lshlrev_b32_e32 v20, 4, v14
	v_lshlrev_b64 v[20:21], 3, v[20:21]
	v_add_co_u32_e32 v14, vcc, s14, v20
	v_addc_co_u32_e32 v20, vcc, v12, v21, vcc
.LBB226_16:                             ;   Parent Loop BB226_15 Depth=1
                                        ; =>  This Inner Loop Header: Depth=2
	v_mov_b32_e32 v21, s17
	v_add_co_u32_e64 v47, s[0:1], s16, v7
	v_add_co_u32_e32 v45, vcc, s16, v14
	v_addc_co_u32_e64 v48, s[0:1], v13, v21, s[0:1]
	v_addc_co_u32_e32 v46, vcc, v20, v21, vcc
	global_load_dwordx4 v[21:24], v[47:48], off
	global_load_dwordx4 v[25:28], v[45:46], off
	global_load_dwordx4 v[29:32], v[47:48], off offset:128
	global_load_dwordx4 v[33:36], v[47:48], off offset:16
	;; [unrolled: 1-line block ×4, first 2 shown]
	s_add_u32 s16, s16, 32
	s_addc_u32 s17, s17, 0
	s_cmpk_eq_i32 s16, 0x80
	s_waitcnt vmcnt(4)
	v_fmac_f32_e32 v19, v21, v25
	v_fmac_f32_e32 v16, v22, v25
	s_waitcnt vmcnt(3)
	v_fmac_f32_e32 v18, v29, v25
	v_fmac_f32_e32 v15, v30, v25
	v_fma_f32 v19, -v22, v26, v19
	v_fmac_f32_e32 v16, v21, v26
	v_fma_f32 v18, -v30, v26, v18
	v_fmac_f32_e32 v15, v29, v26
	v_fmac_f32_e32 v19, v23, v27
	v_fmac_f32_e32 v16, v24, v27
	v_fmac_f32_e32 v18, v31, v27
	v_fmac_f32_e32 v15, v32, v27
	v_fma_f32 v19, -v24, v28, v19
	v_fmac_f32_e32 v16, v23, v28
	v_fma_f32 v18, -v32, v28, v18
	v_fmac_f32_e32 v15, v31, v28
	s_waitcnt vmcnt(1)
	v_fmac_f32_e32 v19, v33, v37
	v_fmac_f32_e32 v16, v34, v37
	s_waitcnt vmcnt(0)
	v_fmac_f32_e32 v18, v41, v37
	v_fmac_f32_e32 v15, v42, v37
	v_fma_f32 v19, -v34, v38, v19
	v_fmac_f32_e32 v16, v33, v38
	v_fma_f32 v18, -v42, v38, v18
	v_fmac_f32_e32 v15, v41, v38
	v_fmac_f32_e32 v19, v35, v39
	;; [unrolled: 1-line block ×5, first 2 shown]
	v_fma_f32 v19, -v36, v40, v19
	v_fmac_f32_e32 v16, v35, v40
	v_fma_f32 v18, -v44, v40, v18
	v_fmac_f32_e32 v15, v43, v40
	s_cbranch_scc0 .LBB226_16
; %bb.17:                               ;   in Loop: Header=BB226_15 Depth=1
	v_add_u32_e32 v6, 64, v6
	v_cmp_ge_i32_e32 vcc, v6, v17
	s_or_b64 s[8:9], vcc, s[8:9]
	v_add_u32_e32 v8, 0x800, v8
	s_andn2_b64 exec, exec, s[8:9]
	s_cbranch_execnz .LBB226_15
; %bb.18:
	s_or_b64 exec, exec, s[8:9]
.LBB226_19:
	s_or_b64 exec, exec, s[6:7]
.LBB226_20:
	v_mov_b32_dpp v6, v19 row_shr:1 row_mask:0xf bank_mask:0xf
	v_mov_b32_dpp v8, v16 row_shr:1 row_mask:0xf bank_mask:0xf
	v_mov_b32_dpp v10, v18 row_shr:1 row_mask:0xf bank_mask:0xf
	v_mov_b32_dpp v12, v15 row_shr:1 row_mask:0xf bank_mask:0xf
	v_add_f32_e32 v6, v19, v6
	v_add_f32_e32 v8, v16, v8
	v_add_f32_e32 v10, v18, v10
	v_add_f32_e32 v12, v15, v12
	v_mov_b32_dpp v7, v6 row_shr:2 row_mask:0xf bank_mask:0xf
	v_mov_b32_dpp v9, v8 row_shr:2 row_mask:0xf bank_mask:0xf
	v_mov_b32_dpp v11, v10 row_shr:2 row_mask:0xf bank_mask:0xf
	v_mov_b32_dpp v13, v12 row_shr:2 row_mask:0xf bank_mask:0xf
	v_add_f32_e32 v6, v6, v7
	v_add_f32_e32 v8, v8, v9
	v_add_f32_e32 v10, v10, v11
	v_add_f32_e32 v12, v12, v13
	;; [unrolled: 8-line block ×4, first 2 shown]
	v_mov_b32_dpp v7, v6 row_bcast:15 row_mask:0xa bank_mask:0xf
	v_mov_b32_dpp v9, v8 row_bcast:15 row_mask:0xa bank_mask:0xf
	v_mov_b32_dpp v11, v10 row_bcast:15 row_mask:0xa bank_mask:0xf
	v_mov_b32_dpp v13, v12 row_bcast:15 row_mask:0xa bank_mask:0xf
	v_add_f32_e32 v6, v6, v7
	v_add_f32_e32 v8, v8, v9
	v_add_f32_e32 v10, v10, v11
	v_add_f32_e32 v12, v12, v13
	v_mov_b32_dpp v7, v6 row_bcast:31 row_mask:0xc bank_mask:0xf
	v_mov_b32_dpp v9, v8 row_bcast:31 row_mask:0xc bank_mask:0xf
	v_mov_b32_dpp v11, v10 row_bcast:31 row_mask:0xc bank_mask:0xf
	v_mov_b32_dpp v13, v12 row_bcast:31 row_mask:0xc bank_mask:0xf
	v_cmp_eq_u32_e32 vcc, 63, v0
	s_and_b64 exec, exec, vcc
	s_cbranch_execz .LBB226_25
; %bb.21:
	s_load_dwordx2 s[2:3], s[4:5], 0x38
	v_cmp_eq_f32_e32 vcc, 0, v3
	v_cmp_eq_f32_e64 s[0:1], 0, v4
	v_add_f32_e32 v7, v6, v7
	v_add_f32_e32 v8, v8, v9
	;; [unrolled: 1-line block ×4, first 2 shown]
	s_and_b64 s[0:1], vcc, s[0:1]
	s_and_saveexec_b64 s[4:5], s[0:1]
	s_xor_b64 s[0:1], exec, s[4:5]
	s_cbranch_execz .LBB226_23
; %bb.22:
	v_mul_f32_e64 v3, v8, -v2
	v_mul_f32_e32 v4, v1, v8
	v_fmac_f32_e32 v3, v1, v7
	v_fmac_f32_e32 v4, v2, v7
	v_lshlrev_b32_e32 v7, 1, v5
	v_ashrrev_i32_e32 v8, 31, v7
	v_lshlrev_b64 v[7:8], 3, v[7:8]
	s_waitcnt lgkmcnt(0)
	v_mov_b32_e32 v5, s3
	v_add_co_u32_e32 v7, vcc, s2, v7
	v_addc_co_u32_e32 v8, vcc, v5, v8, vcc
	v_mul_f32_e64 v5, v6, -v2
	v_mul_f32_e32 v6, v1, v6
	v_fmac_f32_e32 v5, v1, v0
	v_fmac_f32_e32 v6, v2, v0
	global_store_dwordx4 v[7:8], v[3:6], off
                                        ; implicit-def: $vgpr5
                                        ; implicit-def: $vgpr1_vgpr2
                                        ; implicit-def: $vgpr8
                                        ; implicit-def: $vgpr7
                                        ; implicit-def: $vgpr3_vgpr4
                                        ; implicit-def: $vgpr6
                                        ; implicit-def: $vgpr0
.LBB226_23:
	s_andn2_saveexec_b64 s[0:1], s[0:1]
	s_cbranch_execz .LBB226_25
; %bb.24:
	v_lshlrev_b32_e32 v9, 1, v5
	v_ashrrev_i32_e32 v10, 31, v9
	v_lshlrev_b64 v[9:10], 3, v[9:10]
	s_waitcnt lgkmcnt(0)
	v_mov_b32_e32 v5, s3
	v_add_co_u32_e32 v17, vcc, s2, v9
	v_addc_co_u32_e32 v18, vcc, v5, v10, vcc
	global_load_dwordx4 v[9:12], v[17:18], off
	v_mul_f32_e64 v5, v8, -v2
	v_mul_f32_e32 v14, v1, v8
	v_mul_f32_e64 v8, v6, -v2
	v_mul_f32_e32 v16, v1, v6
	v_fmac_f32_e32 v5, v1, v7
	v_fmac_f32_e32 v14, v2, v7
	;; [unrolled: 1-line block ×4, first 2 shown]
	s_waitcnt vmcnt(0)
	v_fmac_f32_e32 v5, v3, v9
	v_fmac_f32_e32 v14, v4, v9
	;; [unrolled: 1-line block ×4, first 2 shown]
	v_fma_f32 v13, -v4, v10, v5
	v_fmac_f32_e32 v14, v3, v10
	v_fma_f32 v15, -v4, v12, v8
	v_fmac_f32_e32 v16, v3, v12
	global_store_dwordx4 v[17:18], v[13:16], off
.LBB226_25:
	s_endpgm
	.section	.rodata,"a",@progbits
	.p2align	6, 0x0
	.amdhsa_kernel _ZN9rocsparseL19gebsrmvn_2xn_kernelILj128ELj16ELj64E21rocsparse_complex_numIfEEEvi20rocsparse_direction_NS_24const_host_device_scalarIT2_EEPKiS8_PKS5_SA_S6_PS5_21rocsparse_index_base_b
		.amdhsa_group_segment_fixed_size 0
		.amdhsa_private_segment_fixed_size 0
		.amdhsa_kernarg_size 72
		.amdhsa_user_sgpr_count 6
		.amdhsa_user_sgpr_private_segment_buffer 1
		.amdhsa_user_sgpr_dispatch_ptr 0
		.amdhsa_user_sgpr_queue_ptr 0
		.amdhsa_user_sgpr_kernarg_segment_ptr 1
		.amdhsa_user_sgpr_dispatch_id 0
		.amdhsa_user_sgpr_flat_scratch_init 0
		.amdhsa_user_sgpr_private_segment_size 0
		.amdhsa_uses_dynamic_stack 0
		.amdhsa_system_sgpr_private_segment_wavefront_offset 0
		.amdhsa_system_sgpr_workgroup_id_x 1
		.amdhsa_system_sgpr_workgroup_id_y 0
		.amdhsa_system_sgpr_workgroup_id_z 0
		.amdhsa_system_sgpr_workgroup_info 0
		.amdhsa_system_vgpr_workitem_id 0
		.amdhsa_next_free_vgpr 55
		.amdhsa_next_free_sgpr 18
		.amdhsa_reserve_vcc 1
		.amdhsa_reserve_flat_scratch 0
		.amdhsa_float_round_mode_32 0
		.amdhsa_float_round_mode_16_64 0
		.amdhsa_float_denorm_mode_32 3
		.amdhsa_float_denorm_mode_16_64 3
		.amdhsa_dx10_clamp 1
		.amdhsa_ieee_mode 1
		.amdhsa_fp16_overflow 0
		.amdhsa_exception_fp_ieee_invalid_op 0
		.amdhsa_exception_fp_denorm_src 0
		.amdhsa_exception_fp_ieee_div_zero 0
		.amdhsa_exception_fp_ieee_overflow 0
		.amdhsa_exception_fp_ieee_underflow 0
		.amdhsa_exception_fp_ieee_inexact 0
		.amdhsa_exception_int_div_zero 0
	.end_amdhsa_kernel
	.section	.text._ZN9rocsparseL19gebsrmvn_2xn_kernelILj128ELj16ELj64E21rocsparse_complex_numIfEEEvi20rocsparse_direction_NS_24const_host_device_scalarIT2_EEPKiS8_PKS5_SA_S6_PS5_21rocsparse_index_base_b,"axG",@progbits,_ZN9rocsparseL19gebsrmvn_2xn_kernelILj128ELj16ELj64E21rocsparse_complex_numIfEEEvi20rocsparse_direction_NS_24const_host_device_scalarIT2_EEPKiS8_PKS5_SA_S6_PS5_21rocsparse_index_base_b,comdat
.Lfunc_end226:
	.size	_ZN9rocsparseL19gebsrmvn_2xn_kernelILj128ELj16ELj64E21rocsparse_complex_numIfEEEvi20rocsparse_direction_NS_24const_host_device_scalarIT2_EEPKiS8_PKS5_SA_S6_PS5_21rocsparse_index_base_b, .Lfunc_end226-_ZN9rocsparseL19gebsrmvn_2xn_kernelILj128ELj16ELj64E21rocsparse_complex_numIfEEEvi20rocsparse_direction_NS_24const_host_device_scalarIT2_EEPKiS8_PKS5_SA_S6_PS5_21rocsparse_index_base_b
                                        ; -- End function
	.set _ZN9rocsparseL19gebsrmvn_2xn_kernelILj128ELj16ELj64E21rocsparse_complex_numIfEEEvi20rocsparse_direction_NS_24const_host_device_scalarIT2_EEPKiS8_PKS5_SA_S6_PS5_21rocsparse_index_base_b.num_vgpr, 55
	.set _ZN9rocsparseL19gebsrmvn_2xn_kernelILj128ELj16ELj64E21rocsparse_complex_numIfEEEvi20rocsparse_direction_NS_24const_host_device_scalarIT2_EEPKiS8_PKS5_SA_S6_PS5_21rocsparse_index_base_b.num_agpr, 0
	.set _ZN9rocsparseL19gebsrmvn_2xn_kernelILj128ELj16ELj64E21rocsparse_complex_numIfEEEvi20rocsparse_direction_NS_24const_host_device_scalarIT2_EEPKiS8_PKS5_SA_S6_PS5_21rocsparse_index_base_b.numbered_sgpr, 18
	.set _ZN9rocsparseL19gebsrmvn_2xn_kernelILj128ELj16ELj64E21rocsparse_complex_numIfEEEvi20rocsparse_direction_NS_24const_host_device_scalarIT2_EEPKiS8_PKS5_SA_S6_PS5_21rocsparse_index_base_b.num_named_barrier, 0
	.set _ZN9rocsparseL19gebsrmvn_2xn_kernelILj128ELj16ELj64E21rocsparse_complex_numIfEEEvi20rocsparse_direction_NS_24const_host_device_scalarIT2_EEPKiS8_PKS5_SA_S6_PS5_21rocsparse_index_base_b.private_seg_size, 0
	.set _ZN9rocsparseL19gebsrmvn_2xn_kernelILj128ELj16ELj64E21rocsparse_complex_numIfEEEvi20rocsparse_direction_NS_24const_host_device_scalarIT2_EEPKiS8_PKS5_SA_S6_PS5_21rocsparse_index_base_b.uses_vcc, 1
	.set _ZN9rocsparseL19gebsrmvn_2xn_kernelILj128ELj16ELj64E21rocsparse_complex_numIfEEEvi20rocsparse_direction_NS_24const_host_device_scalarIT2_EEPKiS8_PKS5_SA_S6_PS5_21rocsparse_index_base_b.uses_flat_scratch, 0
	.set _ZN9rocsparseL19gebsrmvn_2xn_kernelILj128ELj16ELj64E21rocsparse_complex_numIfEEEvi20rocsparse_direction_NS_24const_host_device_scalarIT2_EEPKiS8_PKS5_SA_S6_PS5_21rocsparse_index_base_b.has_dyn_sized_stack, 0
	.set _ZN9rocsparseL19gebsrmvn_2xn_kernelILj128ELj16ELj64E21rocsparse_complex_numIfEEEvi20rocsparse_direction_NS_24const_host_device_scalarIT2_EEPKiS8_PKS5_SA_S6_PS5_21rocsparse_index_base_b.has_recursion, 0
	.set _ZN9rocsparseL19gebsrmvn_2xn_kernelILj128ELj16ELj64E21rocsparse_complex_numIfEEEvi20rocsparse_direction_NS_24const_host_device_scalarIT2_EEPKiS8_PKS5_SA_S6_PS5_21rocsparse_index_base_b.has_indirect_call, 0
	.section	.AMDGPU.csdata,"",@progbits
; Kernel info:
; codeLenInByte = 1824
; TotalNumSgprs: 22
; NumVgprs: 55
; ScratchSize: 0
; MemoryBound: 0
; FloatMode: 240
; IeeeMode: 1
; LDSByteSize: 0 bytes/workgroup (compile time only)
; SGPRBlocks: 2
; VGPRBlocks: 13
; NumSGPRsForWavesPerEU: 22
; NumVGPRsForWavesPerEU: 55
; Occupancy: 4
; WaveLimiterHint : 1
; COMPUTE_PGM_RSRC2:SCRATCH_EN: 0
; COMPUTE_PGM_RSRC2:USER_SGPR: 6
; COMPUTE_PGM_RSRC2:TRAP_HANDLER: 0
; COMPUTE_PGM_RSRC2:TGID_X_EN: 1
; COMPUTE_PGM_RSRC2:TGID_Y_EN: 0
; COMPUTE_PGM_RSRC2:TGID_Z_EN: 0
; COMPUTE_PGM_RSRC2:TIDIG_COMP_CNT: 0
	.section	.text._ZN9rocsparseL23gebsrmvn_general_kernelILj32ELj32E21rocsparse_complex_numIfEEEvi20rocsparse_direction_NS_24const_host_device_scalarIT1_EEPKiS8_PKS5_iiSA_S6_PS5_21rocsparse_index_base_b,"axG",@progbits,_ZN9rocsparseL23gebsrmvn_general_kernelILj32ELj32E21rocsparse_complex_numIfEEEvi20rocsparse_direction_NS_24const_host_device_scalarIT1_EEPKiS8_PKS5_iiSA_S6_PS5_21rocsparse_index_base_b,comdat
	.globl	_ZN9rocsparseL23gebsrmvn_general_kernelILj32ELj32E21rocsparse_complex_numIfEEEvi20rocsparse_direction_NS_24const_host_device_scalarIT1_EEPKiS8_PKS5_iiSA_S6_PS5_21rocsparse_index_base_b ; -- Begin function _ZN9rocsparseL23gebsrmvn_general_kernelILj32ELj32E21rocsparse_complex_numIfEEEvi20rocsparse_direction_NS_24const_host_device_scalarIT1_EEPKiS8_PKS5_iiSA_S6_PS5_21rocsparse_index_base_b
	.p2align	8
	.type	_ZN9rocsparseL23gebsrmvn_general_kernelILj32ELj32E21rocsparse_complex_numIfEEEvi20rocsparse_direction_NS_24const_host_device_scalarIT1_EEPKiS8_PKS5_iiSA_S6_PS5_21rocsparse_index_base_b,@function
_ZN9rocsparseL23gebsrmvn_general_kernelILj32ELj32E21rocsparse_complex_numIfEEEvi20rocsparse_direction_NS_24const_host_device_scalarIT1_EEPKiS8_PKS5_iiSA_S6_PS5_21rocsparse_index_base_b: ; @_ZN9rocsparseL23gebsrmvn_general_kernelILj32ELj32E21rocsparse_complex_numIfEEEvi20rocsparse_direction_NS_24const_host_device_scalarIT1_EEPKiS8_PKS5_iiSA_S6_PS5_21rocsparse_index_base_b
; %bb.0:
	s_load_dwordx2 s[0:1], s[4:5], 0x8
	s_load_dwordx2 s[2:3], s[4:5], 0x38
	;; [unrolled: 1-line block ×3, first 2 shown]
	s_add_u32 s7, s4, 8
	s_addc_u32 s8, s5, 0
	s_add_u32 s9, s4, 56
	s_addc_u32 s10, s5, 0
	s_waitcnt lgkmcnt(0)
	s_bitcmp1_b32 s13, 0
	s_cselect_b32 s1, s8, s1
	s_cselect_b32 s0, s7, s0
	v_mov_b32_e32 v1, s0
	v_mov_b32_e32 v2, s1
	flat_load_dwordx2 v[1:2], v[1:2]
	s_cselect_b32 s0, s10, s3
	s_cselect_b32 s1, s9, s2
	v_mov_b32_e32 v3, s1
	v_mov_b32_e32 v4, s0
	flat_load_dwordx2 v[3:4], v[3:4]
	s_waitcnt vmcnt(0) lgkmcnt(0)
	v_cmp_eq_f32_e32 vcc, 0, v1
	v_cmp_eq_f32_e64 s[0:1], 0, v2
	s_and_b64 s[8:9], vcc, s[0:1]
	s_mov_b64 s[0:1], -1
	s_and_saveexec_b64 s[2:3], s[8:9]
; %bb.1:
	v_cmp_neq_f32_e32 vcc, 1.0, v3
	v_cmp_neq_f32_e64 s[0:1], 0, v4
	s_or_b64 s[0:1], vcc, s[0:1]
	s_orn2_b64 s[0:1], s[0:1], exec
; %bb.2:
	s_or_b64 exec, exec, s[2:3]
	s_and_saveexec_b64 s[2:3], s[0:1]
	s_cbranch_execz .LBB227_22
; %bb.3:
	s_load_dwordx2 s[14:15], s[4:5], 0x28
	s_waitcnt lgkmcnt(0)
	s_cmp_gt_i32 s14, 0
	s_cselect_b64 s[0:1], -1, 0
	s_and_b64 exec, exec, s[0:1]
	s_cbranch_execz .LBB227_22
; %bb.4:
	s_load_dwordx4 s[8:11], s[4:5], 0x10
	s_load_dword s20, s[4:5], 0x4
	s_ashr_i32 s7, s6, 31
	s_lshl_b64 s[0:1], s[6:7], 2
	v_cmp_eq_f32_e32 vcc, 0, v3
	s_waitcnt lgkmcnt(0)
	s_add_u32 s0, s8, s0
	s_addc_u32 s1, s9, s1
	s_load_dwordx2 s[2:3], s[0:1], 0x0
	s_load_dwordx2 s[8:9], s[4:5], 0x20
	;; [unrolled: 1-line block ×4, first 2 shown]
	v_cmp_eq_f32_e64 s[4:5], 0, v4
	s_waitcnt lgkmcnt(0)
	s_sub_i32 s13, s2, s12
	s_sub_i32 s33, s3, s12
	s_cmp_lt_i32 s2, s3
	s_cselect_b64 s[24:25], -1, 0
	s_cmp_lg_u32 s20, 0
	s_cselect_b64 s[20:21], -1, 0
	s_and_b64 s[22:23], vcc, s[4:5]
	s_mul_i32 s4, s14, s13
	s_mul_i32 s4, s15, s4
	v_cndmask_b32_e64 v6, 0, 1, s[24:25]
	v_mov_b32_e32 v5, 0
	v_cmp_gt_i32_e64 s[0:1], s15, v0
	v_cmp_eq_u32_e64 s[2:3], 31, v0
	s_mul_i32 s34, s14, s6
	v_mov_b32_e32 v10, s4
	s_mul_i32 s35, s15, s14
	s_mov_b64 s[6:7], 0
	v_cmp_ne_u32_e64 s[4:5], 1, v6
	s_branch .LBB227_6
.LBB227_5:                              ;   in Loop: Header=BB227_6 Depth=1
	s_or_b64 exec, exec, s[24:25]
	v_add_u32_e32 v5, 1, v5
	v_cmp_le_i32_e32 vcc, s14, v5
	s_or_b64 s[6:7], vcc, s[6:7]
	v_add_u32_e32 v10, s15, v10
	s_andn2_b64 exec, exec, s[6:7]
	s_cbranch_execz .LBB227_22
.LBB227_6:                              ; =>This Loop Header: Depth=1
                                        ;     Child Loop BB227_10 Depth 2
                                        ;       Child Loop BB227_13 Depth 3
	s_and_b64 vcc, exec, s[4:5]
	v_mov_b32_e32 v8, 0
	v_mov_b32_e32 v9, 0
	s_cbranch_vccnz .LBB227_17
; %bb.7:                                ;   in Loop: Header=BB227_6 Depth=1
	v_mov_b32_e32 v8, 0
	v_mov_b32_e32 v11, v10
	s_mov_b32 s24, s13
	v_mov_b32_e32 v9, 0
	s_branch .LBB227_10
.LBB227_8:                              ;   in Loop: Header=BB227_10 Depth=2
	s_or_b64 exec, exec, s[28:29]
.LBB227_9:                              ;   in Loop: Header=BB227_10 Depth=2
	s_or_b64 exec, exec, s[26:27]
	s_add_i32 s24, s24, 1
	s_cmp_ge_i32 s24, s33
	v_add_u32_e32 v11, s35, v11
	s_cbranch_scc1 .LBB227_17
.LBB227_10:                             ;   Parent Loop BB227_6 Depth=1
                                        ; =>  This Loop Header: Depth=2
                                        ;       Child Loop BB227_13 Depth 3
	s_and_saveexec_b64 s[26:27], s[0:1]
	s_cbranch_execz .LBB227_9
; %bb.11:                               ;   in Loop: Header=BB227_10 Depth=2
	s_ashr_i32 s25, s24, 31
	s_lshl_b64 s[28:29], s[24:25], 2
	s_add_u32 s28, s10, s28
	s_addc_u32 s29, s11, s29
	s_load_dword s30, s[28:29], 0x0
	s_mul_i32 s25, s24, s15
	s_mov_b64 s[28:29], 0
	v_mov_b32_e32 v12, v0
	s_waitcnt lgkmcnt(0)
	s_sub_i32 s36, s30, s12
	s_mul_i32 s36, s36, s15
	s_branch .LBB227_13
.LBB227_12:                             ;   in Loop: Header=BB227_13 Depth=3
	v_ashrrev_i32_e32 v7, 31, v6
	v_lshlrev_b64 v[6:7], 3, v[6:7]
	v_mov_b32_e32 v13, s9
	v_add_co_u32_e32 v6, vcc, s8, v6
	v_addc_co_u32_e32 v7, vcc, v13, v7, vcc
	v_add_u32_e32 v13, s36, v12
	v_ashrrev_i32_e32 v14, 31, v13
	v_lshlrev_b64 v[13:14], 3, v[13:14]
	v_mov_b32_e32 v15, s17
	v_add_co_u32_e32 v13, vcc, s16, v13
	v_addc_co_u32_e32 v14, vcc, v15, v14, vcc
	global_load_dwordx2 v[6:7], v[6:7], off
	v_add_u32_e32 v12, 32, v12
	global_load_dwordx2 v[13:14], v[13:14], off
	v_cmp_le_i32_e32 vcc, s15, v12
	s_or_b64 s[28:29], vcc, s[28:29]
	s_waitcnt vmcnt(0)
	v_fmac_f32_e32 v9, v6, v13
	v_fmac_f32_e32 v8, v7, v13
	v_fma_f32 v9, -v7, v14, v9
	v_fmac_f32_e32 v8, v6, v14
	s_andn2_b64 exec, exec, s[28:29]
	s_cbranch_execz .LBB227_8
.LBB227_13:                             ;   Parent Loop BB227_6 Depth=1
                                        ;     Parent Loop BB227_10 Depth=2
                                        ; =>    This Inner Loop Header: Depth=3
	s_and_b64 vcc, exec, s[20:21]
	s_cbranch_vccz .LBB227_15
; %bb.14:                               ;   in Loop: Header=BB227_13 Depth=3
	v_add_u32_e32 v6, s25, v12
	v_mad_u64_u32 v[6:7], s[30:31], v6, s14, v[5:6]
	s_cbranch_execnz .LBB227_12
	s_branch .LBB227_16
.LBB227_15:                             ;   in Loop: Header=BB227_13 Depth=3
                                        ; implicit-def: $vgpr6
.LBB227_16:                             ;   in Loop: Header=BB227_13 Depth=3
	v_add_u32_e32 v6, v11, v12
	s_branch .LBB227_12
.LBB227_17:                             ;   in Loop: Header=BB227_6 Depth=1
	s_nop 0
	v_mov_b32_dpp v6, v9 row_shr:1 row_mask:0xf bank_mask:0xf
	v_add_f32_e32 v6, v9, v6
	v_mov_b32_dpp v9, v8 row_shr:1 row_mask:0xf bank_mask:0xf
	v_add_f32_e32 v8, v8, v9
	;; [unrolled: 2-line block ×8, first 2 shown]
	v_mov_b32_dpp v7, v6 row_bcast:15 row_mask:0xa bank_mask:0xf
	s_nop 0
	v_mov_b32_dpp v9, v8 row_bcast:15 row_mask:0xa bank_mask:0xf
	s_and_saveexec_b64 s[24:25], s[2:3]
	s_cbranch_execz .LBB227_5
; %bb.18:                               ;   in Loop: Header=BB227_6 Depth=1
	v_add_f32_e32 v11, v6, v7
	v_add_f32_e32 v7, v8, v9
	v_mul_f32_e64 v6, v7, -v2
	v_mul_f32_e32 v7, v1, v7
	v_add_u32_e32 v8, s34, v5
	v_fmac_f32_e32 v6, v1, v11
	v_fmac_f32_e32 v7, v2, v11
	v_ashrrev_i32_e32 v9, 31, v8
	s_and_saveexec_b64 s[26:27], s[22:23]
	s_xor_b64 s[26:27], exec, s[26:27]
	s_cbranch_execz .LBB227_20
; %bb.19:                               ;   in Loop: Header=BB227_6 Depth=1
	v_lshlrev_b64 v[8:9], 3, v[8:9]
	v_mov_b32_e32 v11, s19
	v_add_co_u32_e32 v8, vcc, s18, v8
	v_addc_co_u32_e32 v9, vcc, v11, v9, vcc
	global_store_dwordx2 v[8:9], v[6:7], off
                                        ; implicit-def: $vgpr8
                                        ; implicit-def: $vgpr6
.LBB227_20:                             ;   in Loop: Header=BB227_6 Depth=1
	s_andn2_saveexec_b64 s[26:27], s[26:27]
	s_cbranch_execz .LBB227_5
; %bb.21:                               ;   in Loop: Header=BB227_6 Depth=1
	v_lshlrev_b64 v[8:9], 3, v[8:9]
	v_mov_b32_e32 v11, s19
	v_add_co_u32_e32 v8, vcc, s18, v8
	v_addc_co_u32_e32 v9, vcc, v11, v9, vcc
	global_load_dwordx2 v[11:12], v[8:9], off
	s_waitcnt vmcnt(0)
	v_fmac_f32_e32 v6, v3, v11
	v_fmac_f32_e32 v7, v4, v11
	v_fma_f32 v6, -v4, v12, v6
	v_fmac_f32_e32 v7, v3, v12
	global_store_dwordx2 v[8:9], v[6:7], off
	s_branch .LBB227_5
.LBB227_22:
	s_endpgm
	.section	.rodata,"a",@progbits
	.p2align	6, 0x0
	.amdhsa_kernel _ZN9rocsparseL23gebsrmvn_general_kernelILj32ELj32E21rocsparse_complex_numIfEEEvi20rocsparse_direction_NS_24const_host_device_scalarIT1_EEPKiS8_PKS5_iiSA_S6_PS5_21rocsparse_index_base_b
		.amdhsa_group_segment_fixed_size 0
		.amdhsa_private_segment_fixed_size 0
		.amdhsa_kernarg_size 80
		.amdhsa_user_sgpr_count 6
		.amdhsa_user_sgpr_private_segment_buffer 1
		.amdhsa_user_sgpr_dispatch_ptr 0
		.amdhsa_user_sgpr_queue_ptr 0
		.amdhsa_user_sgpr_kernarg_segment_ptr 1
		.amdhsa_user_sgpr_dispatch_id 0
		.amdhsa_user_sgpr_flat_scratch_init 0
		.amdhsa_user_sgpr_private_segment_size 0
		.amdhsa_uses_dynamic_stack 0
		.amdhsa_system_sgpr_private_segment_wavefront_offset 0
		.amdhsa_system_sgpr_workgroup_id_x 1
		.amdhsa_system_sgpr_workgroup_id_y 0
		.amdhsa_system_sgpr_workgroup_id_z 0
		.amdhsa_system_sgpr_workgroup_info 0
		.amdhsa_system_vgpr_workitem_id 0
		.amdhsa_next_free_vgpr 16
		.amdhsa_next_free_sgpr 37
		.amdhsa_reserve_vcc 1
		.amdhsa_reserve_flat_scratch 0
		.amdhsa_float_round_mode_32 0
		.amdhsa_float_round_mode_16_64 0
		.amdhsa_float_denorm_mode_32 3
		.amdhsa_float_denorm_mode_16_64 3
		.amdhsa_dx10_clamp 1
		.amdhsa_ieee_mode 1
		.amdhsa_fp16_overflow 0
		.amdhsa_exception_fp_ieee_invalid_op 0
		.amdhsa_exception_fp_denorm_src 0
		.amdhsa_exception_fp_ieee_div_zero 0
		.amdhsa_exception_fp_ieee_overflow 0
		.amdhsa_exception_fp_ieee_underflow 0
		.amdhsa_exception_fp_ieee_inexact 0
		.amdhsa_exception_int_div_zero 0
	.end_amdhsa_kernel
	.section	.text._ZN9rocsparseL23gebsrmvn_general_kernelILj32ELj32E21rocsparse_complex_numIfEEEvi20rocsparse_direction_NS_24const_host_device_scalarIT1_EEPKiS8_PKS5_iiSA_S6_PS5_21rocsparse_index_base_b,"axG",@progbits,_ZN9rocsparseL23gebsrmvn_general_kernelILj32ELj32E21rocsparse_complex_numIfEEEvi20rocsparse_direction_NS_24const_host_device_scalarIT1_EEPKiS8_PKS5_iiSA_S6_PS5_21rocsparse_index_base_b,comdat
.Lfunc_end227:
	.size	_ZN9rocsparseL23gebsrmvn_general_kernelILj32ELj32E21rocsparse_complex_numIfEEEvi20rocsparse_direction_NS_24const_host_device_scalarIT1_EEPKiS8_PKS5_iiSA_S6_PS5_21rocsparse_index_base_b, .Lfunc_end227-_ZN9rocsparseL23gebsrmvn_general_kernelILj32ELj32E21rocsparse_complex_numIfEEEvi20rocsparse_direction_NS_24const_host_device_scalarIT1_EEPKiS8_PKS5_iiSA_S6_PS5_21rocsparse_index_base_b
                                        ; -- End function
	.set _ZN9rocsparseL23gebsrmvn_general_kernelILj32ELj32E21rocsparse_complex_numIfEEEvi20rocsparse_direction_NS_24const_host_device_scalarIT1_EEPKiS8_PKS5_iiSA_S6_PS5_21rocsparse_index_base_b.num_vgpr, 16
	.set _ZN9rocsparseL23gebsrmvn_general_kernelILj32ELj32E21rocsparse_complex_numIfEEEvi20rocsparse_direction_NS_24const_host_device_scalarIT1_EEPKiS8_PKS5_iiSA_S6_PS5_21rocsparse_index_base_b.num_agpr, 0
	.set _ZN9rocsparseL23gebsrmvn_general_kernelILj32ELj32E21rocsparse_complex_numIfEEEvi20rocsparse_direction_NS_24const_host_device_scalarIT1_EEPKiS8_PKS5_iiSA_S6_PS5_21rocsparse_index_base_b.numbered_sgpr, 37
	.set _ZN9rocsparseL23gebsrmvn_general_kernelILj32ELj32E21rocsparse_complex_numIfEEEvi20rocsparse_direction_NS_24const_host_device_scalarIT1_EEPKiS8_PKS5_iiSA_S6_PS5_21rocsparse_index_base_b.num_named_barrier, 0
	.set _ZN9rocsparseL23gebsrmvn_general_kernelILj32ELj32E21rocsparse_complex_numIfEEEvi20rocsparse_direction_NS_24const_host_device_scalarIT1_EEPKiS8_PKS5_iiSA_S6_PS5_21rocsparse_index_base_b.private_seg_size, 0
	.set _ZN9rocsparseL23gebsrmvn_general_kernelILj32ELj32E21rocsparse_complex_numIfEEEvi20rocsparse_direction_NS_24const_host_device_scalarIT1_EEPKiS8_PKS5_iiSA_S6_PS5_21rocsparse_index_base_b.uses_vcc, 1
	.set _ZN9rocsparseL23gebsrmvn_general_kernelILj32ELj32E21rocsparse_complex_numIfEEEvi20rocsparse_direction_NS_24const_host_device_scalarIT1_EEPKiS8_PKS5_iiSA_S6_PS5_21rocsparse_index_base_b.uses_flat_scratch, 0
	.set _ZN9rocsparseL23gebsrmvn_general_kernelILj32ELj32E21rocsparse_complex_numIfEEEvi20rocsparse_direction_NS_24const_host_device_scalarIT1_EEPKiS8_PKS5_iiSA_S6_PS5_21rocsparse_index_base_b.has_dyn_sized_stack, 0
	.set _ZN9rocsparseL23gebsrmvn_general_kernelILj32ELj32E21rocsparse_complex_numIfEEEvi20rocsparse_direction_NS_24const_host_device_scalarIT1_EEPKiS8_PKS5_iiSA_S6_PS5_21rocsparse_index_base_b.has_recursion, 0
	.set _ZN9rocsparseL23gebsrmvn_general_kernelILj32ELj32E21rocsparse_complex_numIfEEEvi20rocsparse_direction_NS_24const_host_device_scalarIT1_EEPKiS8_PKS5_iiSA_S6_PS5_21rocsparse_index_base_b.has_indirect_call, 0
	.section	.AMDGPU.csdata,"",@progbits
; Kernel info:
; codeLenInByte = 936
; TotalNumSgprs: 41
; NumVgprs: 16
; ScratchSize: 0
; MemoryBound: 0
; FloatMode: 240
; IeeeMode: 1
; LDSByteSize: 0 bytes/workgroup (compile time only)
; SGPRBlocks: 5
; VGPRBlocks: 3
; NumSGPRsForWavesPerEU: 41
; NumVGPRsForWavesPerEU: 16
; Occupancy: 10
; WaveLimiterHint : 1
; COMPUTE_PGM_RSRC2:SCRATCH_EN: 0
; COMPUTE_PGM_RSRC2:USER_SGPR: 6
; COMPUTE_PGM_RSRC2:TRAP_HANDLER: 0
; COMPUTE_PGM_RSRC2:TGID_X_EN: 1
; COMPUTE_PGM_RSRC2:TGID_Y_EN: 0
; COMPUTE_PGM_RSRC2:TGID_Z_EN: 0
; COMPUTE_PGM_RSRC2:TIDIG_COMP_CNT: 0
	.section	.text._ZN9rocsparseL19gebsrmvn_2xn_kernelILj128ELj1ELj4E21rocsparse_complex_numIdEEEvi20rocsparse_direction_NS_24const_host_device_scalarIT2_EEPKiS8_PKS5_SA_S6_PS5_21rocsparse_index_base_b,"axG",@progbits,_ZN9rocsparseL19gebsrmvn_2xn_kernelILj128ELj1ELj4E21rocsparse_complex_numIdEEEvi20rocsparse_direction_NS_24const_host_device_scalarIT2_EEPKiS8_PKS5_SA_S6_PS5_21rocsparse_index_base_b,comdat
	.globl	_ZN9rocsparseL19gebsrmvn_2xn_kernelILj128ELj1ELj4E21rocsparse_complex_numIdEEEvi20rocsparse_direction_NS_24const_host_device_scalarIT2_EEPKiS8_PKS5_SA_S6_PS5_21rocsparse_index_base_b ; -- Begin function _ZN9rocsparseL19gebsrmvn_2xn_kernelILj128ELj1ELj4E21rocsparse_complex_numIdEEEvi20rocsparse_direction_NS_24const_host_device_scalarIT2_EEPKiS8_PKS5_SA_S6_PS5_21rocsparse_index_base_b
	.p2align	8
	.type	_ZN9rocsparseL19gebsrmvn_2xn_kernelILj128ELj1ELj4E21rocsparse_complex_numIdEEEvi20rocsparse_direction_NS_24const_host_device_scalarIT2_EEPKiS8_PKS5_SA_S6_PS5_21rocsparse_index_base_b,@function
_ZN9rocsparseL19gebsrmvn_2xn_kernelILj128ELj1ELj4E21rocsparse_complex_numIdEEEvi20rocsparse_direction_NS_24const_host_device_scalarIT2_EEPKiS8_PKS5_SA_S6_PS5_21rocsparse_index_base_b: ; @_ZN9rocsparseL19gebsrmvn_2xn_kernelILj128ELj1ELj4E21rocsparse_complex_numIdEEEvi20rocsparse_direction_NS_24const_host_device_scalarIT2_EEPKiS8_PKS5_SA_S6_PS5_21rocsparse_index_base_b
; %bb.0:
	s_load_dwordx2 s[0:1], s[4:5], 0x8
	s_load_dwordx2 s[8:9], s[4:5], 0x38
	;; [unrolled: 1-line block ×3, first 2 shown]
	s_add_u32 s7, s4, 8
	s_addc_u32 s10, s5, 0
	s_add_u32 s11, s4, 56
	s_addc_u32 s12, s5, 0
	s_waitcnt lgkmcnt(0)
	s_bitcmp1_b32 s3, 0
	s_cselect_b32 s1, s10, s1
	s_cselect_b32 s0, s7, s0
	v_mov_b32_e32 v1, s0
	v_mov_b32_e32 v2, s1
	flat_load_dwordx4 v[1:4], v[1:2]
	s_cselect_b32 s0, s12, s9
	s_cselect_b32 s1, s11, s8
	v_mov_b32_e32 v5, s1
	v_mov_b32_e32 v6, s0
	flat_load_dwordx4 v[5:8], v[5:6]
	s_waitcnt vmcnt(0) lgkmcnt(0)
	v_cmp_eq_f64_e32 vcc, 0, v[1:2]
	v_cmp_eq_f64_e64 s[0:1], 0, v[3:4]
	s_and_b64 s[10:11], vcc, s[0:1]
	s_mov_b64 s[0:1], -1
	s_and_saveexec_b64 s[8:9], s[10:11]
	s_cbranch_execz .LBB228_2
; %bb.1:
	v_cmp_neq_f64_e32 vcc, 1.0, v[5:6]
	v_cmp_neq_f64_e64 s[0:1], 0, v[7:8]
	s_or_b64 s[0:1], vcc, s[0:1]
	s_orn2_b64 s[0:1], s[0:1], exec
.LBB228_2:
	s_or_b64 exec, exec, s[8:9]
	s_and_saveexec_b64 s[8:9], s[0:1]
	s_cbranch_execz .LBB228_21
; %bb.3:
	s_load_dwordx2 s[0:1], s[4:5], 0x0
	v_lshrrev_b32_e32 v9, 2, v0
	v_lshl_or_b32 v9, s6, 5, v9
	s_waitcnt lgkmcnt(0)
	v_cmp_gt_i32_e32 vcc, s0, v9
	s_and_b64 exec, exec, vcc
	s_cbranch_execz .LBB228_21
; %bb.4:
	s_load_dwordx8 s[8:15], s[4:5], 0x18
	v_ashrrev_i32_e32 v10, 31, v9
	v_lshlrev_b64 v[10:11], 2, v[9:10]
	v_and_b32_e32 v0, 3, v0
	s_cmp_lg_u32 s1, 0
	s_waitcnt lgkmcnt(0)
	v_mov_b32_e32 v12, s9
	v_add_co_u32_e32 v10, vcc, s8, v10
	v_addc_co_u32_e32 v11, vcc, v12, v11, vcc
	global_load_dwordx2 v[10:11], v[10:11], off
	s_waitcnt vmcnt(0)
	v_subrev_u32_e32 v10, s2, v10
	v_subrev_u32_e32 v24, s2, v11
	v_add_u32_e32 v12, v10, v0
	v_cmp_lt_i32_e64 s[0:1], v12, v24
	s_cbranch_scc0 .LBB228_10
; %bb.5:
	v_mov_b32_e32 v10, 0
	v_mov_b32_e32 v18, 0
	;; [unrolled: 1-line block ×8, first 2 shown]
	s_and_saveexec_b64 s[6:7], s[0:1]
	s_cbranch_execz .LBB228_9
; %bb.6:
	v_mov_b32_e32 v10, 0
	v_mov_b32_e32 v18, 0
	;; [unrolled: 1-line block ×4, first 2 shown]
	v_lshlrev_b32_e32 v20, 1, v12
	v_mov_b32_e32 v11, 0
	s_mov_b64 s[8:9], 0
	v_mov_b32_e32 v13, s11
	v_mov_b32_e32 v21, 0
	;; [unrolled: 1-line block ×8, first 2 shown]
.LBB228_7:                              ; =>This Inner Loop Header: Depth=1
	v_ashrrev_i32_e32 v23, 31, v22
	v_lshlrev_b64 v[27:28], 2, v[22:23]
	v_mov_b32_e32 v36, v21
	v_add_co_u32_e32 v27, vcc, s10, v27
	v_addc_co_u32_e32 v28, vcc, v13, v28, vcc
	global_load_dword v23, v[27:28], off
	v_lshlrev_b64 v[27:28], 4, v[20:21]
	v_add_u32_e32 v22, 4, v22
	v_add_co_u32_e32 v37, vcc, s12, v27
	v_addc_co_u32_e32 v38, vcc, v25, v28, vcc
	global_load_dwordx4 v[27:30], v[37:38], off offset:16
	global_load_dwordx4 v[31:34], v[37:38], off
	v_add_u32_e32 v20, 8, v20
	s_waitcnt vmcnt(2)
	v_subrev_u32_e32 v35, s2, v23
	v_lshlrev_b64 v[35:36], 4, v[35:36]
	v_add_co_u32_e32 v35, vcc, s14, v35
	v_addc_co_u32_e32 v36, vcc, v26, v36, vcc
	global_load_dwordx4 v[35:38], v[35:36], off
	v_cmp_ge_i32_e32 vcc, v22, v24
	s_or_b64 s[8:9], vcc, s[8:9]
	s_waitcnt vmcnt(0)
	v_fma_f64 v[18:19], v[31:32], v[35:36], v[18:19]
	v_fma_f64 v[10:11], v[33:34], v[35:36], v[10:11]
	;; [unrolled: 1-line block ×4, first 2 shown]
	v_fma_f64 v[18:19], -v[33:34], v[37:38], v[18:19]
	v_fma_f64 v[10:11], v[31:32], v[37:38], v[10:11]
	v_fma_f64 v[16:17], -v[29:30], v[37:38], v[16:17]
	v_fma_f64 v[14:15], v[27:28], v[37:38], v[14:15]
	s_andn2_b64 exec, exec, s[8:9]
	s_cbranch_execnz .LBB228_7
; %bb.8:
	s_or_b64 exec, exec, s[8:9]
.LBB228_9:
	s_or_b64 exec, exec, s[6:7]
	s_cbranch_execz .LBB228_11
	s_branch .LBB228_16
.LBB228_10:
                                        ; implicit-def: $vgpr10_vgpr11
                                        ; implicit-def: $vgpr18_vgpr19
                                        ; implicit-def: $vgpr16_vgpr17
                                        ; implicit-def: $vgpr14_vgpr15
.LBB228_11:
	v_mov_b32_e32 v10, 0
	v_mov_b32_e32 v18, 0
	;; [unrolled: 1-line block ×8, first 2 shown]
	s_and_saveexec_b64 s[6:7], s[0:1]
	s_cbranch_execz .LBB228_15
; %bb.12:
	v_mov_b32_e32 v10, 0
	v_mov_b32_e32 v18, 0
	;; [unrolled: 1-line block ×4, first 2 shown]
	v_lshlrev_b32_e32 v20, 1, v12
	v_mov_b32_e32 v11, 0
	s_mov_b64 s[0:1], 0
	v_mov_b32_e32 v22, s11
	v_mov_b32_e32 v21, 0
	;; [unrolled: 1-line block ×7, first 2 shown]
.LBB228_13:                             ; =>This Inner Loop Header: Depth=1
	v_ashrrev_i32_e32 v13, 31, v12
	v_lshlrev_b64 v[26:27], 2, v[12:13]
	v_mov_b32_e32 v35, v21
	v_add_co_u32_e32 v26, vcc, s10, v26
	v_addc_co_u32_e32 v27, vcc, v22, v27, vcc
	global_load_dword v13, v[26:27], off
	v_lshlrev_b64 v[26:27], 4, v[20:21]
	v_add_u32_e32 v12, 4, v12
	v_add_co_u32_e32 v36, vcc, s12, v26
	v_addc_co_u32_e32 v37, vcc, v23, v27, vcc
	global_load_dwordx4 v[26:29], v[36:37], off
	global_load_dwordx4 v[30:33], v[36:37], off offset:16
	v_add_u32_e32 v20, 8, v20
	s_waitcnt vmcnt(2)
	v_subrev_u32_e32 v34, s2, v13
	v_lshlrev_b64 v[34:35], 4, v[34:35]
	v_add_co_u32_e32 v34, vcc, s14, v34
	v_addc_co_u32_e32 v35, vcc, v25, v35, vcc
	global_load_dwordx4 v[34:37], v[34:35], off
	v_cmp_ge_i32_e32 vcc, v12, v24
	s_or_b64 s[0:1], vcc, s[0:1]
	s_waitcnt vmcnt(0)
	v_fma_f64 v[18:19], v[26:27], v[34:35], v[18:19]
	v_fma_f64 v[10:11], v[28:29], v[34:35], v[10:11]
	;; [unrolled: 1-line block ×4, first 2 shown]
	v_fma_f64 v[18:19], -v[28:29], v[36:37], v[18:19]
	v_fma_f64 v[10:11], v[26:27], v[36:37], v[10:11]
	v_fma_f64 v[16:17], -v[32:33], v[36:37], v[16:17]
	v_fma_f64 v[14:15], v[30:31], v[36:37], v[13:14]
	s_andn2_b64 exec, exec, s[0:1]
	s_cbranch_execnz .LBB228_13
; %bb.14:
	s_or_b64 exec, exec, s[0:1]
.LBB228_15:
	s_or_b64 exec, exec, s[6:7]
.LBB228_16:
	v_mov_b32_dpp v12, v18 row_shr:1 row_mask:0xf bank_mask:0xf
	v_mov_b32_dpp v13, v19 row_shr:1 row_mask:0xf bank_mask:0xf
	v_add_f64 v[12:13], v[18:19], v[12:13]
	v_mov_b32_dpp v18, v10 row_shr:1 row_mask:0xf bank_mask:0xf
	v_mov_b32_dpp v19, v11 row_shr:1 row_mask:0xf bank_mask:0xf
	v_add_f64 v[18:19], v[10:11], v[18:19]
	;; [unrolled: 3-line block ×4, first 2 shown]
	v_mov_b32_dpp v10, v12 row_shr:2 row_mask:0xf bank_mask:0xf
	v_mov_b32_dpp v11, v13 row_shr:2 row_mask:0xf bank_mask:0xf
	v_mov_b32_dpp v16, v18 row_shr:2 row_mask:0xf bank_mask:0xf
	v_mov_b32_dpp v17, v19 row_shr:2 row_mask:0xf bank_mask:0xf
	v_mov_b32_dpp v24, v20 row_shr:2 row_mask:0xf bank_mask:0xf
	v_mov_b32_dpp v25, v21 row_shr:2 row_mask:0xf bank_mask:0xf
	v_cmp_eq_u32_e32 vcc, 3, v0
	v_mov_b32_dpp v22, v14 row_shr:2 row_mask:0xf bank_mask:0xf
	v_mov_b32_dpp v23, v15 row_shr:2 row_mask:0xf bank_mask:0xf
	s_and_b64 exec, exec, vcc
	s_cbranch_execz .LBB228_21
; %bb.17:
	v_cmp_eq_f64_e32 vcc, 0, v[5:6]
	v_cmp_eq_f64_e64 s[0:1], 0, v[7:8]
	v_add_f64 v[10:11], v[12:13], v[10:11]
	v_add_f64 v[16:17], v[18:19], v[16:17]
	;; [unrolled: 1-line block ×4, first 2 shown]
	s_load_dwordx2 s[2:3], s[4:5], 0x48
	s_and_b64 s[0:1], vcc, s[0:1]
	s_and_saveexec_b64 s[4:5], s[0:1]
	s_xor_b64 s[0:1], exec, s[4:5]
	s_cbranch_execz .LBB228_19
; %bb.18:
	v_mul_f64 v[5:6], v[16:17], -v[3:4]
	v_mul_f64 v[7:8], v[1:2], v[16:17]
	v_mul_f64 v[16:17], v[14:15], -v[3:4]
	v_mul_f64 v[14:15], v[1:2], v[14:15]
	v_lshlrev_b32_e32 v9, 1, v9
	s_waitcnt lgkmcnt(0)
	v_mov_b32_e32 v18, s3
	v_fma_f64 v[5:6], v[1:2], v[10:11], v[5:6]
	v_fma_f64 v[7:8], v[3:4], v[10:11], v[7:8]
	;; [unrolled: 1-line block ×4, first 2 shown]
	v_ashrrev_i32_e32 v10, 31, v9
	v_lshlrev_b64 v[9:10], 4, v[9:10]
                                        ; implicit-def: $vgpr16_vgpr17
                                        ; implicit-def: $vgpr12_vgpr13
                                        ; implicit-def: $vgpr14_vgpr15
	v_add_co_u32_e32 v9, vcc, s2, v9
	v_addc_co_u32_e32 v10, vcc, v18, v10, vcc
	global_store_dwordx4 v[9:10], v[5:8], off
	global_store_dwordx4 v[9:10], v[0:3], off offset:16
                                        ; implicit-def: $vgpr9
                                        ; implicit-def: $vgpr10_vgpr11
                                        ; implicit-def: $vgpr7_vgpr8
                                        ; implicit-def: $vgpr3_vgpr4
.LBB228_19:
	s_andn2_saveexec_b64 s[0:1], s[0:1]
	s_cbranch_execz .LBB228_21
; %bb.20:
	v_lshlrev_b32_e32 v18, 1, v9
	v_ashrrev_i32_e32 v19, 31, v18
	v_lshlrev_b64 v[18:19], 4, v[18:19]
	s_waitcnt lgkmcnt(0)
	v_mov_b32_e32 v0, s3
	v_add_co_u32_e32 v26, vcc, s2, v18
	v_addc_co_u32_e32 v27, vcc, v0, v19, vcc
	global_load_dwordx4 v[18:21], v[26:27], off
	global_load_dwordx4 v[22:25], v[26:27], off offset:16
	v_mul_f64 v[28:29], v[16:17], -v[3:4]
	v_mul_f64 v[16:17], v[1:2], v[16:17]
	v_mul_f64 v[30:31], v[14:15], -v[3:4]
	v_mul_f64 v[14:15], v[1:2], v[14:15]
	v_fma_f64 v[28:29], v[1:2], v[10:11], v[28:29]
	v_fma_f64 v[9:10], v[3:4], v[10:11], v[16:17]
	;; [unrolled: 1-line block ×4, first 2 shown]
	s_waitcnt vmcnt(1)
	v_fma_f64 v[11:12], v[5:6], v[18:19], v[28:29]
	v_fma_f64 v[9:10], v[7:8], v[18:19], v[9:10]
	s_waitcnt vmcnt(0)
	v_fma_f64 v[13:14], v[5:6], v[22:23], v[0:1]
	v_fma_f64 v[15:16], v[7:8], v[22:23], v[2:3]
	v_fma_f64 v[0:1], -v[7:8], v[20:21], v[11:12]
	v_fma_f64 v[2:3], v[5:6], v[20:21], v[9:10]
	v_fma_f64 v[7:8], -v[7:8], v[24:25], v[13:14]
	v_fma_f64 v[9:10], v[5:6], v[24:25], v[15:16]
	global_store_dwordx4 v[26:27], v[0:3], off
	global_store_dwordx4 v[26:27], v[7:10], off offset:16
.LBB228_21:
	s_endpgm
	.section	.rodata,"a",@progbits
	.p2align	6, 0x0
	.amdhsa_kernel _ZN9rocsparseL19gebsrmvn_2xn_kernelILj128ELj1ELj4E21rocsparse_complex_numIdEEEvi20rocsparse_direction_NS_24const_host_device_scalarIT2_EEPKiS8_PKS5_SA_S6_PS5_21rocsparse_index_base_b
		.amdhsa_group_segment_fixed_size 0
		.amdhsa_private_segment_fixed_size 0
		.amdhsa_kernarg_size 88
		.amdhsa_user_sgpr_count 6
		.amdhsa_user_sgpr_private_segment_buffer 1
		.amdhsa_user_sgpr_dispatch_ptr 0
		.amdhsa_user_sgpr_queue_ptr 0
		.amdhsa_user_sgpr_kernarg_segment_ptr 1
		.amdhsa_user_sgpr_dispatch_id 0
		.amdhsa_user_sgpr_flat_scratch_init 0
		.amdhsa_user_sgpr_private_segment_size 0
		.amdhsa_uses_dynamic_stack 0
		.amdhsa_system_sgpr_private_segment_wavefront_offset 0
		.amdhsa_system_sgpr_workgroup_id_x 1
		.amdhsa_system_sgpr_workgroup_id_y 0
		.amdhsa_system_sgpr_workgroup_id_z 0
		.amdhsa_system_sgpr_workgroup_info 0
		.amdhsa_system_vgpr_workitem_id 0
		.amdhsa_next_free_vgpr 39
		.amdhsa_next_free_sgpr 16
		.amdhsa_reserve_vcc 1
		.amdhsa_reserve_flat_scratch 0
		.amdhsa_float_round_mode_32 0
		.amdhsa_float_round_mode_16_64 0
		.amdhsa_float_denorm_mode_32 3
		.amdhsa_float_denorm_mode_16_64 3
		.amdhsa_dx10_clamp 1
		.amdhsa_ieee_mode 1
		.amdhsa_fp16_overflow 0
		.amdhsa_exception_fp_ieee_invalid_op 0
		.amdhsa_exception_fp_denorm_src 0
		.amdhsa_exception_fp_ieee_div_zero 0
		.amdhsa_exception_fp_ieee_overflow 0
		.amdhsa_exception_fp_ieee_underflow 0
		.amdhsa_exception_fp_ieee_inexact 0
		.amdhsa_exception_int_div_zero 0
	.end_amdhsa_kernel
	.section	.text._ZN9rocsparseL19gebsrmvn_2xn_kernelILj128ELj1ELj4E21rocsparse_complex_numIdEEEvi20rocsparse_direction_NS_24const_host_device_scalarIT2_EEPKiS8_PKS5_SA_S6_PS5_21rocsparse_index_base_b,"axG",@progbits,_ZN9rocsparseL19gebsrmvn_2xn_kernelILj128ELj1ELj4E21rocsparse_complex_numIdEEEvi20rocsparse_direction_NS_24const_host_device_scalarIT2_EEPKiS8_PKS5_SA_S6_PS5_21rocsparse_index_base_b,comdat
.Lfunc_end228:
	.size	_ZN9rocsparseL19gebsrmvn_2xn_kernelILj128ELj1ELj4E21rocsparse_complex_numIdEEEvi20rocsparse_direction_NS_24const_host_device_scalarIT2_EEPKiS8_PKS5_SA_S6_PS5_21rocsparse_index_base_b, .Lfunc_end228-_ZN9rocsparseL19gebsrmvn_2xn_kernelILj128ELj1ELj4E21rocsparse_complex_numIdEEEvi20rocsparse_direction_NS_24const_host_device_scalarIT2_EEPKiS8_PKS5_SA_S6_PS5_21rocsparse_index_base_b
                                        ; -- End function
	.set _ZN9rocsparseL19gebsrmvn_2xn_kernelILj128ELj1ELj4E21rocsparse_complex_numIdEEEvi20rocsparse_direction_NS_24const_host_device_scalarIT2_EEPKiS8_PKS5_SA_S6_PS5_21rocsparse_index_base_b.num_vgpr, 39
	.set _ZN9rocsparseL19gebsrmvn_2xn_kernelILj128ELj1ELj4E21rocsparse_complex_numIdEEEvi20rocsparse_direction_NS_24const_host_device_scalarIT2_EEPKiS8_PKS5_SA_S6_PS5_21rocsparse_index_base_b.num_agpr, 0
	.set _ZN9rocsparseL19gebsrmvn_2xn_kernelILj128ELj1ELj4E21rocsparse_complex_numIdEEEvi20rocsparse_direction_NS_24const_host_device_scalarIT2_EEPKiS8_PKS5_SA_S6_PS5_21rocsparse_index_base_b.numbered_sgpr, 16
	.set _ZN9rocsparseL19gebsrmvn_2xn_kernelILj128ELj1ELj4E21rocsparse_complex_numIdEEEvi20rocsparse_direction_NS_24const_host_device_scalarIT2_EEPKiS8_PKS5_SA_S6_PS5_21rocsparse_index_base_b.num_named_barrier, 0
	.set _ZN9rocsparseL19gebsrmvn_2xn_kernelILj128ELj1ELj4E21rocsparse_complex_numIdEEEvi20rocsparse_direction_NS_24const_host_device_scalarIT2_EEPKiS8_PKS5_SA_S6_PS5_21rocsparse_index_base_b.private_seg_size, 0
	.set _ZN9rocsparseL19gebsrmvn_2xn_kernelILj128ELj1ELj4E21rocsparse_complex_numIdEEEvi20rocsparse_direction_NS_24const_host_device_scalarIT2_EEPKiS8_PKS5_SA_S6_PS5_21rocsparse_index_base_b.uses_vcc, 1
	.set _ZN9rocsparseL19gebsrmvn_2xn_kernelILj128ELj1ELj4E21rocsparse_complex_numIdEEEvi20rocsparse_direction_NS_24const_host_device_scalarIT2_EEPKiS8_PKS5_SA_S6_PS5_21rocsparse_index_base_b.uses_flat_scratch, 0
	.set _ZN9rocsparseL19gebsrmvn_2xn_kernelILj128ELj1ELj4E21rocsparse_complex_numIdEEEvi20rocsparse_direction_NS_24const_host_device_scalarIT2_EEPKiS8_PKS5_SA_S6_PS5_21rocsparse_index_base_b.has_dyn_sized_stack, 0
	.set _ZN9rocsparseL19gebsrmvn_2xn_kernelILj128ELj1ELj4E21rocsparse_complex_numIdEEEvi20rocsparse_direction_NS_24const_host_device_scalarIT2_EEPKiS8_PKS5_SA_S6_PS5_21rocsparse_index_base_b.has_recursion, 0
	.set _ZN9rocsparseL19gebsrmvn_2xn_kernelILj128ELj1ELj4E21rocsparse_complex_numIdEEEvi20rocsparse_direction_NS_24const_host_device_scalarIT2_EEPKiS8_PKS5_SA_S6_PS5_21rocsparse_index_base_b.has_indirect_call, 0
	.section	.AMDGPU.csdata,"",@progbits
; Kernel info:
; codeLenInByte = 1436
; TotalNumSgprs: 20
; NumVgprs: 39
; ScratchSize: 0
; MemoryBound: 0
; FloatMode: 240
; IeeeMode: 1
; LDSByteSize: 0 bytes/workgroup (compile time only)
; SGPRBlocks: 2
; VGPRBlocks: 9
; NumSGPRsForWavesPerEU: 20
; NumVGPRsForWavesPerEU: 39
; Occupancy: 6
; WaveLimiterHint : 1
; COMPUTE_PGM_RSRC2:SCRATCH_EN: 0
; COMPUTE_PGM_RSRC2:USER_SGPR: 6
; COMPUTE_PGM_RSRC2:TRAP_HANDLER: 0
; COMPUTE_PGM_RSRC2:TGID_X_EN: 1
; COMPUTE_PGM_RSRC2:TGID_Y_EN: 0
; COMPUTE_PGM_RSRC2:TGID_Z_EN: 0
; COMPUTE_PGM_RSRC2:TIDIG_COMP_CNT: 0
	.section	.text._ZN9rocsparseL19gebsrmvn_2xn_kernelILj128ELj1ELj8E21rocsparse_complex_numIdEEEvi20rocsparse_direction_NS_24const_host_device_scalarIT2_EEPKiS8_PKS5_SA_S6_PS5_21rocsparse_index_base_b,"axG",@progbits,_ZN9rocsparseL19gebsrmvn_2xn_kernelILj128ELj1ELj8E21rocsparse_complex_numIdEEEvi20rocsparse_direction_NS_24const_host_device_scalarIT2_EEPKiS8_PKS5_SA_S6_PS5_21rocsparse_index_base_b,comdat
	.globl	_ZN9rocsparseL19gebsrmvn_2xn_kernelILj128ELj1ELj8E21rocsparse_complex_numIdEEEvi20rocsparse_direction_NS_24const_host_device_scalarIT2_EEPKiS8_PKS5_SA_S6_PS5_21rocsparse_index_base_b ; -- Begin function _ZN9rocsparseL19gebsrmvn_2xn_kernelILj128ELj1ELj8E21rocsparse_complex_numIdEEEvi20rocsparse_direction_NS_24const_host_device_scalarIT2_EEPKiS8_PKS5_SA_S6_PS5_21rocsparse_index_base_b
	.p2align	8
	.type	_ZN9rocsparseL19gebsrmvn_2xn_kernelILj128ELj1ELj8E21rocsparse_complex_numIdEEEvi20rocsparse_direction_NS_24const_host_device_scalarIT2_EEPKiS8_PKS5_SA_S6_PS5_21rocsparse_index_base_b,@function
_ZN9rocsparseL19gebsrmvn_2xn_kernelILj128ELj1ELj8E21rocsparse_complex_numIdEEEvi20rocsparse_direction_NS_24const_host_device_scalarIT2_EEPKiS8_PKS5_SA_S6_PS5_21rocsparse_index_base_b: ; @_ZN9rocsparseL19gebsrmvn_2xn_kernelILj128ELj1ELj8E21rocsparse_complex_numIdEEEvi20rocsparse_direction_NS_24const_host_device_scalarIT2_EEPKiS8_PKS5_SA_S6_PS5_21rocsparse_index_base_b
; %bb.0:
	s_load_dwordx2 s[0:1], s[4:5], 0x8
	s_load_dwordx2 s[8:9], s[4:5], 0x38
	;; [unrolled: 1-line block ×3, first 2 shown]
	s_add_u32 s7, s4, 8
	s_addc_u32 s10, s5, 0
	s_add_u32 s11, s4, 56
	s_addc_u32 s12, s5, 0
	s_waitcnt lgkmcnt(0)
	s_bitcmp1_b32 s3, 0
	s_cselect_b32 s1, s10, s1
	s_cselect_b32 s0, s7, s0
	v_mov_b32_e32 v1, s0
	v_mov_b32_e32 v2, s1
	flat_load_dwordx4 v[1:4], v[1:2]
	s_cselect_b32 s0, s12, s9
	s_cselect_b32 s1, s11, s8
	v_mov_b32_e32 v5, s1
	v_mov_b32_e32 v6, s0
	flat_load_dwordx4 v[5:8], v[5:6]
	s_waitcnt vmcnt(0) lgkmcnt(0)
	v_cmp_eq_f64_e32 vcc, 0, v[1:2]
	v_cmp_eq_f64_e64 s[0:1], 0, v[3:4]
	s_and_b64 s[10:11], vcc, s[0:1]
	s_mov_b64 s[0:1], -1
	s_and_saveexec_b64 s[8:9], s[10:11]
	s_cbranch_execz .LBB229_2
; %bb.1:
	v_cmp_neq_f64_e32 vcc, 1.0, v[5:6]
	v_cmp_neq_f64_e64 s[0:1], 0, v[7:8]
	s_or_b64 s[0:1], vcc, s[0:1]
	s_orn2_b64 s[0:1], s[0:1], exec
.LBB229_2:
	s_or_b64 exec, exec, s[8:9]
	s_and_saveexec_b64 s[8:9], s[0:1]
	s_cbranch_execz .LBB229_21
; %bb.3:
	s_load_dwordx2 s[0:1], s[4:5], 0x0
	v_lshrrev_b32_e32 v9, 3, v0
	v_lshl_or_b32 v9, s6, 4, v9
	s_waitcnt lgkmcnt(0)
	v_cmp_gt_i32_e32 vcc, s0, v9
	s_and_b64 exec, exec, vcc
	s_cbranch_execz .LBB229_21
; %bb.4:
	s_load_dwordx8 s[8:15], s[4:5], 0x18
	v_ashrrev_i32_e32 v10, 31, v9
	v_lshlrev_b64 v[10:11], 2, v[9:10]
	v_and_b32_e32 v0, 7, v0
	s_cmp_lg_u32 s1, 0
	s_waitcnt lgkmcnt(0)
	v_mov_b32_e32 v12, s9
	v_add_co_u32_e32 v10, vcc, s8, v10
	v_addc_co_u32_e32 v11, vcc, v12, v11, vcc
	global_load_dwordx2 v[10:11], v[10:11], off
	s_waitcnt vmcnt(0)
	v_subrev_u32_e32 v10, s2, v10
	v_subrev_u32_e32 v24, s2, v11
	v_add_u32_e32 v16, v10, v0
	v_cmp_lt_i32_e64 s[0:1], v16, v24
	s_cbranch_scc0 .LBB229_10
; %bb.5:
	v_mov_b32_e32 v10, 0
	v_mov_b32_e32 v18, 0
	;; [unrolled: 1-line block ×8, first 2 shown]
	s_and_saveexec_b64 s[6:7], s[0:1]
	s_cbranch_execz .LBB229_9
; %bb.6:
	v_mov_b32_e32 v10, 0
	v_mov_b32_e32 v18, 0
	v_mov_b32_e32 v14, 0
	v_mov_b32_e32 v12, 0
	v_lshlrev_b32_e32 v20, 1, v16
	v_mov_b32_e32 v11, 0
	s_mov_b64 s[8:9], 0
	v_mov_b32_e32 v17, s11
	v_mov_b32_e32 v21, 0
	;; [unrolled: 1-line block ×8, first 2 shown]
.LBB229_7:                              ; =>This Inner Loop Header: Depth=1
	v_ashrrev_i32_e32 v23, 31, v22
	v_lshlrev_b64 v[27:28], 2, v[22:23]
	v_mov_b32_e32 v36, v21
	v_add_co_u32_e32 v27, vcc, s10, v27
	v_addc_co_u32_e32 v28, vcc, v17, v28, vcc
	global_load_dword v23, v[27:28], off
	v_lshlrev_b64 v[27:28], 4, v[20:21]
	v_add_u32_e32 v22, 8, v22
	v_add_co_u32_e32 v37, vcc, s12, v27
	v_addc_co_u32_e32 v38, vcc, v25, v28, vcc
	global_load_dwordx4 v[27:30], v[37:38], off offset:16
	global_load_dwordx4 v[31:34], v[37:38], off
	v_add_u32_e32 v20, 16, v20
	s_waitcnt vmcnt(2)
	v_subrev_u32_e32 v35, s2, v23
	v_lshlrev_b64 v[35:36], 4, v[35:36]
	v_add_co_u32_e32 v35, vcc, s14, v35
	v_addc_co_u32_e32 v36, vcc, v26, v36, vcc
	global_load_dwordx4 v[35:38], v[35:36], off
	v_cmp_ge_i32_e32 vcc, v22, v24
	s_or_b64 s[8:9], vcc, s[8:9]
	s_waitcnt vmcnt(0)
	v_fma_f64 v[18:19], v[31:32], v[35:36], v[18:19]
	v_fma_f64 v[10:11], v[33:34], v[35:36], v[10:11]
	;; [unrolled: 1-line block ×4, first 2 shown]
	v_fma_f64 v[18:19], -v[33:34], v[37:38], v[18:19]
	v_fma_f64 v[10:11], v[31:32], v[37:38], v[10:11]
	v_fma_f64 v[14:15], -v[29:30], v[37:38], v[14:15]
	v_fma_f64 v[12:13], v[27:28], v[37:38], v[12:13]
	s_andn2_b64 exec, exec, s[8:9]
	s_cbranch_execnz .LBB229_7
; %bb.8:
	s_or_b64 exec, exec, s[8:9]
.LBB229_9:
	s_or_b64 exec, exec, s[6:7]
	s_cbranch_execz .LBB229_11
	s_branch .LBB229_16
.LBB229_10:
                                        ; implicit-def: $vgpr10_vgpr11
                                        ; implicit-def: $vgpr18_vgpr19
                                        ; implicit-def: $vgpr14_vgpr15
                                        ; implicit-def: $vgpr12_vgpr13
.LBB229_11:
	v_mov_b32_e32 v10, 0
	v_mov_b32_e32 v18, 0
	;; [unrolled: 1-line block ×8, first 2 shown]
	s_and_saveexec_b64 s[6:7], s[0:1]
	s_cbranch_execz .LBB229_15
; %bb.12:
	v_mov_b32_e32 v10, 0
	v_mov_b32_e32 v18, 0
	;; [unrolled: 1-line block ×4, first 2 shown]
	v_lshlrev_b32_e32 v20, 1, v16
	v_mov_b32_e32 v11, 0
	s_mov_b64 s[0:1], 0
	v_mov_b32_e32 v22, s11
	v_mov_b32_e32 v21, 0
	;; [unrolled: 1-line block ×7, first 2 shown]
.LBB229_13:                             ; =>This Inner Loop Header: Depth=1
	v_ashrrev_i32_e32 v17, 31, v16
	v_lshlrev_b64 v[26:27], 2, v[16:17]
	v_mov_b32_e32 v35, v21
	v_add_co_u32_e32 v26, vcc, s10, v26
	v_addc_co_u32_e32 v27, vcc, v22, v27, vcc
	global_load_dword v17, v[26:27], off
	v_lshlrev_b64 v[26:27], 4, v[20:21]
	v_add_u32_e32 v16, 8, v16
	v_add_co_u32_e32 v36, vcc, s12, v26
	v_addc_co_u32_e32 v37, vcc, v23, v27, vcc
	global_load_dwordx4 v[26:29], v[36:37], off
	global_load_dwordx4 v[30:33], v[36:37], off offset:16
	v_add_u32_e32 v20, 16, v20
	s_waitcnt vmcnt(2)
	v_subrev_u32_e32 v34, s2, v17
	v_lshlrev_b64 v[34:35], 4, v[34:35]
	v_add_co_u32_e32 v34, vcc, s14, v34
	v_addc_co_u32_e32 v35, vcc, v25, v35, vcc
	global_load_dwordx4 v[34:37], v[34:35], off
	v_cmp_ge_i32_e32 vcc, v16, v24
	s_or_b64 s[0:1], vcc, s[0:1]
	s_waitcnt vmcnt(0)
	v_fma_f64 v[17:18], v[26:27], v[34:35], v[18:19]
	v_fma_f64 v[10:11], v[28:29], v[34:35], v[10:11]
	;; [unrolled: 1-line block ×4, first 2 shown]
	v_fma_f64 v[18:19], -v[28:29], v[36:37], v[17:18]
	v_fma_f64 v[10:11], v[26:27], v[36:37], v[10:11]
	v_fma_f64 v[14:15], -v[32:33], v[36:37], v[14:15]
	v_fma_f64 v[12:13], v[30:31], v[36:37], v[12:13]
	s_andn2_b64 exec, exec, s[0:1]
	s_cbranch_execnz .LBB229_13
; %bb.14:
	s_or_b64 exec, exec, s[0:1]
.LBB229_15:
	s_or_b64 exec, exec, s[6:7]
.LBB229_16:
	v_mov_b32_dpp v16, v18 row_shr:1 row_mask:0xf bank_mask:0xf
	v_mov_b32_dpp v17, v19 row_shr:1 row_mask:0xf bank_mask:0xf
	v_add_f64 v[16:17], v[18:19], v[16:17]
	v_mov_b32_dpp v18, v10 row_shr:1 row_mask:0xf bank_mask:0xf
	v_mov_b32_dpp v19, v11 row_shr:1 row_mask:0xf bank_mask:0xf
	;; [unrolled: 1-line block ×4, first 2 shown]
	v_add_f64 v[18:19], v[10:11], v[18:19]
	v_add_f64 v[14:15], v[14:15], v[20:21]
	v_mov_b32_dpp v20, v12 row_shr:1 row_mask:0xf bank_mask:0xf
	v_mov_b32_dpp v21, v13 row_shr:1 row_mask:0xf bank_mask:0xf
	v_add_f64 v[20:21], v[12:13], v[20:21]
	v_mov_b32_dpp v10, v16 row_shr:2 row_mask:0xf bank_mask:0xf
	v_mov_b32_dpp v11, v17 row_shr:2 row_mask:0xf bank_mask:0xf
	;; [unrolled: 3-line block ×3, first 2 shown]
	v_mov_b32_dpp v16, v14 row_shr:2 row_mask:0xf bank_mask:0xf
	v_mov_b32_dpp v17, v15 row_shr:2 row_mask:0xf bank_mask:0xf
	v_add_f64 v[12:13], v[18:19], v[12:13]
	v_add_f64 v[18:19], v[14:15], v[16:17]
	v_mov_b32_dpp v14, v20 row_shr:2 row_mask:0xf bank_mask:0xf
	v_mov_b32_dpp v15, v21 row_shr:2 row_mask:0xf bank_mask:0xf
	v_add_f64 v[14:15], v[20:21], v[14:15]
	v_mov_b32_dpp v24, v10 row_shr:4 row_mask:0xf bank_mask:0xe
	v_mov_b32_dpp v25, v11 row_shr:4 row_mask:0xf bank_mask:0xe
	v_cmp_eq_u32_e32 vcc, 7, v0
	v_mov_b32_dpp v16, v12 row_shr:4 row_mask:0xf bank_mask:0xe
	v_mov_b32_dpp v17, v13 row_shr:4 row_mask:0xf bank_mask:0xe
	;; [unrolled: 1-line block ×6, first 2 shown]
	s_and_b64 exec, exec, vcc
	s_cbranch_execz .LBB229_21
; %bb.17:
	v_cmp_eq_f64_e32 vcc, 0, v[5:6]
	v_cmp_eq_f64_e64 s[0:1], 0, v[7:8]
	v_add_f64 v[10:11], v[10:11], v[24:25]
	v_add_f64 v[16:17], v[12:13], v[16:17]
	;; [unrolled: 1-line block ×4, first 2 shown]
	s_load_dwordx2 s[2:3], s[4:5], 0x48
	s_and_b64 s[0:1], vcc, s[0:1]
	s_and_saveexec_b64 s[4:5], s[0:1]
	s_xor_b64 s[0:1], exec, s[4:5]
	s_cbranch_execz .LBB229_19
; %bb.18:
	v_mul_f64 v[5:6], v[16:17], -v[3:4]
	v_mul_f64 v[7:8], v[1:2], v[16:17]
	v_mul_f64 v[16:17], v[14:15], -v[3:4]
	v_mul_f64 v[14:15], v[1:2], v[14:15]
	v_lshlrev_b32_e32 v9, 1, v9
	s_waitcnt lgkmcnt(0)
	v_mov_b32_e32 v18, s3
	v_fma_f64 v[5:6], v[1:2], v[10:11], v[5:6]
	v_fma_f64 v[7:8], v[3:4], v[10:11], v[7:8]
	;; [unrolled: 1-line block ×4, first 2 shown]
	v_ashrrev_i32_e32 v10, 31, v9
	v_lshlrev_b64 v[9:10], 4, v[9:10]
                                        ; implicit-def: $vgpr16_vgpr17
                                        ; implicit-def: $vgpr12_vgpr13
                                        ; implicit-def: $vgpr14_vgpr15
	v_add_co_u32_e32 v9, vcc, s2, v9
	v_addc_co_u32_e32 v10, vcc, v18, v10, vcc
	global_store_dwordx4 v[9:10], v[5:8], off
	global_store_dwordx4 v[9:10], v[0:3], off offset:16
                                        ; implicit-def: $vgpr9
                                        ; implicit-def: $vgpr10_vgpr11
                                        ; implicit-def: $vgpr7_vgpr8
                                        ; implicit-def: $vgpr3_vgpr4
.LBB229_19:
	s_andn2_saveexec_b64 s[0:1], s[0:1]
	s_cbranch_execz .LBB229_21
; %bb.20:
	v_lshlrev_b32_e32 v18, 1, v9
	v_ashrrev_i32_e32 v19, 31, v18
	v_lshlrev_b64 v[18:19], 4, v[18:19]
	s_waitcnt lgkmcnt(0)
	v_mov_b32_e32 v0, s3
	v_add_co_u32_e32 v26, vcc, s2, v18
	v_addc_co_u32_e32 v27, vcc, v0, v19, vcc
	global_load_dwordx4 v[18:21], v[26:27], off
	global_load_dwordx4 v[22:25], v[26:27], off offset:16
	v_mul_f64 v[28:29], v[16:17], -v[3:4]
	v_mul_f64 v[16:17], v[1:2], v[16:17]
	v_mul_f64 v[30:31], v[14:15], -v[3:4]
	v_mul_f64 v[14:15], v[1:2], v[14:15]
	v_fma_f64 v[28:29], v[1:2], v[10:11], v[28:29]
	v_fma_f64 v[9:10], v[3:4], v[10:11], v[16:17]
	;; [unrolled: 1-line block ×4, first 2 shown]
	s_waitcnt vmcnt(1)
	v_fma_f64 v[11:12], v[5:6], v[18:19], v[28:29]
	v_fma_f64 v[9:10], v[7:8], v[18:19], v[9:10]
	s_waitcnt vmcnt(0)
	v_fma_f64 v[13:14], v[5:6], v[22:23], v[0:1]
	v_fma_f64 v[15:16], v[7:8], v[22:23], v[2:3]
	v_fma_f64 v[0:1], -v[7:8], v[20:21], v[11:12]
	v_fma_f64 v[2:3], v[5:6], v[20:21], v[9:10]
	v_fma_f64 v[7:8], -v[7:8], v[24:25], v[13:14]
	v_fma_f64 v[9:10], v[5:6], v[24:25], v[15:16]
	global_store_dwordx4 v[26:27], v[0:3], off
	global_store_dwordx4 v[26:27], v[7:10], off offset:16
.LBB229_21:
	s_endpgm
	.section	.rodata,"a",@progbits
	.p2align	6, 0x0
	.amdhsa_kernel _ZN9rocsparseL19gebsrmvn_2xn_kernelILj128ELj1ELj8E21rocsparse_complex_numIdEEEvi20rocsparse_direction_NS_24const_host_device_scalarIT2_EEPKiS8_PKS5_SA_S6_PS5_21rocsparse_index_base_b
		.amdhsa_group_segment_fixed_size 0
		.amdhsa_private_segment_fixed_size 0
		.amdhsa_kernarg_size 88
		.amdhsa_user_sgpr_count 6
		.amdhsa_user_sgpr_private_segment_buffer 1
		.amdhsa_user_sgpr_dispatch_ptr 0
		.amdhsa_user_sgpr_queue_ptr 0
		.amdhsa_user_sgpr_kernarg_segment_ptr 1
		.amdhsa_user_sgpr_dispatch_id 0
		.amdhsa_user_sgpr_flat_scratch_init 0
		.amdhsa_user_sgpr_private_segment_size 0
		.amdhsa_uses_dynamic_stack 0
		.amdhsa_system_sgpr_private_segment_wavefront_offset 0
		.amdhsa_system_sgpr_workgroup_id_x 1
		.amdhsa_system_sgpr_workgroup_id_y 0
		.amdhsa_system_sgpr_workgroup_id_z 0
		.amdhsa_system_sgpr_workgroup_info 0
		.amdhsa_system_vgpr_workitem_id 0
		.amdhsa_next_free_vgpr 39
		.amdhsa_next_free_sgpr 16
		.amdhsa_reserve_vcc 1
		.amdhsa_reserve_flat_scratch 0
		.amdhsa_float_round_mode_32 0
		.amdhsa_float_round_mode_16_64 0
		.amdhsa_float_denorm_mode_32 3
		.amdhsa_float_denorm_mode_16_64 3
		.amdhsa_dx10_clamp 1
		.amdhsa_ieee_mode 1
		.amdhsa_fp16_overflow 0
		.amdhsa_exception_fp_ieee_invalid_op 0
		.amdhsa_exception_fp_denorm_src 0
		.amdhsa_exception_fp_ieee_div_zero 0
		.amdhsa_exception_fp_ieee_overflow 0
		.amdhsa_exception_fp_ieee_underflow 0
		.amdhsa_exception_fp_ieee_inexact 0
		.amdhsa_exception_int_div_zero 0
	.end_amdhsa_kernel
	.section	.text._ZN9rocsparseL19gebsrmvn_2xn_kernelILj128ELj1ELj8E21rocsparse_complex_numIdEEEvi20rocsparse_direction_NS_24const_host_device_scalarIT2_EEPKiS8_PKS5_SA_S6_PS5_21rocsparse_index_base_b,"axG",@progbits,_ZN9rocsparseL19gebsrmvn_2xn_kernelILj128ELj1ELj8E21rocsparse_complex_numIdEEEvi20rocsparse_direction_NS_24const_host_device_scalarIT2_EEPKiS8_PKS5_SA_S6_PS5_21rocsparse_index_base_b,comdat
.Lfunc_end229:
	.size	_ZN9rocsparseL19gebsrmvn_2xn_kernelILj128ELj1ELj8E21rocsparse_complex_numIdEEEvi20rocsparse_direction_NS_24const_host_device_scalarIT2_EEPKiS8_PKS5_SA_S6_PS5_21rocsparse_index_base_b, .Lfunc_end229-_ZN9rocsparseL19gebsrmvn_2xn_kernelILj128ELj1ELj8E21rocsparse_complex_numIdEEEvi20rocsparse_direction_NS_24const_host_device_scalarIT2_EEPKiS8_PKS5_SA_S6_PS5_21rocsparse_index_base_b
                                        ; -- End function
	.set _ZN9rocsparseL19gebsrmvn_2xn_kernelILj128ELj1ELj8E21rocsparse_complex_numIdEEEvi20rocsparse_direction_NS_24const_host_device_scalarIT2_EEPKiS8_PKS5_SA_S6_PS5_21rocsparse_index_base_b.num_vgpr, 39
	.set _ZN9rocsparseL19gebsrmvn_2xn_kernelILj128ELj1ELj8E21rocsparse_complex_numIdEEEvi20rocsparse_direction_NS_24const_host_device_scalarIT2_EEPKiS8_PKS5_SA_S6_PS5_21rocsparse_index_base_b.num_agpr, 0
	.set _ZN9rocsparseL19gebsrmvn_2xn_kernelILj128ELj1ELj8E21rocsparse_complex_numIdEEEvi20rocsparse_direction_NS_24const_host_device_scalarIT2_EEPKiS8_PKS5_SA_S6_PS5_21rocsparse_index_base_b.numbered_sgpr, 16
	.set _ZN9rocsparseL19gebsrmvn_2xn_kernelILj128ELj1ELj8E21rocsparse_complex_numIdEEEvi20rocsparse_direction_NS_24const_host_device_scalarIT2_EEPKiS8_PKS5_SA_S6_PS5_21rocsparse_index_base_b.num_named_barrier, 0
	.set _ZN9rocsparseL19gebsrmvn_2xn_kernelILj128ELj1ELj8E21rocsparse_complex_numIdEEEvi20rocsparse_direction_NS_24const_host_device_scalarIT2_EEPKiS8_PKS5_SA_S6_PS5_21rocsparse_index_base_b.private_seg_size, 0
	.set _ZN9rocsparseL19gebsrmvn_2xn_kernelILj128ELj1ELj8E21rocsparse_complex_numIdEEEvi20rocsparse_direction_NS_24const_host_device_scalarIT2_EEPKiS8_PKS5_SA_S6_PS5_21rocsparse_index_base_b.uses_vcc, 1
	.set _ZN9rocsparseL19gebsrmvn_2xn_kernelILj128ELj1ELj8E21rocsparse_complex_numIdEEEvi20rocsparse_direction_NS_24const_host_device_scalarIT2_EEPKiS8_PKS5_SA_S6_PS5_21rocsparse_index_base_b.uses_flat_scratch, 0
	.set _ZN9rocsparseL19gebsrmvn_2xn_kernelILj128ELj1ELj8E21rocsparse_complex_numIdEEEvi20rocsparse_direction_NS_24const_host_device_scalarIT2_EEPKiS8_PKS5_SA_S6_PS5_21rocsparse_index_base_b.has_dyn_sized_stack, 0
	.set _ZN9rocsparseL19gebsrmvn_2xn_kernelILj128ELj1ELj8E21rocsparse_complex_numIdEEEvi20rocsparse_direction_NS_24const_host_device_scalarIT2_EEPKiS8_PKS5_SA_S6_PS5_21rocsparse_index_base_b.has_recursion, 0
	.set _ZN9rocsparseL19gebsrmvn_2xn_kernelILj128ELj1ELj8E21rocsparse_complex_numIdEEEvi20rocsparse_direction_NS_24const_host_device_scalarIT2_EEPKiS8_PKS5_SA_S6_PS5_21rocsparse_index_base_b.has_indirect_call, 0
	.section	.AMDGPU.csdata,"",@progbits
; Kernel info:
; codeLenInByte = 1532
; TotalNumSgprs: 20
; NumVgprs: 39
; ScratchSize: 0
; MemoryBound: 0
; FloatMode: 240
; IeeeMode: 1
; LDSByteSize: 0 bytes/workgroup (compile time only)
; SGPRBlocks: 2
; VGPRBlocks: 9
; NumSGPRsForWavesPerEU: 20
; NumVGPRsForWavesPerEU: 39
; Occupancy: 6
; WaveLimiterHint : 1
; COMPUTE_PGM_RSRC2:SCRATCH_EN: 0
; COMPUTE_PGM_RSRC2:USER_SGPR: 6
; COMPUTE_PGM_RSRC2:TRAP_HANDLER: 0
; COMPUTE_PGM_RSRC2:TGID_X_EN: 1
; COMPUTE_PGM_RSRC2:TGID_Y_EN: 0
; COMPUTE_PGM_RSRC2:TGID_Z_EN: 0
; COMPUTE_PGM_RSRC2:TIDIG_COMP_CNT: 0
	.section	.text._ZN9rocsparseL19gebsrmvn_2xn_kernelILj128ELj1ELj16E21rocsparse_complex_numIdEEEvi20rocsparse_direction_NS_24const_host_device_scalarIT2_EEPKiS8_PKS5_SA_S6_PS5_21rocsparse_index_base_b,"axG",@progbits,_ZN9rocsparseL19gebsrmvn_2xn_kernelILj128ELj1ELj16E21rocsparse_complex_numIdEEEvi20rocsparse_direction_NS_24const_host_device_scalarIT2_EEPKiS8_PKS5_SA_S6_PS5_21rocsparse_index_base_b,comdat
	.globl	_ZN9rocsparseL19gebsrmvn_2xn_kernelILj128ELj1ELj16E21rocsparse_complex_numIdEEEvi20rocsparse_direction_NS_24const_host_device_scalarIT2_EEPKiS8_PKS5_SA_S6_PS5_21rocsparse_index_base_b ; -- Begin function _ZN9rocsparseL19gebsrmvn_2xn_kernelILj128ELj1ELj16E21rocsparse_complex_numIdEEEvi20rocsparse_direction_NS_24const_host_device_scalarIT2_EEPKiS8_PKS5_SA_S6_PS5_21rocsparse_index_base_b
	.p2align	8
	.type	_ZN9rocsparseL19gebsrmvn_2xn_kernelILj128ELj1ELj16E21rocsparse_complex_numIdEEEvi20rocsparse_direction_NS_24const_host_device_scalarIT2_EEPKiS8_PKS5_SA_S6_PS5_21rocsparse_index_base_b,@function
_ZN9rocsparseL19gebsrmvn_2xn_kernelILj128ELj1ELj16E21rocsparse_complex_numIdEEEvi20rocsparse_direction_NS_24const_host_device_scalarIT2_EEPKiS8_PKS5_SA_S6_PS5_21rocsparse_index_base_b: ; @_ZN9rocsparseL19gebsrmvn_2xn_kernelILj128ELj1ELj16E21rocsparse_complex_numIdEEEvi20rocsparse_direction_NS_24const_host_device_scalarIT2_EEPKiS8_PKS5_SA_S6_PS5_21rocsparse_index_base_b
; %bb.0:
	s_load_dwordx2 s[0:1], s[4:5], 0x8
	s_load_dwordx2 s[8:9], s[4:5], 0x38
	;; [unrolled: 1-line block ×3, first 2 shown]
	s_add_u32 s7, s4, 8
	s_addc_u32 s10, s5, 0
	s_add_u32 s11, s4, 56
	s_addc_u32 s12, s5, 0
	s_waitcnt lgkmcnt(0)
	s_bitcmp1_b32 s3, 0
	s_cselect_b32 s1, s10, s1
	s_cselect_b32 s0, s7, s0
	v_mov_b32_e32 v1, s0
	v_mov_b32_e32 v2, s1
	flat_load_dwordx4 v[1:4], v[1:2]
	s_cselect_b32 s0, s12, s9
	s_cselect_b32 s1, s11, s8
	v_mov_b32_e32 v5, s1
	v_mov_b32_e32 v6, s0
	flat_load_dwordx4 v[5:8], v[5:6]
	s_waitcnt vmcnt(0) lgkmcnt(0)
	v_cmp_eq_f64_e32 vcc, 0, v[1:2]
	v_cmp_eq_f64_e64 s[0:1], 0, v[3:4]
	s_and_b64 s[10:11], vcc, s[0:1]
	s_mov_b64 s[0:1], -1
	s_and_saveexec_b64 s[8:9], s[10:11]
	s_cbranch_execz .LBB230_2
; %bb.1:
	v_cmp_neq_f64_e32 vcc, 1.0, v[5:6]
	v_cmp_neq_f64_e64 s[0:1], 0, v[7:8]
	s_or_b64 s[0:1], vcc, s[0:1]
	s_orn2_b64 s[0:1], s[0:1], exec
.LBB230_2:
	s_or_b64 exec, exec, s[8:9]
	s_and_saveexec_b64 s[8:9], s[0:1]
	s_cbranch_execz .LBB230_21
; %bb.3:
	s_load_dwordx2 s[0:1], s[4:5], 0x0
	v_lshrrev_b32_e32 v9, 4, v0
	v_lshl_or_b32 v9, s6, 3, v9
	s_waitcnt lgkmcnt(0)
	v_cmp_gt_i32_e32 vcc, s0, v9
	s_and_b64 exec, exec, vcc
	s_cbranch_execz .LBB230_21
; %bb.4:
	s_load_dwordx8 s[8:15], s[4:5], 0x18
	v_ashrrev_i32_e32 v10, 31, v9
	v_lshlrev_b64 v[10:11], 2, v[9:10]
	v_and_b32_e32 v0, 15, v0
	s_cmp_lg_u32 s1, 0
	s_waitcnt lgkmcnt(0)
	v_mov_b32_e32 v12, s9
	v_add_co_u32_e32 v10, vcc, s8, v10
	v_addc_co_u32_e32 v11, vcc, v12, v11, vcc
	global_load_dwordx2 v[10:11], v[10:11], off
	s_waitcnt vmcnt(0)
	v_subrev_u32_e32 v10, s2, v10
	v_subrev_u32_e32 v24, s2, v11
	v_add_u32_e32 v16, v10, v0
	v_cmp_lt_i32_e64 s[0:1], v16, v24
	s_cbranch_scc0 .LBB230_10
; %bb.5:
	v_mov_b32_e32 v10, 0
	v_mov_b32_e32 v18, 0
	v_mov_b32_e32 v14, 0
	v_mov_b32_e32 v12, 0
	v_mov_b32_e32 v11, 0
	v_mov_b32_e32 v19, 0
	v_mov_b32_e32 v15, 0
	v_mov_b32_e32 v13, 0
	s_and_saveexec_b64 s[6:7], s[0:1]
	s_cbranch_execz .LBB230_9
; %bb.6:
	v_mov_b32_e32 v10, 0
	v_mov_b32_e32 v18, 0
	;; [unrolled: 1-line block ×4, first 2 shown]
	v_lshlrev_b32_e32 v20, 1, v16
	v_mov_b32_e32 v11, 0
	s_mov_b64 s[8:9], 0
	v_mov_b32_e32 v17, s11
	v_mov_b32_e32 v21, 0
	v_mov_b32_e32 v25, s13
	v_mov_b32_e32 v26, s15
	v_mov_b32_e32 v19, 0
	v_mov_b32_e32 v15, 0
	v_mov_b32_e32 v13, 0
	v_mov_b32_e32 v22, v16
.LBB230_7:                              ; =>This Inner Loop Header: Depth=1
	v_ashrrev_i32_e32 v23, 31, v22
	v_lshlrev_b64 v[27:28], 2, v[22:23]
	v_mov_b32_e32 v36, v21
	v_add_co_u32_e32 v27, vcc, s10, v27
	v_addc_co_u32_e32 v28, vcc, v17, v28, vcc
	global_load_dword v23, v[27:28], off
	v_lshlrev_b64 v[27:28], 4, v[20:21]
	v_add_u32_e32 v22, 16, v22
	v_add_co_u32_e32 v37, vcc, s12, v27
	v_addc_co_u32_e32 v38, vcc, v25, v28, vcc
	global_load_dwordx4 v[27:30], v[37:38], off offset:16
	global_load_dwordx4 v[31:34], v[37:38], off
	v_add_u32_e32 v20, 32, v20
	s_waitcnt vmcnt(2)
	v_subrev_u32_e32 v35, s2, v23
	v_lshlrev_b64 v[35:36], 4, v[35:36]
	v_add_co_u32_e32 v35, vcc, s14, v35
	v_addc_co_u32_e32 v36, vcc, v26, v36, vcc
	global_load_dwordx4 v[35:38], v[35:36], off
	v_cmp_ge_i32_e32 vcc, v22, v24
	s_or_b64 s[8:9], vcc, s[8:9]
	s_waitcnt vmcnt(0)
	v_fma_f64 v[18:19], v[31:32], v[35:36], v[18:19]
	v_fma_f64 v[10:11], v[33:34], v[35:36], v[10:11]
	;; [unrolled: 1-line block ×4, first 2 shown]
	v_fma_f64 v[18:19], -v[33:34], v[37:38], v[18:19]
	v_fma_f64 v[10:11], v[31:32], v[37:38], v[10:11]
	v_fma_f64 v[14:15], -v[29:30], v[37:38], v[14:15]
	v_fma_f64 v[12:13], v[27:28], v[37:38], v[12:13]
	s_andn2_b64 exec, exec, s[8:9]
	s_cbranch_execnz .LBB230_7
; %bb.8:
	s_or_b64 exec, exec, s[8:9]
.LBB230_9:
	s_or_b64 exec, exec, s[6:7]
	s_cbranch_execz .LBB230_11
	s_branch .LBB230_16
.LBB230_10:
                                        ; implicit-def: $vgpr10_vgpr11
                                        ; implicit-def: $vgpr18_vgpr19
                                        ; implicit-def: $vgpr14_vgpr15
                                        ; implicit-def: $vgpr12_vgpr13
.LBB230_11:
	v_mov_b32_e32 v10, 0
	v_mov_b32_e32 v18, 0
	;; [unrolled: 1-line block ×8, first 2 shown]
	s_and_saveexec_b64 s[6:7], s[0:1]
	s_cbranch_execz .LBB230_15
; %bb.12:
	v_mov_b32_e32 v10, 0
	v_mov_b32_e32 v18, 0
	;; [unrolled: 1-line block ×4, first 2 shown]
	v_lshlrev_b32_e32 v20, 1, v16
	v_mov_b32_e32 v11, 0
	s_mov_b64 s[0:1], 0
	v_mov_b32_e32 v22, s11
	v_mov_b32_e32 v21, 0
	;; [unrolled: 1-line block ×7, first 2 shown]
.LBB230_13:                             ; =>This Inner Loop Header: Depth=1
	v_ashrrev_i32_e32 v17, 31, v16
	v_lshlrev_b64 v[26:27], 2, v[16:17]
	v_mov_b32_e32 v35, v21
	v_add_co_u32_e32 v26, vcc, s10, v26
	v_addc_co_u32_e32 v27, vcc, v22, v27, vcc
	global_load_dword v17, v[26:27], off
	v_lshlrev_b64 v[26:27], 4, v[20:21]
	v_add_u32_e32 v16, 16, v16
	v_add_co_u32_e32 v36, vcc, s12, v26
	v_addc_co_u32_e32 v37, vcc, v23, v27, vcc
	global_load_dwordx4 v[26:29], v[36:37], off
	global_load_dwordx4 v[30:33], v[36:37], off offset:16
	v_add_u32_e32 v20, 32, v20
	s_waitcnt vmcnt(2)
	v_subrev_u32_e32 v34, s2, v17
	v_lshlrev_b64 v[34:35], 4, v[34:35]
	v_add_co_u32_e32 v34, vcc, s14, v34
	v_addc_co_u32_e32 v35, vcc, v25, v35, vcc
	global_load_dwordx4 v[34:37], v[34:35], off
	v_cmp_ge_i32_e32 vcc, v16, v24
	s_or_b64 s[0:1], vcc, s[0:1]
	s_waitcnt vmcnt(0)
	v_fma_f64 v[17:18], v[26:27], v[34:35], v[18:19]
	v_fma_f64 v[10:11], v[28:29], v[34:35], v[10:11]
	;; [unrolled: 1-line block ×4, first 2 shown]
	v_fma_f64 v[18:19], -v[28:29], v[36:37], v[17:18]
	v_fma_f64 v[10:11], v[26:27], v[36:37], v[10:11]
	v_fma_f64 v[14:15], -v[32:33], v[36:37], v[14:15]
	v_fma_f64 v[12:13], v[30:31], v[36:37], v[12:13]
	s_andn2_b64 exec, exec, s[0:1]
	s_cbranch_execnz .LBB230_13
; %bb.14:
	s_or_b64 exec, exec, s[0:1]
.LBB230_15:
	s_or_b64 exec, exec, s[6:7]
.LBB230_16:
	v_mov_b32_dpp v16, v18 row_shr:1 row_mask:0xf bank_mask:0xf
	v_mov_b32_dpp v17, v19 row_shr:1 row_mask:0xf bank_mask:0xf
	v_add_f64 v[16:17], v[18:19], v[16:17]
	v_mov_b32_dpp v18, v10 row_shr:1 row_mask:0xf bank_mask:0xf
	v_mov_b32_dpp v19, v11 row_shr:1 row_mask:0xf bank_mask:0xf
	;; [unrolled: 1-line block ×3, first 2 shown]
	v_add_f64 v[10:11], v[10:11], v[18:19]
	v_mov_b32_dpp v21, v15 row_shr:1 row_mask:0xf bank_mask:0xf
	v_add_f64 v[14:15], v[14:15], v[20:21]
	v_cmp_eq_u32_e32 vcc, 15, v0
	v_mov_b32_dpp v18, v16 row_shr:2 row_mask:0xf bank_mask:0xf
	v_mov_b32_dpp v19, v17 row_shr:2 row_mask:0xf bank_mask:0xf
	v_add_f64 v[16:17], v[16:17], v[18:19]
	v_mov_b32_dpp v18, v12 row_shr:1 row_mask:0xf bank_mask:0xf
	v_mov_b32_dpp v19, v13 row_shr:1 row_mask:0xf bank_mask:0xf
	v_add_f64 v[12:13], v[12:13], v[18:19]
	;; [unrolled: 3-line block ×4, first 2 shown]
	v_mov_b32_dpp v20, v16 row_shr:4 row_mask:0xf bank_mask:0xe
	v_mov_b32_dpp v10, v12 row_shr:2 row_mask:0xf bank_mask:0xf
	;; [unrolled: 1-line block ×3, first 2 shown]
	v_add_f64 v[22:23], v[12:13], v[10:11]
	v_mov_b32_dpp v21, v17 row_shr:4 row_mask:0xf bank_mask:0xe
	v_add_f64 v[10:11], v[16:17], v[20:21]
	v_mov_b32_dpp v12, v18 row_shr:4 row_mask:0xf bank_mask:0xe
	v_mov_b32_dpp v13, v19 row_shr:4 row_mask:0xf bank_mask:0xe
	;; [unrolled: 1-line block ×4, first 2 shown]
	v_add_f64 v[12:13], v[18:19], v[12:13]
	v_add_f64 v[18:19], v[14:15], v[16:17]
	v_mov_b32_dpp v14, v22 row_shr:4 row_mask:0xf bank_mask:0xe
	v_mov_b32_dpp v15, v23 row_shr:4 row_mask:0xf bank_mask:0xe
	v_add_f64 v[14:15], v[22:23], v[14:15]
	v_mov_b32_dpp v24, v10 row_shr:8 row_mask:0xf bank_mask:0xc
	v_mov_b32_dpp v25, v11 row_shr:8 row_mask:0xf bank_mask:0xc
	;; [unrolled: 1-line block ×8, first 2 shown]
	s_and_b64 exec, exec, vcc
	s_cbranch_execz .LBB230_21
; %bb.17:
	v_cmp_eq_f64_e32 vcc, 0, v[5:6]
	v_cmp_eq_f64_e64 s[0:1], 0, v[7:8]
	v_add_f64 v[10:11], v[10:11], v[24:25]
	v_add_f64 v[16:17], v[12:13], v[16:17]
	;; [unrolled: 1-line block ×4, first 2 shown]
	s_load_dwordx2 s[2:3], s[4:5], 0x48
	s_and_b64 s[0:1], vcc, s[0:1]
	s_and_saveexec_b64 s[4:5], s[0:1]
	s_xor_b64 s[0:1], exec, s[4:5]
	s_cbranch_execz .LBB230_19
; %bb.18:
	v_mul_f64 v[5:6], v[16:17], -v[3:4]
	v_mul_f64 v[7:8], v[1:2], v[16:17]
	v_mul_f64 v[16:17], v[14:15], -v[3:4]
	v_mul_f64 v[14:15], v[1:2], v[14:15]
	v_lshlrev_b32_e32 v9, 1, v9
	s_waitcnt lgkmcnt(0)
	v_mov_b32_e32 v18, s3
	v_fma_f64 v[5:6], v[1:2], v[10:11], v[5:6]
	v_fma_f64 v[7:8], v[3:4], v[10:11], v[7:8]
	;; [unrolled: 1-line block ×4, first 2 shown]
	v_ashrrev_i32_e32 v10, 31, v9
	v_lshlrev_b64 v[9:10], 4, v[9:10]
                                        ; implicit-def: $vgpr16_vgpr17
                                        ; implicit-def: $vgpr12_vgpr13
                                        ; implicit-def: $vgpr14_vgpr15
	v_add_co_u32_e32 v9, vcc, s2, v9
	v_addc_co_u32_e32 v10, vcc, v18, v10, vcc
	global_store_dwordx4 v[9:10], v[5:8], off
	global_store_dwordx4 v[9:10], v[0:3], off offset:16
                                        ; implicit-def: $vgpr9
                                        ; implicit-def: $vgpr10_vgpr11
                                        ; implicit-def: $vgpr7_vgpr8
                                        ; implicit-def: $vgpr3_vgpr4
.LBB230_19:
	s_andn2_saveexec_b64 s[0:1], s[0:1]
	s_cbranch_execz .LBB230_21
; %bb.20:
	v_lshlrev_b32_e32 v18, 1, v9
	v_ashrrev_i32_e32 v19, 31, v18
	v_lshlrev_b64 v[18:19], 4, v[18:19]
	s_waitcnt lgkmcnt(0)
	v_mov_b32_e32 v0, s3
	v_add_co_u32_e32 v26, vcc, s2, v18
	v_addc_co_u32_e32 v27, vcc, v0, v19, vcc
	global_load_dwordx4 v[18:21], v[26:27], off
	global_load_dwordx4 v[22:25], v[26:27], off offset:16
	v_mul_f64 v[28:29], v[16:17], -v[3:4]
	v_mul_f64 v[16:17], v[1:2], v[16:17]
	v_mul_f64 v[30:31], v[14:15], -v[3:4]
	v_mul_f64 v[14:15], v[1:2], v[14:15]
	v_fma_f64 v[28:29], v[1:2], v[10:11], v[28:29]
	v_fma_f64 v[9:10], v[3:4], v[10:11], v[16:17]
	;; [unrolled: 1-line block ×4, first 2 shown]
	s_waitcnt vmcnt(1)
	v_fma_f64 v[11:12], v[5:6], v[18:19], v[28:29]
	v_fma_f64 v[9:10], v[7:8], v[18:19], v[9:10]
	s_waitcnt vmcnt(0)
	v_fma_f64 v[13:14], v[5:6], v[22:23], v[0:1]
	v_fma_f64 v[15:16], v[7:8], v[22:23], v[2:3]
	v_fma_f64 v[0:1], -v[7:8], v[20:21], v[11:12]
	v_fma_f64 v[2:3], v[5:6], v[20:21], v[9:10]
	v_fma_f64 v[7:8], -v[7:8], v[24:25], v[13:14]
	v_fma_f64 v[9:10], v[5:6], v[24:25], v[15:16]
	global_store_dwordx4 v[26:27], v[0:3], off
	global_store_dwordx4 v[26:27], v[7:10], off offset:16
.LBB230_21:
	s_endpgm
	.section	.rodata,"a",@progbits
	.p2align	6, 0x0
	.amdhsa_kernel _ZN9rocsparseL19gebsrmvn_2xn_kernelILj128ELj1ELj16E21rocsparse_complex_numIdEEEvi20rocsparse_direction_NS_24const_host_device_scalarIT2_EEPKiS8_PKS5_SA_S6_PS5_21rocsparse_index_base_b
		.amdhsa_group_segment_fixed_size 0
		.amdhsa_private_segment_fixed_size 0
		.amdhsa_kernarg_size 88
		.amdhsa_user_sgpr_count 6
		.amdhsa_user_sgpr_private_segment_buffer 1
		.amdhsa_user_sgpr_dispatch_ptr 0
		.amdhsa_user_sgpr_queue_ptr 0
		.amdhsa_user_sgpr_kernarg_segment_ptr 1
		.amdhsa_user_sgpr_dispatch_id 0
		.amdhsa_user_sgpr_flat_scratch_init 0
		.amdhsa_user_sgpr_private_segment_size 0
		.amdhsa_uses_dynamic_stack 0
		.amdhsa_system_sgpr_private_segment_wavefront_offset 0
		.amdhsa_system_sgpr_workgroup_id_x 1
		.amdhsa_system_sgpr_workgroup_id_y 0
		.amdhsa_system_sgpr_workgroup_id_z 0
		.amdhsa_system_sgpr_workgroup_info 0
		.amdhsa_system_vgpr_workitem_id 0
		.amdhsa_next_free_vgpr 39
		.amdhsa_next_free_sgpr 16
		.amdhsa_reserve_vcc 1
		.amdhsa_reserve_flat_scratch 0
		.amdhsa_float_round_mode_32 0
		.amdhsa_float_round_mode_16_64 0
		.amdhsa_float_denorm_mode_32 3
		.amdhsa_float_denorm_mode_16_64 3
		.amdhsa_dx10_clamp 1
		.amdhsa_ieee_mode 1
		.amdhsa_fp16_overflow 0
		.amdhsa_exception_fp_ieee_invalid_op 0
		.amdhsa_exception_fp_denorm_src 0
		.amdhsa_exception_fp_ieee_div_zero 0
		.amdhsa_exception_fp_ieee_overflow 0
		.amdhsa_exception_fp_ieee_underflow 0
		.amdhsa_exception_fp_ieee_inexact 0
		.amdhsa_exception_int_div_zero 0
	.end_amdhsa_kernel
	.section	.text._ZN9rocsparseL19gebsrmvn_2xn_kernelILj128ELj1ELj16E21rocsparse_complex_numIdEEEvi20rocsparse_direction_NS_24const_host_device_scalarIT2_EEPKiS8_PKS5_SA_S6_PS5_21rocsparse_index_base_b,"axG",@progbits,_ZN9rocsparseL19gebsrmvn_2xn_kernelILj128ELj1ELj16E21rocsparse_complex_numIdEEEvi20rocsparse_direction_NS_24const_host_device_scalarIT2_EEPKiS8_PKS5_SA_S6_PS5_21rocsparse_index_base_b,comdat
.Lfunc_end230:
	.size	_ZN9rocsparseL19gebsrmvn_2xn_kernelILj128ELj1ELj16E21rocsparse_complex_numIdEEEvi20rocsparse_direction_NS_24const_host_device_scalarIT2_EEPKiS8_PKS5_SA_S6_PS5_21rocsparse_index_base_b, .Lfunc_end230-_ZN9rocsparseL19gebsrmvn_2xn_kernelILj128ELj1ELj16E21rocsparse_complex_numIdEEEvi20rocsparse_direction_NS_24const_host_device_scalarIT2_EEPKiS8_PKS5_SA_S6_PS5_21rocsparse_index_base_b
                                        ; -- End function
	.set _ZN9rocsparseL19gebsrmvn_2xn_kernelILj128ELj1ELj16E21rocsparse_complex_numIdEEEvi20rocsparse_direction_NS_24const_host_device_scalarIT2_EEPKiS8_PKS5_SA_S6_PS5_21rocsparse_index_base_b.num_vgpr, 39
	.set _ZN9rocsparseL19gebsrmvn_2xn_kernelILj128ELj1ELj16E21rocsparse_complex_numIdEEEvi20rocsparse_direction_NS_24const_host_device_scalarIT2_EEPKiS8_PKS5_SA_S6_PS5_21rocsparse_index_base_b.num_agpr, 0
	.set _ZN9rocsparseL19gebsrmvn_2xn_kernelILj128ELj1ELj16E21rocsparse_complex_numIdEEEvi20rocsparse_direction_NS_24const_host_device_scalarIT2_EEPKiS8_PKS5_SA_S6_PS5_21rocsparse_index_base_b.numbered_sgpr, 16
	.set _ZN9rocsparseL19gebsrmvn_2xn_kernelILj128ELj1ELj16E21rocsparse_complex_numIdEEEvi20rocsparse_direction_NS_24const_host_device_scalarIT2_EEPKiS8_PKS5_SA_S6_PS5_21rocsparse_index_base_b.num_named_barrier, 0
	.set _ZN9rocsparseL19gebsrmvn_2xn_kernelILj128ELj1ELj16E21rocsparse_complex_numIdEEEvi20rocsparse_direction_NS_24const_host_device_scalarIT2_EEPKiS8_PKS5_SA_S6_PS5_21rocsparse_index_base_b.private_seg_size, 0
	.set _ZN9rocsparseL19gebsrmvn_2xn_kernelILj128ELj1ELj16E21rocsparse_complex_numIdEEEvi20rocsparse_direction_NS_24const_host_device_scalarIT2_EEPKiS8_PKS5_SA_S6_PS5_21rocsparse_index_base_b.uses_vcc, 1
	.set _ZN9rocsparseL19gebsrmvn_2xn_kernelILj128ELj1ELj16E21rocsparse_complex_numIdEEEvi20rocsparse_direction_NS_24const_host_device_scalarIT2_EEPKiS8_PKS5_SA_S6_PS5_21rocsparse_index_base_b.uses_flat_scratch, 0
	.set _ZN9rocsparseL19gebsrmvn_2xn_kernelILj128ELj1ELj16E21rocsparse_complex_numIdEEEvi20rocsparse_direction_NS_24const_host_device_scalarIT2_EEPKiS8_PKS5_SA_S6_PS5_21rocsparse_index_base_b.has_dyn_sized_stack, 0
	.set _ZN9rocsparseL19gebsrmvn_2xn_kernelILj128ELj1ELj16E21rocsparse_complex_numIdEEEvi20rocsparse_direction_NS_24const_host_device_scalarIT2_EEPKiS8_PKS5_SA_S6_PS5_21rocsparse_index_base_b.has_recursion, 0
	.set _ZN9rocsparseL19gebsrmvn_2xn_kernelILj128ELj1ELj16E21rocsparse_complex_numIdEEEvi20rocsparse_direction_NS_24const_host_device_scalarIT2_EEPKiS8_PKS5_SA_S6_PS5_21rocsparse_index_base_b.has_indirect_call, 0
	.section	.AMDGPU.csdata,"",@progbits
; Kernel info:
; codeLenInByte = 1628
; TotalNumSgprs: 20
; NumVgprs: 39
; ScratchSize: 0
; MemoryBound: 0
; FloatMode: 240
; IeeeMode: 1
; LDSByteSize: 0 bytes/workgroup (compile time only)
; SGPRBlocks: 2
; VGPRBlocks: 9
; NumSGPRsForWavesPerEU: 20
; NumVGPRsForWavesPerEU: 39
; Occupancy: 6
; WaveLimiterHint : 1
; COMPUTE_PGM_RSRC2:SCRATCH_EN: 0
; COMPUTE_PGM_RSRC2:USER_SGPR: 6
; COMPUTE_PGM_RSRC2:TRAP_HANDLER: 0
; COMPUTE_PGM_RSRC2:TGID_X_EN: 1
; COMPUTE_PGM_RSRC2:TGID_Y_EN: 0
; COMPUTE_PGM_RSRC2:TGID_Z_EN: 0
; COMPUTE_PGM_RSRC2:TIDIG_COMP_CNT: 0
	.section	.text._ZN9rocsparseL19gebsrmvn_2xn_kernelILj128ELj1ELj32E21rocsparse_complex_numIdEEEvi20rocsparse_direction_NS_24const_host_device_scalarIT2_EEPKiS8_PKS5_SA_S6_PS5_21rocsparse_index_base_b,"axG",@progbits,_ZN9rocsparseL19gebsrmvn_2xn_kernelILj128ELj1ELj32E21rocsparse_complex_numIdEEEvi20rocsparse_direction_NS_24const_host_device_scalarIT2_EEPKiS8_PKS5_SA_S6_PS5_21rocsparse_index_base_b,comdat
	.globl	_ZN9rocsparseL19gebsrmvn_2xn_kernelILj128ELj1ELj32E21rocsparse_complex_numIdEEEvi20rocsparse_direction_NS_24const_host_device_scalarIT2_EEPKiS8_PKS5_SA_S6_PS5_21rocsparse_index_base_b ; -- Begin function _ZN9rocsparseL19gebsrmvn_2xn_kernelILj128ELj1ELj32E21rocsparse_complex_numIdEEEvi20rocsparse_direction_NS_24const_host_device_scalarIT2_EEPKiS8_PKS5_SA_S6_PS5_21rocsparse_index_base_b
	.p2align	8
	.type	_ZN9rocsparseL19gebsrmvn_2xn_kernelILj128ELj1ELj32E21rocsparse_complex_numIdEEEvi20rocsparse_direction_NS_24const_host_device_scalarIT2_EEPKiS8_PKS5_SA_S6_PS5_21rocsparse_index_base_b,@function
_ZN9rocsparseL19gebsrmvn_2xn_kernelILj128ELj1ELj32E21rocsparse_complex_numIdEEEvi20rocsparse_direction_NS_24const_host_device_scalarIT2_EEPKiS8_PKS5_SA_S6_PS5_21rocsparse_index_base_b: ; @_ZN9rocsparseL19gebsrmvn_2xn_kernelILj128ELj1ELj32E21rocsparse_complex_numIdEEEvi20rocsparse_direction_NS_24const_host_device_scalarIT2_EEPKiS8_PKS5_SA_S6_PS5_21rocsparse_index_base_b
; %bb.0:
	s_load_dwordx2 s[0:1], s[4:5], 0x8
	s_load_dwordx2 s[8:9], s[4:5], 0x38
	;; [unrolled: 1-line block ×3, first 2 shown]
	s_add_u32 s7, s4, 8
	s_addc_u32 s10, s5, 0
	s_add_u32 s11, s4, 56
	s_addc_u32 s12, s5, 0
	s_waitcnt lgkmcnt(0)
	s_bitcmp1_b32 s3, 0
	s_cselect_b32 s1, s10, s1
	s_cselect_b32 s0, s7, s0
	v_mov_b32_e32 v1, s0
	v_mov_b32_e32 v2, s1
	flat_load_dwordx4 v[1:4], v[1:2]
	s_cselect_b32 s0, s12, s9
	s_cselect_b32 s1, s11, s8
	v_mov_b32_e32 v5, s1
	v_mov_b32_e32 v6, s0
	flat_load_dwordx4 v[5:8], v[5:6]
	s_waitcnt vmcnt(0) lgkmcnt(0)
	v_cmp_eq_f64_e32 vcc, 0, v[1:2]
	v_cmp_eq_f64_e64 s[0:1], 0, v[3:4]
	s_and_b64 s[10:11], vcc, s[0:1]
	s_mov_b64 s[0:1], -1
	s_and_saveexec_b64 s[8:9], s[10:11]
	s_cbranch_execz .LBB231_2
; %bb.1:
	v_cmp_neq_f64_e32 vcc, 1.0, v[5:6]
	v_cmp_neq_f64_e64 s[0:1], 0, v[7:8]
	s_or_b64 s[0:1], vcc, s[0:1]
	s_orn2_b64 s[0:1], s[0:1], exec
.LBB231_2:
	s_or_b64 exec, exec, s[8:9]
	s_and_saveexec_b64 s[8:9], s[0:1]
	s_cbranch_execz .LBB231_21
; %bb.3:
	s_load_dwordx2 s[0:1], s[4:5], 0x0
	v_lshrrev_b32_e32 v9, 5, v0
	v_lshl_or_b32 v9, s6, 2, v9
	s_waitcnt lgkmcnt(0)
	v_cmp_gt_i32_e32 vcc, s0, v9
	s_and_b64 exec, exec, vcc
	s_cbranch_execz .LBB231_21
; %bb.4:
	s_load_dwordx8 s[8:15], s[4:5], 0x18
	v_ashrrev_i32_e32 v10, 31, v9
	v_lshlrev_b64 v[10:11], 2, v[9:10]
	v_and_b32_e32 v0, 31, v0
	s_cmp_lg_u32 s1, 0
	s_waitcnt lgkmcnt(0)
	v_mov_b32_e32 v12, s9
	v_add_co_u32_e32 v10, vcc, s8, v10
	v_addc_co_u32_e32 v11, vcc, v12, v11, vcc
	global_load_dwordx2 v[10:11], v[10:11], off
	s_waitcnt vmcnt(0)
	v_subrev_u32_e32 v10, s2, v10
	v_subrev_u32_e32 v24, s2, v11
	v_add_u32_e32 v16, v10, v0
	v_cmp_lt_i32_e64 s[0:1], v16, v24
	s_cbranch_scc0 .LBB231_10
; %bb.5:
	v_mov_b32_e32 v10, 0
	v_mov_b32_e32 v18, 0
	;; [unrolled: 1-line block ×8, first 2 shown]
	s_and_saveexec_b64 s[6:7], s[0:1]
	s_cbranch_execz .LBB231_9
; %bb.6:
	v_mov_b32_e32 v10, 0
	v_mov_b32_e32 v18, 0
	;; [unrolled: 1-line block ×4, first 2 shown]
	v_lshlrev_b32_e32 v20, 1, v16
	v_mov_b32_e32 v11, 0
	s_mov_b64 s[8:9], 0
	v_mov_b32_e32 v17, s11
	v_mov_b32_e32 v21, 0
	;; [unrolled: 1-line block ×8, first 2 shown]
.LBB231_7:                              ; =>This Inner Loop Header: Depth=1
	v_ashrrev_i32_e32 v23, 31, v22
	v_lshlrev_b64 v[27:28], 2, v[22:23]
	v_mov_b32_e32 v36, v21
	v_add_co_u32_e32 v27, vcc, s10, v27
	v_addc_co_u32_e32 v28, vcc, v17, v28, vcc
	global_load_dword v23, v[27:28], off
	v_lshlrev_b64 v[27:28], 4, v[20:21]
	v_add_u32_e32 v22, 32, v22
	v_add_co_u32_e32 v37, vcc, s12, v27
	v_addc_co_u32_e32 v38, vcc, v25, v28, vcc
	global_load_dwordx4 v[27:30], v[37:38], off offset:16
	global_load_dwordx4 v[31:34], v[37:38], off
	v_add_u32_e32 v20, 64, v20
	s_waitcnt vmcnt(2)
	v_subrev_u32_e32 v35, s2, v23
	v_lshlrev_b64 v[35:36], 4, v[35:36]
	v_add_co_u32_e32 v35, vcc, s14, v35
	v_addc_co_u32_e32 v36, vcc, v26, v36, vcc
	global_load_dwordx4 v[35:38], v[35:36], off
	v_cmp_ge_i32_e32 vcc, v22, v24
	s_or_b64 s[8:9], vcc, s[8:9]
	s_waitcnt vmcnt(0)
	v_fma_f64 v[18:19], v[31:32], v[35:36], v[18:19]
	v_fma_f64 v[10:11], v[33:34], v[35:36], v[10:11]
	v_fma_f64 v[14:15], v[27:28], v[35:36], v[14:15]
	v_fma_f64 v[12:13], v[29:30], v[35:36], v[12:13]
	v_fma_f64 v[18:19], -v[33:34], v[37:38], v[18:19]
	v_fma_f64 v[10:11], v[31:32], v[37:38], v[10:11]
	v_fma_f64 v[14:15], -v[29:30], v[37:38], v[14:15]
	v_fma_f64 v[12:13], v[27:28], v[37:38], v[12:13]
	s_andn2_b64 exec, exec, s[8:9]
	s_cbranch_execnz .LBB231_7
; %bb.8:
	s_or_b64 exec, exec, s[8:9]
.LBB231_9:
	s_or_b64 exec, exec, s[6:7]
	s_cbranch_execz .LBB231_11
	s_branch .LBB231_16
.LBB231_10:
                                        ; implicit-def: $vgpr10_vgpr11
                                        ; implicit-def: $vgpr18_vgpr19
                                        ; implicit-def: $vgpr14_vgpr15
                                        ; implicit-def: $vgpr12_vgpr13
.LBB231_11:
	v_mov_b32_e32 v10, 0
	v_mov_b32_e32 v18, 0
	;; [unrolled: 1-line block ×8, first 2 shown]
	s_and_saveexec_b64 s[6:7], s[0:1]
	s_cbranch_execz .LBB231_15
; %bb.12:
	v_mov_b32_e32 v10, 0
	v_mov_b32_e32 v18, 0
	;; [unrolled: 1-line block ×4, first 2 shown]
	v_lshlrev_b32_e32 v20, 1, v16
	v_mov_b32_e32 v11, 0
	s_mov_b64 s[0:1], 0
	v_mov_b32_e32 v22, s11
	v_mov_b32_e32 v21, 0
	;; [unrolled: 1-line block ×7, first 2 shown]
.LBB231_13:                             ; =>This Inner Loop Header: Depth=1
	v_ashrrev_i32_e32 v17, 31, v16
	v_lshlrev_b64 v[26:27], 2, v[16:17]
	v_mov_b32_e32 v35, v21
	v_add_co_u32_e32 v26, vcc, s10, v26
	v_addc_co_u32_e32 v27, vcc, v22, v27, vcc
	global_load_dword v17, v[26:27], off
	v_lshlrev_b64 v[26:27], 4, v[20:21]
	v_add_u32_e32 v16, 32, v16
	v_add_co_u32_e32 v36, vcc, s12, v26
	v_addc_co_u32_e32 v37, vcc, v23, v27, vcc
	global_load_dwordx4 v[26:29], v[36:37], off
	global_load_dwordx4 v[30:33], v[36:37], off offset:16
	v_add_u32_e32 v20, 64, v20
	s_waitcnt vmcnt(2)
	v_subrev_u32_e32 v34, s2, v17
	v_lshlrev_b64 v[34:35], 4, v[34:35]
	v_add_co_u32_e32 v34, vcc, s14, v34
	v_addc_co_u32_e32 v35, vcc, v25, v35, vcc
	global_load_dwordx4 v[34:37], v[34:35], off
	v_cmp_ge_i32_e32 vcc, v16, v24
	s_or_b64 s[0:1], vcc, s[0:1]
	s_waitcnt vmcnt(0)
	v_fma_f64 v[17:18], v[26:27], v[34:35], v[18:19]
	v_fma_f64 v[10:11], v[28:29], v[34:35], v[10:11]
	;; [unrolled: 1-line block ×4, first 2 shown]
	v_fma_f64 v[18:19], -v[28:29], v[36:37], v[17:18]
	v_fma_f64 v[10:11], v[26:27], v[36:37], v[10:11]
	v_fma_f64 v[14:15], -v[32:33], v[36:37], v[14:15]
	v_fma_f64 v[12:13], v[30:31], v[36:37], v[12:13]
	s_andn2_b64 exec, exec, s[0:1]
	s_cbranch_execnz .LBB231_13
; %bb.14:
	s_or_b64 exec, exec, s[0:1]
.LBB231_15:
	s_or_b64 exec, exec, s[6:7]
.LBB231_16:
	v_mov_b32_dpp v16, v18 row_shr:1 row_mask:0xf bank_mask:0xf
	v_mov_b32_dpp v17, v19 row_shr:1 row_mask:0xf bank_mask:0xf
	v_add_f64 v[16:17], v[18:19], v[16:17]
	v_mov_b32_dpp v18, v10 row_shr:1 row_mask:0xf bank_mask:0xf
	v_mov_b32_dpp v19, v11 row_shr:1 row_mask:0xf bank_mask:0xf
	v_add_f64 v[10:11], v[10:11], v[18:19]
	;; [unrolled: 3-line block ×3, first 2 shown]
	v_cmp_eq_u32_e32 vcc, 31, v0
	v_mov_b32_dpp v18, v16 row_shr:2 row_mask:0xf bank_mask:0xf
	v_mov_b32_dpp v19, v17 row_shr:2 row_mask:0xf bank_mask:0xf
	v_add_f64 v[16:17], v[16:17], v[18:19]
	v_mov_b32_dpp v18, v12 row_shr:1 row_mask:0xf bank_mask:0xf
	v_mov_b32_dpp v19, v13 row_shr:1 row_mask:0xf bank_mask:0xf
	v_add_f64 v[12:13], v[12:13], v[18:19]
	;; [unrolled: 3-line block ×4, first 2 shown]
	v_mov_b32_dpp v20, v14 row_shr:2 row_mask:0xf bank_mask:0xf
	v_mov_b32_dpp v21, v15 row_shr:2 row_mask:0xf bank_mask:0xf
	;; [unrolled: 1-line block ×3, first 2 shown]
	v_add_f64 v[14:15], v[14:15], v[20:21]
	v_mov_b32_dpp v19, v13 row_shr:2 row_mask:0xf bank_mask:0xf
	v_add_f64 v[12:13], v[12:13], v[18:19]
	v_mov_b32_dpp v20, v10 row_shr:4 row_mask:0xf bank_mask:0xe
	v_mov_b32_dpp v21, v11 row_shr:4 row_mask:0xf bank_mask:0xe
	v_add_f64 v[20:21], v[10:11], v[20:21]
	v_mov_b32_dpp v18, v16 row_shr:8 row_mask:0xf bank_mask:0xc
	v_mov_b32_dpp v19, v17 row_shr:8 row_mask:0xf bank_mask:0xc
	;; [unrolled: 1-line block ×4, first 2 shown]
	v_add_f64 v[14:15], v[14:15], v[10:11]
	v_mov_b32_dpp v10, v12 row_shr:4 row_mask:0xf bank_mask:0xe
	v_mov_b32_dpp v11, v13 row_shr:4 row_mask:0xf bank_mask:0xe
	v_add_f64 v[22:23], v[12:13], v[10:11]
	v_add_f64 v[10:11], v[16:17], v[18:19]
	v_mov_b32_dpp v12, v20 row_shr:8 row_mask:0xf bank_mask:0xc
	v_mov_b32_dpp v13, v21 row_shr:8 row_mask:0xf bank_mask:0xc
	v_add_f64 v[12:13], v[20:21], v[12:13]
	v_mov_b32_dpp v16, v14 row_shr:8 row_mask:0xf bank_mask:0xc
	v_mov_b32_dpp v17, v15 row_shr:8 row_mask:0xf bank_mask:0xc
	;; [unrolled: 3-line block ×3, first 2 shown]
	v_add_f64 v[14:15], v[22:23], v[14:15]
	v_mov_b32_dpp v24, v10 row_bcast:15 row_mask:0xa bank_mask:0xf
	v_mov_b32_dpp v25, v11 row_bcast:15 row_mask:0xa bank_mask:0xf
	;; [unrolled: 1-line block ×8, first 2 shown]
	s_and_b64 exec, exec, vcc
	s_cbranch_execz .LBB231_21
; %bb.17:
	v_cmp_eq_f64_e32 vcc, 0, v[5:6]
	v_cmp_eq_f64_e64 s[0:1], 0, v[7:8]
	v_add_f64 v[10:11], v[10:11], v[24:25]
	v_add_f64 v[16:17], v[12:13], v[16:17]
	;; [unrolled: 1-line block ×4, first 2 shown]
	s_load_dwordx2 s[2:3], s[4:5], 0x48
	s_and_b64 s[0:1], vcc, s[0:1]
	s_and_saveexec_b64 s[4:5], s[0:1]
	s_xor_b64 s[0:1], exec, s[4:5]
	s_cbranch_execz .LBB231_19
; %bb.18:
	v_mul_f64 v[5:6], v[16:17], -v[3:4]
	v_mul_f64 v[7:8], v[1:2], v[16:17]
	v_mul_f64 v[16:17], v[14:15], -v[3:4]
	v_mul_f64 v[14:15], v[1:2], v[14:15]
	v_lshlrev_b32_e32 v9, 1, v9
	s_waitcnt lgkmcnt(0)
	v_mov_b32_e32 v18, s3
	v_fma_f64 v[5:6], v[1:2], v[10:11], v[5:6]
	v_fma_f64 v[7:8], v[3:4], v[10:11], v[7:8]
	;; [unrolled: 1-line block ×4, first 2 shown]
	v_ashrrev_i32_e32 v10, 31, v9
	v_lshlrev_b64 v[9:10], 4, v[9:10]
                                        ; implicit-def: $vgpr16_vgpr17
                                        ; implicit-def: $vgpr12_vgpr13
                                        ; implicit-def: $vgpr14_vgpr15
	v_add_co_u32_e32 v9, vcc, s2, v9
	v_addc_co_u32_e32 v10, vcc, v18, v10, vcc
	global_store_dwordx4 v[9:10], v[5:8], off
	global_store_dwordx4 v[9:10], v[0:3], off offset:16
                                        ; implicit-def: $vgpr9
                                        ; implicit-def: $vgpr10_vgpr11
                                        ; implicit-def: $vgpr7_vgpr8
                                        ; implicit-def: $vgpr3_vgpr4
.LBB231_19:
	s_andn2_saveexec_b64 s[0:1], s[0:1]
	s_cbranch_execz .LBB231_21
; %bb.20:
	v_lshlrev_b32_e32 v18, 1, v9
	v_ashrrev_i32_e32 v19, 31, v18
	v_lshlrev_b64 v[18:19], 4, v[18:19]
	s_waitcnt lgkmcnt(0)
	v_mov_b32_e32 v0, s3
	v_add_co_u32_e32 v26, vcc, s2, v18
	v_addc_co_u32_e32 v27, vcc, v0, v19, vcc
	global_load_dwordx4 v[18:21], v[26:27], off
	global_load_dwordx4 v[22:25], v[26:27], off offset:16
	v_mul_f64 v[28:29], v[16:17], -v[3:4]
	v_mul_f64 v[16:17], v[1:2], v[16:17]
	v_mul_f64 v[30:31], v[14:15], -v[3:4]
	v_mul_f64 v[14:15], v[1:2], v[14:15]
	v_fma_f64 v[28:29], v[1:2], v[10:11], v[28:29]
	v_fma_f64 v[9:10], v[3:4], v[10:11], v[16:17]
	;; [unrolled: 1-line block ×4, first 2 shown]
	s_waitcnt vmcnt(1)
	v_fma_f64 v[11:12], v[5:6], v[18:19], v[28:29]
	v_fma_f64 v[9:10], v[7:8], v[18:19], v[9:10]
	s_waitcnt vmcnt(0)
	v_fma_f64 v[13:14], v[5:6], v[22:23], v[0:1]
	v_fma_f64 v[15:16], v[7:8], v[22:23], v[2:3]
	v_fma_f64 v[0:1], -v[7:8], v[20:21], v[11:12]
	v_fma_f64 v[2:3], v[5:6], v[20:21], v[9:10]
	v_fma_f64 v[7:8], -v[7:8], v[24:25], v[13:14]
	v_fma_f64 v[9:10], v[5:6], v[24:25], v[15:16]
	global_store_dwordx4 v[26:27], v[0:3], off
	global_store_dwordx4 v[26:27], v[7:10], off offset:16
.LBB231_21:
	s_endpgm
	.section	.rodata,"a",@progbits
	.p2align	6, 0x0
	.amdhsa_kernel _ZN9rocsparseL19gebsrmvn_2xn_kernelILj128ELj1ELj32E21rocsparse_complex_numIdEEEvi20rocsparse_direction_NS_24const_host_device_scalarIT2_EEPKiS8_PKS5_SA_S6_PS5_21rocsparse_index_base_b
		.amdhsa_group_segment_fixed_size 0
		.amdhsa_private_segment_fixed_size 0
		.amdhsa_kernarg_size 88
		.amdhsa_user_sgpr_count 6
		.amdhsa_user_sgpr_private_segment_buffer 1
		.amdhsa_user_sgpr_dispatch_ptr 0
		.amdhsa_user_sgpr_queue_ptr 0
		.amdhsa_user_sgpr_kernarg_segment_ptr 1
		.amdhsa_user_sgpr_dispatch_id 0
		.amdhsa_user_sgpr_flat_scratch_init 0
		.amdhsa_user_sgpr_private_segment_size 0
		.amdhsa_uses_dynamic_stack 0
		.amdhsa_system_sgpr_private_segment_wavefront_offset 0
		.amdhsa_system_sgpr_workgroup_id_x 1
		.amdhsa_system_sgpr_workgroup_id_y 0
		.amdhsa_system_sgpr_workgroup_id_z 0
		.amdhsa_system_sgpr_workgroup_info 0
		.amdhsa_system_vgpr_workitem_id 0
		.amdhsa_next_free_vgpr 39
		.amdhsa_next_free_sgpr 16
		.amdhsa_reserve_vcc 1
		.amdhsa_reserve_flat_scratch 0
		.amdhsa_float_round_mode_32 0
		.amdhsa_float_round_mode_16_64 0
		.amdhsa_float_denorm_mode_32 3
		.amdhsa_float_denorm_mode_16_64 3
		.amdhsa_dx10_clamp 1
		.amdhsa_ieee_mode 1
		.amdhsa_fp16_overflow 0
		.amdhsa_exception_fp_ieee_invalid_op 0
		.amdhsa_exception_fp_denorm_src 0
		.amdhsa_exception_fp_ieee_div_zero 0
		.amdhsa_exception_fp_ieee_overflow 0
		.amdhsa_exception_fp_ieee_underflow 0
		.amdhsa_exception_fp_ieee_inexact 0
		.amdhsa_exception_int_div_zero 0
	.end_amdhsa_kernel
	.section	.text._ZN9rocsparseL19gebsrmvn_2xn_kernelILj128ELj1ELj32E21rocsparse_complex_numIdEEEvi20rocsparse_direction_NS_24const_host_device_scalarIT2_EEPKiS8_PKS5_SA_S6_PS5_21rocsparse_index_base_b,"axG",@progbits,_ZN9rocsparseL19gebsrmvn_2xn_kernelILj128ELj1ELj32E21rocsparse_complex_numIdEEEvi20rocsparse_direction_NS_24const_host_device_scalarIT2_EEPKiS8_PKS5_SA_S6_PS5_21rocsparse_index_base_b,comdat
.Lfunc_end231:
	.size	_ZN9rocsparseL19gebsrmvn_2xn_kernelILj128ELj1ELj32E21rocsparse_complex_numIdEEEvi20rocsparse_direction_NS_24const_host_device_scalarIT2_EEPKiS8_PKS5_SA_S6_PS5_21rocsparse_index_base_b, .Lfunc_end231-_ZN9rocsparseL19gebsrmvn_2xn_kernelILj128ELj1ELj32E21rocsparse_complex_numIdEEEvi20rocsparse_direction_NS_24const_host_device_scalarIT2_EEPKiS8_PKS5_SA_S6_PS5_21rocsparse_index_base_b
                                        ; -- End function
	.set _ZN9rocsparseL19gebsrmvn_2xn_kernelILj128ELj1ELj32E21rocsparse_complex_numIdEEEvi20rocsparse_direction_NS_24const_host_device_scalarIT2_EEPKiS8_PKS5_SA_S6_PS5_21rocsparse_index_base_b.num_vgpr, 39
	.set _ZN9rocsparseL19gebsrmvn_2xn_kernelILj128ELj1ELj32E21rocsparse_complex_numIdEEEvi20rocsparse_direction_NS_24const_host_device_scalarIT2_EEPKiS8_PKS5_SA_S6_PS5_21rocsparse_index_base_b.num_agpr, 0
	.set _ZN9rocsparseL19gebsrmvn_2xn_kernelILj128ELj1ELj32E21rocsparse_complex_numIdEEEvi20rocsparse_direction_NS_24const_host_device_scalarIT2_EEPKiS8_PKS5_SA_S6_PS5_21rocsparse_index_base_b.numbered_sgpr, 16
	.set _ZN9rocsparseL19gebsrmvn_2xn_kernelILj128ELj1ELj32E21rocsparse_complex_numIdEEEvi20rocsparse_direction_NS_24const_host_device_scalarIT2_EEPKiS8_PKS5_SA_S6_PS5_21rocsparse_index_base_b.num_named_barrier, 0
	.set _ZN9rocsparseL19gebsrmvn_2xn_kernelILj128ELj1ELj32E21rocsparse_complex_numIdEEEvi20rocsparse_direction_NS_24const_host_device_scalarIT2_EEPKiS8_PKS5_SA_S6_PS5_21rocsparse_index_base_b.private_seg_size, 0
	.set _ZN9rocsparseL19gebsrmvn_2xn_kernelILj128ELj1ELj32E21rocsparse_complex_numIdEEEvi20rocsparse_direction_NS_24const_host_device_scalarIT2_EEPKiS8_PKS5_SA_S6_PS5_21rocsparse_index_base_b.uses_vcc, 1
	.set _ZN9rocsparseL19gebsrmvn_2xn_kernelILj128ELj1ELj32E21rocsparse_complex_numIdEEEvi20rocsparse_direction_NS_24const_host_device_scalarIT2_EEPKiS8_PKS5_SA_S6_PS5_21rocsparse_index_base_b.uses_flat_scratch, 0
	.set _ZN9rocsparseL19gebsrmvn_2xn_kernelILj128ELj1ELj32E21rocsparse_complex_numIdEEEvi20rocsparse_direction_NS_24const_host_device_scalarIT2_EEPKiS8_PKS5_SA_S6_PS5_21rocsparse_index_base_b.has_dyn_sized_stack, 0
	.set _ZN9rocsparseL19gebsrmvn_2xn_kernelILj128ELj1ELj32E21rocsparse_complex_numIdEEEvi20rocsparse_direction_NS_24const_host_device_scalarIT2_EEPKiS8_PKS5_SA_S6_PS5_21rocsparse_index_base_b.has_recursion, 0
	.set _ZN9rocsparseL19gebsrmvn_2xn_kernelILj128ELj1ELj32E21rocsparse_complex_numIdEEEvi20rocsparse_direction_NS_24const_host_device_scalarIT2_EEPKiS8_PKS5_SA_S6_PS5_21rocsparse_index_base_b.has_indirect_call, 0
	.section	.AMDGPU.csdata,"",@progbits
; Kernel info:
; codeLenInByte = 1724
; TotalNumSgprs: 20
; NumVgprs: 39
; ScratchSize: 0
; MemoryBound: 0
; FloatMode: 240
; IeeeMode: 1
; LDSByteSize: 0 bytes/workgroup (compile time only)
; SGPRBlocks: 2
; VGPRBlocks: 9
; NumSGPRsForWavesPerEU: 20
; NumVGPRsForWavesPerEU: 39
; Occupancy: 6
; WaveLimiterHint : 1
; COMPUTE_PGM_RSRC2:SCRATCH_EN: 0
; COMPUTE_PGM_RSRC2:USER_SGPR: 6
; COMPUTE_PGM_RSRC2:TRAP_HANDLER: 0
; COMPUTE_PGM_RSRC2:TGID_X_EN: 1
; COMPUTE_PGM_RSRC2:TGID_Y_EN: 0
; COMPUTE_PGM_RSRC2:TGID_Z_EN: 0
; COMPUTE_PGM_RSRC2:TIDIG_COMP_CNT: 0
	.section	.text._ZN9rocsparseL19gebsrmvn_2xn_kernelILj128ELj1ELj64E21rocsparse_complex_numIdEEEvi20rocsparse_direction_NS_24const_host_device_scalarIT2_EEPKiS8_PKS5_SA_S6_PS5_21rocsparse_index_base_b,"axG",@progbits,_ZN9rocsparseL19gebsrmvn_2xn_kernelILj128ELj1ELj64E21rocsparse_complex_numIdEEEvi20rocsparse_direction_NS_24const_host_device_scalarIT2_EEPKiS8_PKS5_SA_S6_PS5_21rocsparse_index_base_b,comdat
	.globl	_ZN9rocsparseL19gebsrmvn_2xn_kernelILj128ELj1ELj64E21rocsparse_complex_numIdEEEvi20rocsparse_direction_NS_24const_host_device_scalarIT2_EEPKiS8_PKS5_SA_S6_PS5_21rocsparse_index_base_b ; -- Begin function _ZN9rocsparseL19gebsrmvn_2xn_kernelILj128ELj1ELj64E21rocsparse_complex_numIdEEEvi20rocsparse_direction_NS_24const_host_device_scalarIT2_EEPKiS8_PKS5_SA_S6_PS5_21rocsparse_index_base_b
	.p2align	8
	.type	_ZN9rocsparseL19gebsrmvn_2xn_kernelILj128ELj1ELj64E21rocsparse_complex_numIdEEEvi20rocsparse_direction_NS_24const_host_device_scalarIT2_EEPKiS8_PKS5_SA_S6_PS5_21rocsparse_index_base_b,@function
_ZN9rocsparseL19gebsrmvn_2xn_kernelILj128ELj1ELj64E21rocsparse_complex_numIdEEEvi20rocsparse_direction_NS_24const_host_device_scalarIT2_EEPKiS8_PKS5_SA_S6_PS5_21rocsparse_index_base_b: ; @_ZN9rocsparseL19gebsrmvn_2xn_kernelILj128ELj1ELj64E21rocsparse_complex_numIdEEEvi20rocsparse_direction_NS_24const_host_device_scalarIT2_EEPKiS8_PKS5_SA_S6_PS5_21rocsparse_index_base_b
; %bb.0:
	s_load_dwordx2 s[0:1], s[4:5], 0x8
	s_load_dwordx2 s[8:9], s[4:5], 0x38
	;; [unrolled: 1-line block ×3, first 2 shown]
	s_add_u32 s7, s4, 8
	s_addc_u32 s10, s5, 0
	s_add_u32 s11, s4, 56
	s_addc_u32 s12, s5, 0
	s_waitcnt lgkmcnt(0)
	s_bitcmp1_b32 s3, 0
	s_cselect_b32 s1, s10, s1
	s_cselect_b32 s0, s7, s0
	v_mov_b32_e32 v1, s0
	v_mov_b32_e32 v2, s1
	flat_load_dwordx4 v[1:4], v[1:2]
	s_cselect_b32 s0, s12, s9
	s_cselect_b32 s1, s11, s8
	v_mov_b32_e32 v5, s1
	v_mov_b32_e32 v6, s0
	flat_load_dwordx4 v[5:8], v[5:6]
	s_waitcnt vmcnt(0) lgkmcnt(0)
	v_cmp_eq_f64_e32 vcc, 0, v[1:2]
	v_cmp_eq_f64_e64 s[0:1], 0, v[3:4]
	s_and_b64 s[10:11], vcc, s[0:1]
	s_mov_b64 s[0:1], -1
	s_and_saveexec_b64 s[8:9], s[10:11]
	s_cbranch_execz .LBB232_2
; %bb.1:
	v_cmp_neq_f64_e32 vcc, 1.0, v[5:6]
	v_cmp_neq_f64_e64 s[0:1], 0, v[7:8]
	s_or_b64 s[0:1], vcc, s[0:1]
	s_orn2_b64 s[0:1], s[0:1], exec
.LBB232_2:
	s_or_b64 exec, exec, s[8:9]
	s_and_saveexec_b64 s[8:9], s[0:1]
	s_cbranch_execz .LBB232_21
; %bb.3:
	s_load_dwordx2 s[0:1], s[4:5], 0x0
	v_lshrrev_b32_e32 v9, 6, v0
	v_lshl_or_b32 v9, s6, 1, v9
	s_waitcnt lgkmcnt(0)
	v_cmp_gt_i32_e32 vcc, s0, v9
	s_and_b64 exec, exec, vcc
	s_cbranch_execz .LBB232_21
; %bb.4:
	s_load_dwordx8 s[8:15], s[4:5], 0x18
	v_ashrrev_i32_e32 v10, 31, v9
	v_lshlrev_b64 v[10:11], 2, v[9:10]
	v_and_b32_e32 v0, 63, v0
	s_cmp_lg_u32 s1, 0
	s_waitcnt lgkmcnt(0)
	v_mov_b32_e32 v12, s9
	v_add_co_u32_e32 v10, vcc, s8, v10
	v_addc_co_u32_e32 v11, vcc, v12, v11, vcc
	global_load_dwordx2 v[10:11], v[10:11], off
	s_waitcnt vmcnt(0)
	v_subrev_u32_e32 v10, s2, v10
	v_subrev_u32_e32 v24, s2, v11
	v_add_u32_e32 v16, v10, v0
	v_cmp_lt_i32_e64 s[0:1], v16, v24
	s_cbranch_scc0 .LBB232_10
; %bb.5:
	v_mov_b32_e32 v14, 0
	v_mov_b32_e32 v18, 0
	;; [unrolled: 1-line block ×8, first 2 shown]
	s_and_saveexec_b64 s[6:7], s[0:1]
	s_cbranch_execz .LBB232_9
; %bb.6:
	v_mov_b32_e32 v14, 0
	v_mov_b32_e32 v18, 0
	;; [unrolled: 1-line block ×4, first 2 shown]
	v_lshlrev_b32_e32 v20, 1, v16
	v_mov_b32_e32 v15, 0
	s_mov_b64 s[8:9], 0
	v_mov_b32_e32 v17, s11
	v_mov_b32_e32 v21, 0
	;; [unrolled: 1-line block ×8, first 2 shown]
.LBB232_7:                              ; =>This Inner Loop Header: Depth=1
	v_ashrrev_i32_e32 v23, 31, v22
	v_lshlrev_b64 v[27:28], 2, v[22:23]
	v_mov_b32_e32 v36, v21
	v_add_co_u32_e32 v27, vcc, s10, v27
	v_addc_co_u32_e32 v28, vcc, v17, v28, vcc
	global_load_dword v23, v[27:28], off
	v_lshlrev_b64 v[27:28], 4, v[20:21]
	v_add_u32_e32 v22, 64, v22
	v_add_co_u32_e32 v37, vcc, s12, v27
	v_addc_co_u32_e32 v38, vcc, v25, v28, vcc
	global_load_dwordx4 v[27:30], v[37:38], off offset:16
	global_load_dwordx4 v[31:34], v[37:38], off
	v_add_u32_e32 v20, 0x80, v20
	s_waitcnt vmcnt(2)
	v_subrev_u32_e32 v35, s2, v23
	v_lshlrev_b64 v[35:36], 4, v[35:36]
	v_add_co_u32_e32 v35, vcc, s14, v35
	v_addc_co_u32_e32 v36, vcc, v26, v36, vcc
	global_load_dwordx4 v[35:38], v[35:36], off
	v_cmp_ge_i32_e32 vcc, v22, v24
	s_or_b64 s[8:9], vcc, s[8:9]
	s_waitcnt vmcnt(0)
	v_fma_f64 v[18:19], v[31:32], v[35:36], v[18:19]
	v_fma_f64 v[14:15], v[33:34], v[35:36], v[14:15]
	;; [unrolled: 1-line block ×4, first 2 shown]
	v_fma_f64 v[18:19], -v[33:34], v[37:38], v[18:19]
	v_fma_f64 v[14:15], v[31:32], v[37:38], v[14:15]
	v_fma_f64 v[12:13], -v[29:30], v[37:38], v[12:13]
	v_fma_f64 v[10:11], v[27:28], v[37:38], v[10:11]
	s_andn2_b64 exec, exec, s[8:9]
	s_cbranch_execnz .LBB232_7
; %bb.8:
	s_or_b64 exec, exec, s[8:9]
.LBB232_9:
	s_or_b64 exec, exec, s[6:7]
	s_cbranch_execz .LBB232_11
	s_branch .LBB232_16
.LBB232_10:
                                        ; implicit-def: $vgpr14_vgpr15
                                        ; implicit-def: $vgpr18_vgpr19
                                        ; implicit-def: $vgpr12_vgpr13
                                        ; implicit-def: $vgpr10_vgpr11
.LBB232_11:
	v_mov_b32_e32 v14, 0
	v_mov_b32_e32 v18, 0
	;; [unrolled: 1-line block ×8, first 2 shown]
	s_and_saveexec_b64 s[6:7], s[0:1]
	s_cbranch_execz .LBB232_15
; %bb.12:
	v_mov_b32_e32 v14, 0
	v_mov_b32_e32 v18, 0
	;; [unrolled: 1-line block ×4, first 2 shown]
	v_lshlrev_b32_e32 v20, 1, v16
	v_mov_b32_e32 v15, 0
	s_mov_b64 s[0:1], 0
	v_mov_b32_e32 v22, s11
	v_mov_b32_e32 v21, 0
	;; [unrolled: 1-line block ×7, first 2 shown]
.LBB232_13:                             ; =>This Inner Loop Header: Depth=1
	v_ashrrev_i32_e32 v17, 31, v16
	v_lshlrev_b64 v[26:27], 2, v[16:17]
	v_mov_b32_e32 v35, v21
	v_add_co_u32_e32 v26, vcc, s10, v26
	v_addc_co_u32_e32 v27, vcc, v22, v27, vcc
	global_load_dword v17, v[26:27], off
	v_lshlrev_b64 v[26:27], 4, v[20:21]
	v_add_u32_e32 v16, 64, v16
	v_add_co_u32_e32 v36, vcc, s12, v26
	v_addc_co_u32_e32 v37, vcc, v23, v27, vcc
	global_load_dwordx4 v[26:29], v[36:37], off
	global_load_dwordx4 v[30:33], v[36:37], off offset:16
	v_add_u32_e32 v20, 0x80, v20
	s_waitcnt vmcnt(2)
	v_subrev_u32_e32 v34, s2, v17
	v_lshlrev_b64 v[34:35], 4, v[34:35]
	v_add_co_u32_e32 v34, vcc, s14, v34
	v_addc_co_u32_e32 v35, vcc, v25, v35, vcc
	global_load_dwordx4 v[34:37], v[34:35], off
	v_cmp_ge_i32_e32 vcc, v16, v24
	s_or_b64 s[0:1], vcc, s[0:1]
	s_waitcnt vmcnt(0)
	v_fma_f64 v[17:18], v[26:27], v[34:35], v[18:19]
	v_fma_f64 v[14:15], v[28:29], v[34:35], v[14:15]
	;; [unrolled: 1-line block ×4, first 2 shown]
	v_fma_f64 v[18:19], -v[28:29], v[36:37], v[17:18]
	v_fma_f64 v[14:15], v[26:27], v[36:37], v[14:15]
	v_fma_f64 v[12:13], -v[32:33], v[36:37], v[12:13]
	v_fma_f64 v[10:11], v[30:31], v[36:37], v[10:11]
	s_andn2_b64 exec, exec, s[0:1]
	s_cbranch_execnz .LBB232_13
; %bb.14:
	s_or_b64 exec, exec, s[0:1]
.LBB232_15:
	s_or_b64 exec, exec, s[6:7]
.LBB232_16:
	v_mov_b32_dpp v16, v18 row_shr:1 row_mask:0xf bank_mask:0xf
	v_mov_b32_dpp v17, v19 row_shr:1 row_mask:0xf bank_mask:0xf
	v_add_f64 v[16:17], v[18:19], v[16:17]
	v_mov_b32_dpp v18, v14 row_shr:1 row_mask:0xf bank_mask:0xf
	v_mov_b32_dpp v19, v15 row_shr:1 row_mask:0xf bank_mask:0xf
	v_add_f64 v[14:15], v[14:15], v[18:19]
	;; [unrolled: 3-line block ×3, first 2 shown]
	v_cmp_eq_u32_e32 vcc, 63, v0
	v_mov_b32_dpp v18, v16 row_shr:2 row_mask:0xf bank_mask:0xf
	v_mov_b32_dpp v19, v17 row_shr:2 row_mask:0xf bank_mask:0xf
	v_add_f64 v[16:17], v[16:17], v[18:19]
	v_mov_b32_dpp v18, v12 row_shr:1 row_mask:0xf bank_mask:0xf
	v_mov_b32_dpp v19, v13 row_shr:1 row_mask:0xf bank_mask:0xf
	v_add_f64 v[12:13], v[12:13], v[18:19]
	v_mov_b32_dpp v18, v14 row_shr:2 row_mask:0xf bank_mask:0xf
	v_mov_b32_dpp v19, v16 row_shr:4 row_mask:0xf bank_mask:0xe
	v_mov_b32_dpp v20, v17 row_shr:4 row_mask:0xf bank_mask:0xe
	v_add_f64 v[16:17], v[16:17], v[19:20]
	v_mov_b32_dpp v19, v15 row_shr:2 row_mask:0xf bank_mask:0xf
	;; [unrolled: 4-line block ×3, first 2 shown]
	v_add_f64 v[12:13], v[12:13], v[20:21]
	v_mov_b32_dpp v19, v11 row_shr:2 row_mask:0xf bank_mask:0xf
	v_add_f64 v[10:11], v[10:11], v[18:19]
	v_mov_b32_dpp v20, v16 row_shr:8 row_mask:0xf bank_mask:0xc
	v_mov_b32_dpp v21, v17 row_shr:8 row_mask:0xf bank_mask:0xc
	v_add_f64 v[16:17], v[16:17], v[20:21]
	v_mov_b32_dpp v18, v14 row_shr:4 row_mask:0xf bank_mask:0xe
	v_mov_b32_dpp v19, v15 row_shr:4 row_mask:0xf bank_mask:0xe
	;; [unrolled: 1-line block ×3, first 2 shown]
	v_add_f64 v[14:15], v[14:15], v[18:19]
	v_mov_b32_dpp v21, v13 row_shr:4 row_mask:0xf bank_mask:0xe
	v_add_f64 v[12:13], v[12:13], v[20:21]
	v_mov_b32_dpp v19, v10 row_shr:4 row_mask:0xf bank_mask:0xe
	v_mov_b32_dpp v20, v11 row_shr:4 row_mask:0xf bank_mask:0xe
	v_add_f64 v[10:11], v[10:11], v[19:20]
	v_mov_b32_dpp v18, v16 row_bcast:15 row_mask:0xa bank_mask:0xf
	v_mov_b32_dpp v19, v17 row_bcast:15 row_mask:0xa bank_mask:0xf
	v_mov_b32_dpp v20, v14 row_shr:8 row_mask:0xf bank_mask:0xc
	v_mov_b32_dpp v21, v15 row_shr:8 row_mask:0xf bank_mask:0xc
	v_add_f64 v[14:15], v[14:15], v[20:21]
	v_mov_b32_dpp v20, v12 row_shr:8 row_mask:0xf bank_mask:0xc
	v_mov_b32_dpp v21, v13 row_shr:8 row_mask:0xf bank_mask:0xc
	v_add_f64 v[20:21], v[12:13], v[20:21]
	;; [unrolled: 3-line block ×3, first 2 shown]
	v_add_f64 v[10:11], v[16:17], v[18:19]
	v_mov_b32_dpp v12, v14 row_bcast:15 row_mask:0xa bank_mask:0xf
	v_mov_b32_dpp v13, v15 row_bcast:15 row_mask:0xa bank_mask:0xf
	v_add_f64 v[12:13], v[14:15], v[12:13]
	v_mov_b32_dpp v14, v20 row_bcast:15 row_mask:0xa bank_mask:0xf
	v_mov_b32_dpp v15, v21 row_bcast:15 row_mask:0xa bank_mask:0xf
	;; [unrolled: 3-line block ×4, first 2 shown]
	v_mov_b32_dpp v16, v12 row_bcast:31 row_mask:0xc bank_mask:0xf
	v_mov_b32_dpp v17, v13 row_bcast:31 row_mask:0xc bank_mask:0xf
	;; [unrolled: 1-line block ×6, first 2 shown]
	s_and_b64 exec, exec, vcc
	s_cbranch_execz .LBB232_21
; %bb.17:
	v_cmp_eq_f64_e32 vcc, 0, v[5:6]
	v_cmp_eq_f64_e64 s[0:1], 0, v[7:8]
	v_add_f64 v[10:11], v[10:11], v[24:25]
	v_add_f64 v[16:17], v[12:13], v[16:17]
	;; [unrolled: 1-line block ×4, first 2 shown]
	s_load_dwordx2 s[2:3], s[4:5], 0x48
	s_and_b64 s[0:1], vcc, s[0:1]
	s_and_saveexec_b64 s[4:5], s[0:1]
	s_xor_b64 s[0:1], exec, s[4:5]
	s_cbranch_execz .LBB232_19
; %bb.18:
	v_mul_f64 v[5:6], v[16:17], -v[3:4]
	v_mul_f64 v[7:8], v[1:2], v[16:17]
	v_mul_f64 v[16:17], v[14:15], -v[3:4]
	v_mul_f64 v[14:15], v[1:2], v[14:15]
	v_lshlrev_b32_e32 v9, 1, v9
	s_waitcnt lgkmcnt(0)
	v_mov_b32_e32 v18, s3
	v_fma_f64 v[5:6], v[1:2], v[10:11], v[5:6]
	v_fma_f64 v[7:8], v[3:4], v[10:11], v[7:8]
	;; [unrolled: 1-line block ×4, first 2 shown]
	v_ashrrev_i32_e32 v10, 31, v9
	v_lshlrev_b64 v[9:10], 4, v[9:10]
                                        ; implicit-def: $vgpr16_vgpr17
                                        ; implicit-def: $vgpr12_vgpr13
                                        ; implicit-def: $vgpr14_vgpr15
	v_add_co_u32_e32 v9, vcc, s2, v9
	v_addc_co_u32_e32 v10, vcc, v18, v10, vcc
	global_store_dwordx4 v[9:10], v[5:8], off
	global_store_dwordx4 v[9:10], v[0:3], off offset:16
                                        ; implicit-def: $vgpr9
                                        ; implicit-def: $vgpr10_vgpr11
                                        ; implicit-def: $vgpr7_vgpr8
                                        ; implicit-def: $vgpr3_vgpr4
.LBB232_19:
	s_andn2_saveexec_b64 s[0:1], s[0:1]
	s_cbranch_execz .LBB232_21
; %bb.20:
	v_lshlrev_b32_e32 v18, 1, v9
	v_ashrrev_i32_e32 v19, 31, v18
	v_lshlrev_b64 v[18:19], 4, v[18:19]
	s_waitcnt lgkmcnt(0)
	v_mov_b32_e32 v0, s3
	v_add_co_u32_e32 v26, vcc, s2, v18
	v_addc_co_u32_e32 v27, vcc, v0, v19, vcc
	global_load_dwordx4 v[18:21], v[26:27], off
	global_load_dwordx4 v[22:25], v[26:27], off offset:16
	v_mul_f64 v[28:29], v[16:17], -v[3:4]
	v_mul_f64 v[16:17], v[1:2], v[16:17]
	v_mul_f64 v[30:31], v[14:15], -v[3:4]
	v_mul_f64 v[14:15], v[1:2], v[14:15]
	v_fma_f64 v[28:29], v[1:2], v[10:11], v[28:29]
	v_fma_f64 v[9:10], v[3:4], v[10:11], v[16:17]
	;; [unrolled: 1-line block ×4, first 2 shown]
	s_waitcnt vmcnt(1)
	v_fma_f64 v[11:12], v[5:6], v[18:19], v[28:29]
	v_fma_f64 v[9:10], v[7:8], v[18:19], v[9:10]
	s_waitcnt vmcnt(0)
	v_fma_f64 v[13:14], v[5:6], v[22:23], v[0:1]
	v_fma_f64 v[15:16], v[7:8], v[22:23], v[2:3]
	v_fma_f64 v[0:1], -v[7:8], v[20:21], v[11:12]
	v_fma_f64 v[2:3], v[5:6], v[20:21], v[9:10]
	v_fma_f64 v[7:8], -v[7:8], v[24:25], v[13:14]
	v_fma_f64 v[9:10], v[5:6], v[24:25], v[15:16]
	global_store_dwordx4 v[26:27], v[0:3], off
	global_store_dwordx4 v[26:27], v[7:10], off offset:16
.LBB232_21:
	s_endpgm
	.section	.rodata,"a",@progbits
	.p2align	6, 0x0
	.amdhsa_kernel _ZN9rocsparseL19gebsrmvn_2xn_kernelILj128ELj1ELj64E21rocsparse_complex_numIdEEEvi20rocsparse_direction_NS_24const_host_device_scalarIT2_EEPKiS8_PKS5_SA_S6_PS5_21rocsparse_index_base_b
		.amdhsa_group_segment_fixed_size 0
		.amdhsa_private_segment_fixed_size 0
		.amdhsa_kernarg_size 88
		.amdhsa_user_sgpr_count 6
		.amdhsa_user_sgpr_private_segment_buffer 1
		.amdhsa_user_sgpr_dispatch_ptr 0
		.amdhsa_user_sgpr_queue_ptr 0
		.amdhsa_user_sgpr_kernarg_segment_ptr 1
		.amdhsa_user_sgpr_dispatch_id 0
		.amdhsa_user_sgpr_flat_scratch_init 0
		.amdhsa_user_sgpr_private_segment_size 0
		.amdhsa_uses_dynamic_stack 0
		.amdhsa_system_sgpr_private_segment_wavefront_offset 0
		.amdhsa_system_sgpr_workgroup_id_x 1
		.amdhsa_system_sgpr_workgroup_id_y 0
		.amdhsa_system_sgpr_workgroup_id_z 0
		.amdhsa_system_sgpr_workgroup_info 0
		.amdhsa_system_vgpr_workitem_id 0
		.amdhsa_next_free_vgpr 39
		.amdhsa_next_free_sgpr 16
		.amdhsa_reserve_vcc 1
		.amdhsa_reserve_flat_scratch 0
		.amdhsa_float_round_mode_32 0
		.amdhsa_float_round_mode_16_64 0
		.amdhsa_float_denorm_mode_32 3
		.amdhsa_float_denorm_mode_16_64 3
		.amdhsa_dx10_clamp 1
		.amdhsa_ieee_mode 1
		.amdhsa_fp16_overflow 0
		.amdhsa_exception_fp_ieee_invalid_op 0
		.amdhsa_exception_fp_denorm_src 0
		.amdhsa_exception_fp_ieee_div_zero 0
		.amdhsa_exception_fp_ieee_overflow 0
		.amdhsa_exception_fp_ieee_underflow 0
		.amdhsa_exception_fp_ieee_inexact 0
		.amdhsa_exception_int_div_zero 0
	.end_amdhsa_kernel
	.section	.text._ZN9rocsparseL19gebsrmvn_2xn_kernelILj128ELj1ELj64E21rocsparse_complex_numIdEEEvi20rocsparse_direction_NS_24const_host_device_scalarIT2_EEPKiS8_PKS5_SA_S6_PS5_21rocsparse_index_base_b,"axG",@progbits,_ZN9rocsparseL19gebsrmvn_2xn_kernelILj128ELj1ELj64E21rocsparse_complex_numIdEEEvi20rocsparse_direction_NS_24const_host_device_scalarIT2_EEPKiS8_PKS5_SA_S6_PS5_21rocsparse_index_base_b,comdat
.Lfunc_end232:
	.size	_ZN9rocsparseL19gebsrmvn_2xn_kernelILj128ELj1ELj64E21rocsparse_complex_numIdEEEvi20rocsparse_direction_NS_24const_host_device_scalarIT2_EEPKiS8_PKS5_SA_S6_PS5_21rocsparse_index_base_b, .Lfunc_end232-_ZN9rocsparseL19gebsrmvn_2xn_kernelILj128ELj1ELj64E21rocsparse_complex_numIdEEEvi20rocsparse_direction_NS_24const_host_device_scalarIT2_EEPKiS8_PKS5_SA_S6_PS5_21rocsparse_index_base_b
                                        ; -- End function
	.set _ZN9rocsparseL19gebsrmvn_2xn_kernelILj128ELj1ELj64E21rocsparse_complex_numIdEEEvi20rocsparse_direction_NS_24const_host_device_scalarIT2_EEPKiS8_PKS5_SA_S6_PS5_21rocsparse_index_base_b.num_vgpr, 39
	.set _ZN9rocsparseL19gebsrmvn_2xn_kernelILj128ELj1ELj64E21rocsparse_complex_numIdEEEvi20rocsparse_direction_NS_24const_host_device_scalarIT2_EEPKiS8_PKS5_SA_S6_PS5_21rocsparse_index_base_b.num_agpr, 0
	.set _ZN9rocsparseL19gebsrmvn_2xn_kernelILj128ELj1ELj64E21rocsparse_complex_numIdEEEvi20rocsparse_direction_NS_24const_host_device_scalarIT2_EEPKiS8_PKS5_SA_S6_PS5_21rocsparse_index_base_b.numbered_sgpr, 16
	.set _ZN9rocsparseL19gebsrmvn_2xn_kernelILj128ELj1ELj64E21rocsparse_complex_numIdEEEvi20rocsparse_direction_NS_24const_host_device_scalarIT2_EEPKiS8_PKS5_SA_S6_PS5_21rocsparse_index_base_b.num_named_barrier, 0
	.set _ZN9rocsparseL19gebsrmvn_2xn_kernelILj128ELj1ELj64E21rocsparse_complex_numIdEEEvi20rocsparse_direction_NS_24const_host_device_scalarIT2_EEPKiS8_PKS5_SA_S6_PS5_21rocsparse_index_base_b.private_seg_size, 0
	.set _ZN9rocsparseL19gebsrmvn_2xn_kernelILj128ELj1ELj64E21rocsparse_complex_numIdEEEvi20rocsparse_direction_NS_24const_host_device_scalarIT2_EEPKiS8_PKS5_SA_S6_PS5_21rocsparse_index_base_b.uses_vcc, 1
	.set _ZN9rocsparseL19gebsrmvn_2xn_kernelILj128ELj1ELj64E21rocsparse_complex_numIdEEEvi20rocsparse_direction_NS_24const_host_device_scalarIT2_EEPKiS8_PKS5_SA_S6_PS5_21rocsparse_index_base_b.uses_flat_scratch, 0
	.set _ZN9rocsparseL19gebsrmvn_2xn_kernelILj128ELj1ELj64E21rocsparse_complex_numIdEEEvi20rocsparse_direction_NS_24const_host_device_scalarIT2_EEPKiS8_PKS5_SA_S6_PS5_21rocsparse_index_base_b.has_dyn_sized_stack, 0
	.set _ZN9rocsparseL19gebsrmvn_2xn_kernelILj128ELj1ELj64E21rocsparse_complex_numIdEEEvi20rocsparse_direction_NS_24const_host_device_scalarIT2_EEPKiS8_PKS5_SA_S6_PS5_21rocsparse_index_base_b.has_recursion, 0
	.set _ZN9rocsparseL19gebsrmvn_2xn_kernelILj128ELj1ELj64E21rocsparse_complex_numIdEEEvi20rocsparse_direction_NS_24const_host_device_scalarIT2_EEPKiS8_PKS5_SA_S6_PS5_21rocsparse_index_base_b.has_indirect_call, 0
	.section	.AMDGPU.csdata,"",@progbits
; Kernel info:
; codeLenInByte = 1828
; TotalNumSgprs: 20
; NumVgprs: 39
; ScratchSize: 0
; MemoryBound: 0
; FloatMode: 240
; IeeeMode: 1
; LDSByteSize: 0 bytes/workgroup (compile time only)
; SGPRBlocks: 2
; VGPRBlocks: 9
; NumSGPRsForWavesPerEU: 20
; NumVGPRsForWavesPerEU: 39
; Occupancy: 6
; WaveLimiterHint : 1
; COMPUTE_PGM_RSRC2:SCRATCH_EN: 0
; COMPUTE_PGM_RSRC2:USER_SGPR: 6
; COMPUTE_PGM_RSRC2:TRAP_HANDLER: 0
; COMPUTE_PGM_RSRC2:TGID_X_EN: 1
; COMPUTE_PGM_RSRC2:TGID_Y_EN: 0
; COMPUTE_PGM_RSRC2:TGID_Z_EN: 0
; COMPUTE_PGM_RSRC2:TIDIG_COMP_CNT: 0
	.section	.text._ZN9rocsparseL19gebsrmvn_2xn_kernelILj128ELj3ELj4E21rocsparse_complex_numIdEEEvi20rocsparse_direction_NS_24const_host_device_scalarIT2_EEPKiS8_PKS5_SA_S6_PS5_21rocsparse_index_base_b,"axG",@progbits,_ZN9rocsparseL19gebsrmvn_2xn_kernelILj128ELj3ELj4E21rocsparse_complex_numIdEEEvi20rocsparse_direction_NS_24const_host_device_scalarIT2_EEPKiS8_PKS5_SA_S6_PS5_21rocsparse_index_base_b,comdat
	.globl	_ZN9rocsparseL19gebsrmvn_2xn_kernelILj128ELj3ELj4E21rocsparse_complex_numIdEEEvi20rocsparse_direction_NS_24const_host_device_scalarIT2_EEPKiS8_PKS5_SA_S6_PS5_21rocsparse_index_base_b ; -- Begin function _ZN9rocsparseL19gebsrmvn_2xn_kernelILj128ELj3ELj4E21rocsparse_complex_numIdEEEvi20rocsparse_direction_NS_24const_host_device_scalarIT2_EEPKiS8_PKS5_SA_S6_PS5_21rocsparse_index_base_b
	.p2align	8
	.type	_ZN9rocsparseL19gebsrmvn_2xn_kernelILj128ELj3ELj4E21rocsparse_complex_numIdEEEvi20rocsparse_direction_NS_24const_host_device_scalarIT2_EEPKiS8_PKS5_SA_S6_PS5_21rocsparse_index_base_b,@function
_ZN9rocsparseL19gebsrmvn_2xn_kernelILj128ELj3ELj4E21rocsparse_complex_numIdEEEvi20rocsparse_direction_NS_24const_host_device_scalarIT2_EEPKiS8_PKS5_SA_S6_PS5_21rocsparse_index_base_b: ; @_ZN9rocsparseL19gebsrmvn_2xn_kernelILj128ELj3ELj4E21rocsparse_complex_numIdEEEvi20rocsparse_direction_NS_24const_host_device_scalarIT2_EEPKiS8_PKS5_SA_S6_PS5_21rocsparse_index_base_b
; %bb.0:
	s_load_dwordx2 s[0:1], s[4:5], 0x8
	s_load_dwordx2 s[8:9], s[4:5], 0x38
	;; [unrolled: 1-line block ×3, first 2 shown]
	s_add_u32 s7, s4, 8
	s_addc_u32 s10, s5, 0
	s_add_u32 s11, s4, 56
	s_addc_u32 s12, s5, 0
	s_waitcnt lgkmcnt(0)
	s_bitcmp1_b32 s3, 0
	s_cselect_b32 s1, s10, s1
	s_cselect_b32 s0, s7, s0
	v_mov_b32_e32 v1, s0
	v_mov_b32_e32 v2, s1
	flat_load_dwordx4 v[1:4], v[1:2]
	s_cselect_b32 s0, s12, s9
	s_cselect_b32 s1, s11, s8
	v_mov_b32_e32 v5, s1
	v_mov_b32_e32 v6, s0
	flat_load_dwordx4 v[5:8], v[5:6]
	s_waitcnt vmcnt(0) lgkmcnt(0)
	v_cmp_eq_f64_e32 vcc, 0, v[1:2]
	v_cmp_eq_f64_e64 s[0:1], 0, v[3:4]
	s_and_b64 s[10:11], vcc, s[0:1]
	s_mov_b64 s[0:1], -1
	s_and_saveexec_b64 s[8:9], s[10:11]
	s_cbranch_execz .LBB233_2
; %bb.1:
	v_cmp_neq_f64_e32 vcc, 1.0, v[5:6]
	v_cmp_neq_f64_e64 s[0:1], 0, v[7:8]
	s_or_b64 s[0:1], vcc, s[0:1]
	s_orn2_b64 s[0:1], s[0:1], exec
.LBB233_2:
	s_or_b64 exec, exec, s[8:9]
	s_and_saveexec_b64 s[8:9], s[0:1]
	s_cbranch_execz .LBB233_21
; %bb.3:
	s_load_dwordx2 s[0:1], s[4:5], 0x0
	v_lshrrev_b32_e32 v9, 2, v0
	v_lshl_or_b32 v9, s6, 5, v9
	s_waitcnt lgkmcnt(0)
	v_cmp_gt_i32_e32 vcc, s0, v9
	s_and_b64 exec, exec, vcc
	s_cbranch_execz .LBB233_21
; %bb.4:
	s_load_dwordx8 s[8:15], s[4:5], 0x18
	v_ashrrev_i32_e32 v10, 31, v9
	v_lshlrev_b64 v[10:11], 2, v[9:10]
	v_and_b32_e32 v0, 3, v0
	s_cmp_lg_u32 s1, 0
	s_waitcnt lgkmcnt(0)
	v_mov_b32_e32 v12, s9
	v_add_co_u32_e32 v10, vcc, s8, v10
	v_addc_co_u32_e32 v11, vcc, v12, v11, vcc
	global_load_dwordx2 v[10:11], v[10:11], off
	s_waitcnt vmcnt(0)
	v_subrev_u32_e32 v10, s2, v10
	v_subrev_u32_e32 v24, s2, v11
	v_add_u32_e32 v10, v10, v0
	v_cmp_lt_i32_e64 s[0:1], v10, v24
	s_cbranch_scc0 .LBB233_10
; %bb.5:
	v_mov_b32_e32 v12, 0
	v_mov_b32_e32 v18, 0
	;; [unrolled: 1-line block ×8, first 2 shown]
	s_and_saveexec_b64 s[6:7], s[0:1]
	s_cbranch_execz .LBB233_9
; %bb.6:
	v_mul_lo_u32 v20, v10, 6
	v_mov_b32_e32 v12, 0
	v_mov_b32_e32 v18, 0
	;; [unrolled: 1-line block ×5, first 2 shown]
	s_mov_b64 s[8:9], 0
	v_mov_b32_e32 v11, s11
	v_mov_b32_e32 v21, 0
	;; [unrolled: 1-line block ×8, first 2 shown]
.LBB233_7:                              ; =>This Inner Loop Header: Depth=1
	v_lshlrev_b64 v[27:28], 4, v[20:21]
	v_ashrrev_i32_e32 v23, 31, v22
	v_lshlrev_b64 v[33:34], 2, v[22:23]
	v_add_co_u32_e32 v39, vcc, s12, v27
	v_add_u32_e32 v29, 2, v20
	v_mov_b32_e32 v30, v21
	v_addc_co_u32_e32 v40, vcc, v25, v28, vcc
	v_lshlrev_b64 v[35:36], 4, v[29:30]
	v_add_co_u32_e32 v45, vcc, s10, v33
	v_add_u32_e32 v31, 4, v20
	v_mov_b32_e32 v32, v21
	v_addc_co_u32_e32 v46, vcc, v11, v34, vcc
	v_lshlrev_b64 v[37:38], 4, v[31:32]
	v_add_co_u32_e32 v50, vcc, s12, v35
	v_addc_co_u32_e32 v51, vcc, v25, v36, vcc
	v_add_co_u32_e32 v52, vcc, s12, v37
	global_load_dwordx4 v[27:30], v[39:40], off
	global_load_dwordx4 v[31:34], v[39:40], off offset:16
	v_addc_co_u32_e32 v53, vcc, v25, v38, vcc
	global_load_dword v23, v[45:46], off
	global_load_dwordx4 v[35:38], v[50:51], off
	global_load_dwordx4 v[39:42], v[50:51], off offset:16
	v_mov_b32_e32 v48, v21
	v_mov_b32_e32 v44, v21
	v_mov_b32_e32 v49, v21
	v_add_u32_e32 v22, 4, v22
	v_add_u32_e32 v20, 24, v20
	s_waitcnt vmcnt(2)
	v_subrev_u32_e32 v23, s2, v23
	v_lshl_add_u32 v47, v23, 1, v23
	v_lshlrev_b64 v[45:46], 4, v[47:48]
	v_add_u32_e32 v43, 1, v47
	v_lshlrev_b64 v[43:44], 4, v[43:44]
	v_add_co_u32_e32 v45, vcc, s14, v45
	v_addc_co_u32_e32 v46, vcc, v26, v46, vcc
	v_add_co_u32_e32 v50, vcc, s14, v43
	v_addc_co_u32_e32 v51, vcc, v26, v44, vcc
	global_load_dwordx4 v[43:46], v[45:46], off
	v_add_u32_e32 v48, 2, v47
	s_waitcnt vmcnt(0)
	v_fma_f64 v[18:19], v[27:28], v[43:44], v[18:19]
	v_fma_f64 v[12:13], v[29:30], v[43:44], v[12:13]
	;; [unrolled: 1-line block ×4, first 2 shown]
	v_lshlrev_b64 v[43:44], 4, v[48:49]
	v_add_co_u32_e32 v43, vcc, s14, v43
	v_fma_f64 v[18:19], -v[29:30], v[45:46], v[18:19]
	v_fma_f64 v[12:13], v[27:28], v[45:46], v[12:13]
	global_load_dwordx4 v[27:30], v[50:51], off
	v_addc_co_u32_e32 v44, vcc, v26, v44, vcc
	v_fma_f64 v[50:51], -v[33:34], v[45:46], v[16:17]
	v_fma_f64 v[54:55], v[31:32], v[45:46], v[14:15]
	global_load_dwordx4 v[14:17], v[52:53], off offset:16
	global_load_dwordx4 v[31:34], v[52:53], off
	v_cmp_ge_i32_e32 vcc, v22, v24
	global_load_dwordx4 v[43:46], v[43:44], off
	s_or_b64 s[8:9], vcc, s[8:9]
	s_waitcnt vmcnt(3)
	v_fma_f64 v[18:19], v[35:36], v[27:28], v[18:19]
	v_fma_f64 v[12:13], v[37:38], v[27:28], v[12:13]
	;; [unrolled: 1-line block ×4, first 2 shown]
	v_fma_f64 v[18:19], -v[37:38], v[29:30], v[18:19]
	v_fma_f64 v[12:13], v[35:36], v[29:30], v[12:13]
	v_fma_f64 v[35:36], -v[41:42], v[29:30], v[47:48]
	v_fma_f64 v[27:28], v[39:40], v[29:30], v[27:28]
	s_waitcnt vmcnt(0)
	v_fma_f64 v[18:19], v[31:32], v[43:44], v[18:19]
	v_fma_f64 v[12:13], v[33:34], v[43:44], v[12:13]
	;; [unrolled: 1-line block ×4, first 2 shown]
	v_fma_f64 v[18:19], -v[33:34], v[45:46], v[18:19]
	v_fma_f64 v[12:13], v[31:32], v[45:46], v[12:13]
	v_fma_f64 v[16:17], -v[16:17], v[45:46], v[29:30]
	v_fma_f64 v[14:15], v[14:15], v[45:46], v[27:28]
	s_andn2_b64 exec, exec, s[8:9]
	s_cbranch_execnz .LBB233_7
; %bb.8:
	s_or_b64 exec, exec, s[8:9]
.LBB233_9:
	s_or_b64 exec, exec, s[6:7]
	s_cbranch_execz .LBB233_11
	s_branch .LBB233_16
.LBB233_10:
                                        ; implicit-def: $vgpr12_vgpr13
                                        ; implicit-def: $vgpr18_vgpr19
                                        ; implicit-def: $vgpr16_vgpr17
                                        ; implicit-def: $vgpr14_vgpr15
.LBB233_11:
	v_mov_b32_e32 v12, 0
	v_mov_b32_e32 v18, 0
	;; [unrolled: 1-line block ×8, first 2 shown]
	s_and_saveexec_b64 s[6:7], s[0:1]
	s_cbranch_execz .LBB233_15
; %bb.12:
	v_mad_u64_u32 v[20:21], s[0:1], v10, 6, 5
	v_mov_b32_e32 v12, 0
	v_mov_b32_e32 v18, 0
	;; [unrolled: 1-line block ×5, first 2 shown]
	s_mov_b64 s[0:1], 0
	v_mov_b32_e32 v25, s11
	v_mov_b32_e32 v23, 0
	;; [unrolled: 1-line block ×7, first 2 shown]
.LBB233_13:                             ; =>This Inner Loop Header: Depth=1
	v_ashrrev_i32_e32 v11, 31, v10
	v_lshlrev_b64 v[30:31], 2, v[10:11]
	v_add_u32_e32 v22, -5, v20
	v_lshlrev_b64 v[32:33], 4, v[22:23]
	v_add_co_u32_e32 v36, vcc, s10, v30
	v_add_u32_e32 v28, -2, v20
	v_mov_b32_e32 v29, v23
	v_addc_co_u32_e32 v37, vcc, v25, v31, vcc
	v_lshlrev_b64 v[28:29], 4, v[28:29]
	v_add_co_u32_e32 v38, vcc, s12, v32
	v_addc_co_u32_e32 v39, vcc, v26, v33, vcc
	v_add_co_u32_e32 v46, vcc, s12, v28
	v_addc_co_u32_e32 v47, vcc, v26, v29, vcc
	global_load_dword v11, v[36:37], off
	global_load_dwordx4 v[28:31], v[38:39], off
	global_load_dwordx4 v[32:35], v[38:39], off offset:16
	v_mov_b32_e32 v21, v23
	v_lshlrev_b64 v[21:22], 4, v[20:21]
	v_mov_b32_e32 v45, v23
	v_add_co_u32_e32 v21, vcc, s12, v21
	v_addc_co_u32_e32 v22, vcc, v26, v22, vcc
	v_add_u32_e32 v10, 4, v10
	s_waitcnt vmcnt(2)
	v_subrev_u32_e32 v11, s2, v11
	v_lshl_add_u32 v44, v11, 1, v11
	v_lshlrev_b64 v[36:37], 4, v[44:45]
	v_add_co_u32_e32 v36, vcc, s14, v36
	v_addc_co_u32_e32 v37, vcc, v27, v37, vcc
	global_load_dwordx4 v[36:39], v[36:37], off
	s_waitcnt vmcnt(0)
	v_fma_f64 v[18:19], v[28:29], v[36:37], v[18:19]
	v_fma_f64 v[11:12], v[30:31], v[36:37], v[12:13]
	v_fma_f64 v[18:19], -v[30:31], v[38:39], v[18:19]
	v_fma_f64 v[48:49], v[28:29], v[38:39], v[11:12]
	global_load_dwordx4 v[28:31], v[46:47], off
	global_load_dwordx4 v[40:43], v[21:22], off
	v_add_u32_e32 v22, 1, v44
	s_waitcnt vmcnt(1)
	v_fma_f64 v[11:12], v[28:29], v[36:37], v[16:17]
	v_fma_f64 v[13:14], v[30:31], v[36:37], v[14:15]
	v_fma_f64 v[36:37], -v[30:31], v[38:39], v[11:12]
	v_lshlrev_b64 v[11:12], 4, v[22:23]
	v_fma_f64 v[38:39], v[28:29], v[38:39], v[13:14]
	v_add_co_u32_e32 v11, vcc, s14, v11
	v_addc_co_u32_e32 v12, vcc, v27, v12, vcc
	global_load_dwordx4 v[11:14], v[11:12], off
	v_add_u32_e32 v22, -1, v20
	v_lshlrev_b64 v[15:16], 4, v[22:23]
	v_add_u32_e32 v22, -3, v20
	v_add_co_u32_e32 v15, vcc, s12, v15
	v_addc_co_u32_e32 v16, vcc, v26, v16, vcc
	v_lshlrev_b64 v[28:29], 4, v[22:23]
	v_add_u32_e32 v22, 2, v44
	v_add_co_u32_e32 v28, vcc, s12, v28
	v_addc_co_u32_e32 v29, vcc, v26, v29, vcc
	v_lshlrev_b64 v[21:22], 4, v[22:23]
	v_add_u32_e32 v20, 24, v20
	v_add_co_u32_e32 v21, vcc, s14, v21
	v_addc_co_u32_e32 v22, vcc, v27, v22, vcc
	v_cmp_ge_i32_e32 vcc, v10, v24
	s_or_b64 s[0:1], vcc, s[0:1]
	s_waitcnt vmcnt(0)
	v_fma_f64 v[17:18], v[32:33], v[11:12], v[18:19]
	v_fma_f64 v[30:31], v[34:35], v[11:12], v[48:49]
	v_fma_f64 v[34:35], -v[34:35], v[13:14], v[17:18]
	global_load_dwordx4 v[15:18], v[15:16], off
	v_fma_f64 v[32:33], v[32:33], v[13:14], v[30:31]
	global_load_dwordx4 v[28:31], v[28:29], off
	s_waitcnt vmcnt(1)
	v_fma_f64 v[36:37], v[15:16], v[11:12], v[36:37]
	v_fma_f64 v[11:12], v[17:18], v[11:12], v[38:39]
	v_fma_f64 v[17:18], -v[17:18], v[13:14], v[36:37]
	v_fma_f64 v[36:37], v[15:16], v[13:14], v[11:12]
	global_load_dwordx4 v[12:15], v[21:22], off
	s_waitcnt vmcnt(0)
	v_fma_f64 v[21:22], v[28:29], v[12:13], v[34:35]
	v_fma_f64 v[32:33], v[30:31], v[12:13], v[32:33]
	;; [unrolled: 1-line block ×4, first 2 shown]
	v_fma_f64 v[18:19], -v[30:31], v[14:15], v[21:22]
	v_fma_f64 v[12:13], v[28:29], v[14:15], v[32:33]
	v_fma_f64 v[16:17], -v[42:43], v[14:15], v[16:17]
	v_fma_f64 v[14:15], v[40:41], v[14:15], v[34:35]
	s_andn2_b64 exec, exec, s[0:1]
	s_cbranch_execnz .LBB233_13
; %bb.14:
	s_or_b64 exec, exec, s[0:1]
.LBB233_15:
	s_or_b64 exec, exec, s[6:7]
.LBB233_16:
	v_mov_b32_dpp v10, v18 row_shr:1 row_mask:0xf bank_mask:0xf
	v_mov_b32_dpp v11, v19 row_shr:1 row_mask:0xf bank_mask:0xf
	v_add_f64 v[10:11], v[18:19], v[10:11]
	v_mov_b32_dpp v18, v12 row_shr:1 row_mask:0xf bank_mask:0xf
	v_mov_b32_dpp v19, v13 row_shr:1 row_mask:0xf bank_mask:0xf
	v_add_f64 v[12:13], v[12:13], v[18:19]
	v_mov_b32_dpp v18, v16 row_shr:1 row_mask:0xf bank_mask:0xf
	v_mov_b32_dpp v19, v17 row_shr:1 row_mask:0xf bank_mask:0xf
	v_add_f64 v[18:19], v[16:17], v[18:19]
	v_mov_b32_dpp v16, v14 row_shr:1 row_mask:0xf bank_mask:0xf
	v_mov_b32_dpp v17, v15 row_shr:1 row_mask:0xf bank_mask:0xf
	v_add_f64 v[14:15], v[14:15], v[16:17]
	v_mov_b32_dpp v24, v10 row_shr:2 row_mask:0xf bank_mask:0xf
	v_mov_b32_dpp v25, v11 row_shr:2 row_mask:0xf bank_mask:0xf
	;; [unrolled: 1-line block ×6, first 2 shown]
	v_cmp_eq_u32_e32 vcc, 3, v0
	v_mov_b32_dpp v20, v14 row_shr:2 row_mask:0xf bank_mask:0xf
	v_mov_b32_dpp v21, v15 row_shr:2 row_mask:0xf bank_mask:0xf
	s_and_b64 exec, exec, vcc
	s_cbranch_execz .LBB233_21
; %bb.17:
	v_cmp_eq_f64_e32 vcc, 0, v[5:6]
	v_cmp_eq_f64_e64 s[0:1], 0, v[7:8]
	v_add_f64 v[10:11], v[10:11], v[24:25]
	v_add_f64 v[16:17], v[12:13], v[16:17]
	;; [unrolled: 1-line block ×4, first 2 shown]
	s_load_dwordx2 s[2:3], s[4:5], 0x48
	s_and_b64 s[0:1], vcc, s[0:1]
	s_and_saveexec_b64 s[4:5], s[0:1]
	s_xor_b64 s[0:1], exec, s[4:5]
	s_cbranch_execz .LBB233_19
; %bb.18:
	v_mul_f64 v[5:6], v[16:17], -v[3:4]
	v_mul_f64 v[7:8], v[1:2], v[16:17]
	v_mul_f64 v[16:17], v[14:15], -v[3:4]
	v_mul_f64 v[14:15], v[1:2], v[14:15]
	v_lshlrev_b32_e32 v9, 1, v9
	s_waitcnt lgkmcnt(0)
	v_mov_b32_e32 v18, s3
	v_fma_f64 v[5:6], v[1:2], v[10:11], v[5:6]
	v_fma_f64 v[7:8], v[3:4], v[10:11], v[7:8]
	;; [unrolled: 1-line block ×4, first 2 shown]
	v_ashrrev_i32_e32 v10, 31, v9
	v_lshlrev_b64 v[9:10], 4, v[9:10]
                                        ; implicit-def: $vgpr16_vgpr17
                                        ; implicit-def: $vgpr12_vgpr13
                                        ; implicit-def: $vgpr14_vgpr15
	v_add_co_u32_e32 v9, vcc, s2, v9
	v_addc_co_u32_e32 v10, vcc, v18, v10, vcc
	global_store_dwordx4 v[9:10], v[5:8], off
	global_store_dwordx4 v[9:10], v[0:3], off offset:16
                                        ; implicit-def: $vgpr9
                                        ; implicit-def: $vgpr10_vgpr11
                                        ; implicit-def: $vgpr7_vgpr8
                                        ; implicit-def: $vgpr3_vgpr4
.LBB233_19:
	s_andn2_saveexec_b64 s[0:1], s[0:1]
	s_cbranch_execz .LBB233_21
; %bb.20:
	v_lshlrev_b32_e32 v18, 1, v9
	v_ashrrev_i32_e32 v19, 31, v18
	v_lshlrev_b64 v[18:19], 4, v[18:19]
	s_waitcnt lgkmcnt(0)
	v_mov_b32_e32 v0, s3
	v_add_co_u32_e32 v26, vcc, s2, v18
	v_addc_co_u32_e32 v27, vcc, v0, v19, vcc
	global_load_dwordx4 v[18:21], v[26:27], off
	global_load_dwordx4 v[22:25], v[26:27], off offset:16
	v_mul_f64 v[28:29], v[16:17], -v[3:4]
	v_mul_f64 v[16:17], v[1:2], v[16:17]
	v_mul_f64 v[30:31], v[14:15], -v[3:4]
	v_mul_f64 v[14:15], v[1:2], v[14:15]
	v_fma_f64 v[28:29], v[1:2], v[10:11], v[28:29]
	v_fma_f64 v[9:10], v[3:4], v[10:11], v[16:17]
	;; [unrolled: 1-line block ×4, first 2 shown]
	s_waitcnt vmcnt(1)
	v_fma_f64 v[11:12], v[5:6], v[18:19], v[28:29]
	v_fma_f64 v[9:10], v[7:8], v[18:19], v[9:10]
	s_waitcnt vmcnt(0)
	v_fma_f64 v[13:14], v[5:6], v[22:23], v[0:1]
	v_fma_f64 v[15:16], v[7:8], v[22:23], v[2:3]
	v_fma_f64 v[0:1], -v[7:8], v[20:21], v[11:12]
	v_fma_f64 v[2:3], v[5:6], v[20:21], v[9:10]
	v_fma_f64 v[7:8], -v[7:8], v[24:25], v[13:14]
	v_fma_f64 v[9:10], v[5:6], v[24:25], v[15:16]
	global_store_dwordx4 v[26:27], v[0:3], off
	global_store_dwordx4 v[26:27], v[7:10], off offset:16
.LBB233_21:
	s_endpgm
	.section	.rodata,"a",@progbits
	.p2align	6, 0x0
	.amdhsa_kernel _ZN9rocsparseL19gebsrmvn_2xn_kernelILj128ELj3ELj4E21rocsparse_complex_numIdEEEvi20rocsparse_direction_NS_24const_host_device_scalarIT2_EEPKiS8_PKS5_SA_S6_PS5_21rocsparse_index_base_b
		.amdhsa_group_segment_fixed_size 0
		.amdhsa_private_segment_fixed_size 0
		.amdhsa_kernarg_size 88
		.amdhsa_user_sgpr_count 6
		.amdhsa_user_sgpr_private_segment_buffer 1
		.amdhsa_user_sgpr_dispatch_ptr 0
		.amdhsa_user_sgpr_queue_ptr 0
		.amdhsa_user_sgpr_kernarg_segment_ptr 1
		.amdhsa_user_sgpr_dispatch_id 0
		.amdhsa_user_sgpr_flat_scratch_init 0
		.amdhsa_user_sgpr_private_segment_size 0
		.amdhsa_uses_dynamic_stack 0
		.amdhsa_system_sgpr_private_segment_wavefront_offset 0
		.amdhsa_system_sgpr_workgroup_id_x 1
		.amdhsa_system_sgpr_workgroup_id_y 0
		.amdhsa_system_sgpr_workgroup_id_z 0
		.amdhsa_system_sgpr_workgroup_info 0
		.amdhsa_system_vgpr_workitem_id 0
		.amdhsa_next_free_vgpr 56
		.amdhsa_next_free_sgpr 16
		.amdhsa_reserve_vcc 1
		.amdhsa_reserve_flat_scratch 0
		.amdhsa_float_round_mode_32 0
		.amdhsa_float_round_mode_16_64 0
		.amdhsa_float_denorm_mode_32 3
		.amdhsa_float_denorm_mode_16_64 3
		.amdhsa_dx10_clamp 1
		.amdhsa_ieee_mode 1
		.amdhsa_fp16_overflow 0
		.amdhsa_exception_fp_ieee_invalid_op 0
		.amdhsa_exception_fp_denorm_src 0
		.amdhsa_exception_fp_ieee_div_zero 0
		.amdhsa_exception_fp_ieee_overflow 0
		.amdhsa_exception_fp_ieee_underflow 0
		.amdhsa_exception_fp_ieee_inexact 0
		.amdhsa_exception_int_div_zero 0
	.end_amdhsa_kernel
	.section	.text._ZN9rocsparseL19gebsrmvn_2xn_kernelILj128ELj3ELj4E21rocsparse_complex_numIdEEEvi20rocsparse_direction_NS_24const_host_device_scalarIT2_EEPKiS8_PKS5_SA_S6_PS5_21rocsparse_index_base_b,"axG",@progbits,_ZN9rocsparseL19gebsrmvn_2xn_kernelILj128ELj3ELj4E21rocsparse_complex_numIdEEEvi20rocsparse_direction_NS_24const_host_device_scalarIT2_EEPKiS8_PKS5_SA_S6_PS5_21rocsparse_index_base_b,comdat
.Lfunc_end233:
	.size	_ZN9rocsparseL19gebsrmvn_2xn_kernelILj128ELj3ELj4E21rocsparse_complex_numIdEEEvi20rocsparse_direction_NS_24const_host_device_scalarIT2_EEPKiS8_PKS5_SA_S6_PS5_21rocsparse_index_base_b, .Lfunc_end233-_ZN9rocsparseL19gebsrmvn_2xn_kernelILj128ELj3ELj4E21rocsparse_complex_numIdEEEvi20rocsparse_direction_NS_24const_host_device_scalarIT2_EEPKiS8_PKS5_SA_S6_PS5_21rocsparse_index_base_b
                                        ; -- End function
	.set _ZN9rocsparseL19gebsrmvn_2xn_kernelILj128ELj3ELj4E21rocsparse_complex_numIdEEEvi20rocsparse_direction_NS_24const_host_device_scalarIT2_EEPKiS8_PKS5_SA_S6_PS5_21rocsparse_index_base_b.num_vgpr, 56
	.set _ZN9rocsparseL19gebsrmvn_2xn_kernelILj128ELj3ELj4E21rocsparse_complex_numIdEEEvi20rocsparse_direction_NS_24const_host_device_scalarIT2_EEPKiS8_PKS5_SA_S6_PS5_21rocsparse_index_base_b.num_agpr, 0
	.set _ZN9rocsparseL19gebsrmvn_2xn_kernelILj128ELj3ELj4E21rocsparse_complex_numIdEEEvi20rocsparse_direction_NS_24const_host_device_scalarIT2_EEPKiS8_PKS5_SA_S6_PS5_21rocsparse_index_base_b.numbered_sgpr, 16
	.set _ZN9rocsparseL19gebsrmvn_2xn_kernelILj128ELj3ELj4E21rocsparse_complex_numIdEEEvi20rocsparse_direction_NS_24const_host_device_scalarIT2_EEPKiS8_PKS5_SA_S6_PS5_21rocsparse_index_base_b.num_named_barrier, 0
	.set _ZN9rocsparseL19gebsrmvn_2xn_kernelILj128ELj3ELj4E21rocsparse_complex_numIdEEEvi20rocsparse_direction_NS_24const_host_device_scalarIT2_EEPKiS8_PKS5_SA_S6_PS5_21rocsparse_index_base_b.private_seg_size, 0
	.set _ZN9rocsparseL19gebsrmvn_2xn_kernelILj128ELj3ELj4E21rocsparse_complex_numIdEEEvi20rocsparse_direction_NS_24const_host_device_scalarIT2_EEPKiS8_PKS5_SA_S6_PS5_21rocsparse_index_base_b.uses_vcc, 1
	.set _ZN9rocsparseL19gebsrmvn_2xn_kernelILj128ELj3ELj4E21rocsparse_complex_numIdEEEvi20rocsparse_direction_NS_24const_host_device_scalarIT2_EEPKiS8_PKS5_SA_S6_PS5_21rocsparse_index_base_b.uses_flat_scratch, 0
	.set _ZN9rocsparseL19gebsrmvn_2xn_kernelILj128ELj3ELj4E21rocsparse_complex_numIdEEEvi20rocsparse_direction_NS_24const_host_device_scalarIT2_EEPKiS8_PKS5_SA_S6_PS5_21rocsparse_index_base_b.has_dyn_sized_stack, 0
	.set _ZN9rocsparseL19gebsrmvn_2xn_kernelILj128ELj3ELj4E21rocsparse_complex_numIdEEEvi20rocsparse_direction_NS_24const_host_device_scalarIT2_EEPKiS8_PKS5_SA_S6_PS5_21rocsparse_index_base_b.has_recursion, 0
	.set _ZN9rocsparseL19gebsrmvn_2xn_kernelILj128ELj3ELj4E21rocsparse_complex_numIdEEEvi20rocsparse_direction_NS_24const_host_device_scalarIT2_EEPKiS8_PKS5_SA_S6_PS5_21rocsparse_index_base_b.has_indirect_call, 0
	.section	.AMDGPU.csdata,"",@progbits
; Kernel info:
; codeLenInByte = 2060
; TotalNumSgprs: 20
; NumVgprs: 56
; ScratchSize: 0
; MemoryBound: 0
; FloatMode: 240
; IeeeMode: 1
; LDSByteSize: 0 bytes/workgroup (compile time only)
; SGPRBlocks: 2
; VGPRBlocks: 13
; NumSGPRsForWavesPerEU: 20
; NumVGPRsForWavesPerEU: 56
; Occupancy: 4
; WaveLimiterHint : 1
; COMPUTE_PGM_RSRC2:SCRATCH_EN: 0
; COMPUTE_PGM_RSRC2:USER_SGPR: 6
; COMPUTE_PGM_RSRC2:TRAP_HANDLER: 0
; COMPUTE_PGM_RSRC2:TGID_X_EN: 1
; COMPUTE_PGM_RSRC2:TGID_Y_EN: 0
; COMPUTE_PGM_RSRC2:TGID_Z_EN: 0
; COMPUTE_PGM_RSRC2:TIDIG_COMP_CNT: 0
	.section	.text._ZN9rocsparseL19gebsrmvn_2xn_kernelILj128ELj3ELj8E21rocsparse_complex_numIdEEEvi20rocsparse_direction_NS_24const_host_device_scalarIT2_EEPKiS8_PKS5_SA_S6_PS5_21rocsparse_index_base_b,"axG",@progbits,_ZN9rocsparseL19gebsrmvn_2xn_kernelILj128ELj3ELj8E21rocsparse_complex_numIdEEEvi20rocsparse_direction_NS_24const_host_device_scalarIT2_EEPKiS8_PKS5_SA_S6_PS5_21rocsparse_index_base_b,comdat
	.globl	_ZN9rocsparseL19gebsrmvn_2xn_kernelILj128ELj3ELj8E21rocsparse_complex_numIdEEEvi20rocsparse_direction_NS_24const_host_device_scalarIT2_EEPKiS8_PKS5_SA_S6_PS5_21rocsparse_index_base_b ; -- Begin function _ZN9rocsparseL19gebsrmvn_2xn_kernelILj128ELj3ELj8E21rocsparse_complex_numIdEEEvi20rocsparse_direction_NS_24const_host_device_scalarIT2_EEPKiS8_PKS5_SA_S6_PS5_21rocsparse_index_base_b
	.p2align	8
	.type	_ZN9rocsparseL19gebsrmvn_2xn_kernelILj128ELj3ELj8E21rocsparse_complex_numIdEEEvi20rocsparse_direction_NS_24const_host_device_scalarIT2_EEPKiS8_PKS5_SA_S6_PS5_21rocsparse_index_base_b,@function
_ZN9rocsparseL19gebsrmvn_2xn_kernelILj128ELj3ELj8E21rocsparse_complex_numIdEEEvi20rocsparse_direction_NS_24const_host_device_scalarIT2_EEPKiS8_PKS5_SA_S6_PS5_21rocsparse_index_base_b: ; @_ZN9rocsparseL19gebsrmvn_2xn_kernelILj128ELj3ELj8E21rocsparse_complex_numIdEEEvi20rocsparse_direction_NS_24const_host_device_scalarIT2_EEPKiS8_PKS5_SA_S6_PS5_21rocsparse_index_base_b
; %bb.0:
	s_load_dwordx2 s[0:1], s[4:5], 0x8
	s_load_dwordx2 s[8:9], s[4:5], 0x38
	;; [unrolled: 1-line block ×3, first 2 shown]
	s_add_u32 s7, s4, 8
	s_addc_u32 s10, s5, 0
	s_add_u32 s11, s4, 56
	s_addc_u32 s12, s5, 0
	s_waitcnt lgkmcnt(0)
	s_bitcmp1_b32 s3, 0
	s_cselect_b32 s1, s10, s1
	s_cselect_b32 s0, s7, s0
	v_mov_b32_e32 v1, s0
	v_mov_b32_e32 v2, s1
	flat_load_dwordx4 v[1:4], v[1:2]
	s_cselect_b32 s0, s12, s9
	s_cselect_b32 s1, s11, s8
	v_mov_b32_e32 v5, s1
	v_mov_b32_e32 v6, s0
	flat_load_dwordx4 v[5:8], v[5:6]
	s_waitcnt vmcnt(0) lgkmcnt(0)
	v_cmp_eq_f64_e32 vcc, 0, v[1:2]
	v_cmp_eq_f64_e64 s[0:1], 0, v[3:4]
	s_and_b64 s[10:11], vcc, s[0:1]
	s_mov_b64 s[0:1], -1
	s_and_saveexec_b64 s[8:9], s[10:11]
	s_cbranch_execz .LBB234_2
; %bb.1:
	v_cmp_neq_f64_e32 vcc, 1.0, v[5:6]
	v_cmp_neq_f64_e64 s[0:1], 0, v[7:8]
	s_or_b64 s[0:1], vcc, s[0:1]
	s_orn2_b64 s[0:1], s[0:1], exec
.LBB234_2:
	s_or_b64 exec, exec, s[8:9]
	s_and_saveexec_b64 s[8:9], s[0:1]
	s_cbranch_execz .LBB234_21
; %bb.3:
	s_load_dwordx2 s[0:1], s[4:5], 0x0
	v_lshrrev_b32_e32 v9, 3, v0
	v_lshl_or_b32 v9, s6, 4, v9
	s_waitcnt lgkmcnt(0)
	v_cmp_gt_i32_e32 vcc, s0, v9
	s_and_b64 exec, exec, vcc
	s_cbranch_execz .LBB234_21
; %bb.4:
	s_load_dwordx8 s[8:15], s[4:5], 0x18
	v_ashrrev_i32_e32 v10, 31, v9
	v_lshlrev_b64 v[10:11], 2, v[9:10]
	v_and_b32_e32 v0, 7, v0
	s_cmp_lg_u32 s1, 0
	s_waitcnt lgkmcnt(0)
	v_mov_b32_e32 v12, s9
	v_add_co_u32_e32 v10, vcc, s8, v10
	v_addc_co_u32_e32 v11, vcc, v12, v11, vcc
	global_load_dwordx2 v[10:11], v[10:11], off
	s_waitcnt vmcnt(0)
	v_subrev_u32_e32 v10, s2, v10
	v_subrev_u32_e32 v24, s2, v11
	v_add_u32_e32 v10, v10, v0
	v_cmp_lt_i32_e64 s[0:1], v10, v24
	s_cbranch_scc0 .LBB234_10
; %bb.5:
	v_mov_b32_e32 v12, 0
	v_mov_b32_e32 v18, 0
	;; [unrolled: 1-line block ×8, first 2 shown]
	s_and_saveexec_b64 s[6:7], s[0:1]
	s_cbranch_execz .LBB234_9
; %bb.6:
	v_mul_lo_u32 v20, v10, 6
	v_mov_b32_e32 v12, 0
	v_mov_b32_e32 v18, 0
	;; [unrolled: 1-line block ×5, first 2 shown]
	s_mov_b64 s[8:9], 0
	v_mov_b32_e32 v11, s11
	v_mov_b32_e32 v21, 0
	;; [unrolled: 1-line block ×8, first 2 shown]
.LBB234_7:                              ; =>This Inner Loop Header: Depth=1
	v_lshlrev_b64 v[27:28], 4, v[20:21]
	v_ashrrev_i32_e32 v23, 31, v22
	v_lshlrev_b64 v[33:34], 2, v[22:23]
	v_add_co_u32_e32 v39, vcc, s12, v27
	v_add_u32_e32 v29, 2, v20
	v_mov_b32_e32 v30, v21
	v_addc_co_u32_e32 v40, vcc, v25, v28, vcc
	v_lshlrev_b64 v[35:36], 4, v[29:30]
	v_add_co_u32_e32 v45, vcc, s10, v33
	v_add_u32_e32 v31, 4, v20
	v_mov_b32_e32 v32, v21
	v_addc_co_u32_e32 v46, vcc, v11, v34, vcc
	v_lshlrev_b64 v[37:38], 4, v[31:32]
	v_add_co_u32_e32 v50, vcc, s12, v35
	v_addc_co_u32_e32 v51, vcc, v25, v36, vcc
	v_add_co_u32_e32 v52, vcc, s12, v37
	global_load_dwordx4 v[27:30], v[39:40], off
	global_load_dwordx4 v[31:34], v[39:40], off offset:16
	v_addc_co_u32_e32 v53, vcc, v25, v38, vcc
	global_load_dword v23, v[45:46], off
	global_load_dwordx4 v[35:38], v[50:51], off
	global_load_dwordx4 v[39:42], v[50:51], off offset:16
	v_mov_b32_e32 v48, v21
	v_mov_b32_e32 v44, v21
	;; [unrolled: 1-line block ×3, first 2 shown]
	v_add_u32_e32 v22, 8, v22
	v_add_u32_e32 v20, 48, v20
	s_waitcnt vmcnt(2)
	v_subrev_u32_e32 v23, s2, v23
	v_lshl_add_u32 v47, v23, 1, v23
	v_lshlrev_b64 v[45:46], 4, v[47:48]
	v_add_u32_e32 v43, 1, v47
	v_lshlrev_b64 v[43:44], 4, v[43:44]
	v_add_co_u32_e32 v45, vcc, s14, v45
	v_addc_co_u32_e32 v46, vcc, v26, v46, vcc
	v_add_co_u32_e32 v50, vcc, s14, v43
	v_addc_co_u32_e32 v51, vcc, v26, v44, vcc
	global_load_dwordx4 v[43:46], v[45:46], off
	v_add_u32_e32 v48, 2, v47
	s_waitcnt vmcnt(0)
	v_fma_f64 v[18:19], v[27:28], v[43:44], v[18:19]
	v_fma_f64 v[12:13], v[29:30], v[43:44], v[12:13]
	;; [unrolled: 1-line block ×4, first 2 shown]
	v_lshlrev_b64 v[43:44], 4, v[48:49]
	v_add_co_u32_e32 v43, vcc, s14, v43
	v_fma_f64 v[18:19], -v[29:30], v[45:46], v[18:19]
	v_fma_f64 v[12:13], v[27:28], v[45:46], v[12:13]
	global_load_dwordx4 v[27:30], v[50:51], off
	v_addc_co_u32_e32 v44, vcc, v26, v44, vcc
	v_fma_f64 v[50:51], -v[33:34], v[45:46], v[16:17]
	v_fma_f64 v[54:55], v[31:32], v[45:46], v[14:15]
	global_load_dwordx4 v[14:17], v[52:53], off offset:16
	global_load_dwordx4 v[31:34], v[52:53], off
	v_cmp_ge_i32_e32 vcc, v22, v24
	global_load_dwordx4 v[43:46], v[43:44], off
	s_or_b64 s[8:9], vcc, s[8:9]
	s_waitcnt vmcnt(3)
	v_fma_f64 v[18:19], v[35:36], v[27:28], v[18:19]
	v_fma_f64 v[12:13], v[37:38], v[27:28], v[12:13]
	;; [unrolled: 1-line block ×4, first 2 shown]
	v_fma_f64 v[18:19], -v[37:38], v[29:30], v[18:19]
	v_fma_f64 v[12:13], v[35:36], v[29:30], v[12:13]
	v_fma_f64 v[35:36], -v[41:42], v[29:30], v[47:48]
	v_fma_f64 v[27:28], v[39:40], v[29:30], v[27:28]
	s_waitcnt vmcnt(0)
	v_fma_f64 v[18:19], v[31:32], v[43:44], v[18:19]
	v_fma_f64 v[12:13], v[33:34], v[43:44], v[12:13]
	;; [unrolled: 1-line block ×4, first 2 shown]
	v_fma_f64 v[18:19], -v[33:34], v[45:46], v[18:19]
	v_fma_f64 v[12:13], v[31:32], v[45:46], v[12:13]
	v_fma_f64 v[16:17], -v[16:17], v[45:46], v[29:30]
	v_fma_f64 v[14:15], v[14:15], v[45:46], v[27:28]
	s_andn2_b64 exec, exec, s[8:9]
	s_cbranch_execnz .LBB234_7
; %bb.8:
	s_or_b64 exec, exec, s[8:9]
.LBB234_9:
	s_or_b64 exec, exec, s[6:7]
	s_cbranch_execz .LBB234_11
	s_branch .LBB234_16
.LBB234_10:
                                        ; implicit-def: $vgpr12_vgpr13
                                        ; implicit-def: $vgpr18_vgpr19
                                        ; implicit-def: $vgpr16_vgpr17
                                        ; implicit-def: $vgpr14_vgpr15
.LBB234_11:
	v_mov_b32_e32 v12, 0
	v_mov_b32_e32 v18, 0
	;; [unrolled: 1-line block ×8, first 2 shown]
	s_and_saveexec_b64 s[6:7], s[0:1]
	s_cbranch_execz .LBB234_15
; %bb.12:
	v_mad_u64_u32 v[20:21], s[0:1], v10, 6, 5
	v_mov_b32_e32 v12, 0
	v_mov_b32_e32 v18, 0
	;; [unrolled: 1-line block ×5, first 2 shown]
	s_mov_b64 s[0:1], 0
	v_mov_b32_e32 v25, s11
	v_mov_b32_e32 v23, 0
	;; [unrolled: 1-line block ×7, first 2 shown]
.LBB234_13:                             ; =>This Inner Loop Header: Depth=1
	v_ashrrev_i32_e32 v11, 31, v10
	v_lshlrev_b64 v[30:31], 2, v[10:11]
	v_add_u32_e32 v22, -5, v20
	v_lshlrev_b64 v[32:33], 4, v[22:23]
	v_add_co_u32_e32 v36, vcc, s10, v30
	v_add_u32_e32 v28, -2, v20
	v_mov_b32_e32 v29, v23
	v_addc_co_u32_e32 v37, vcc, v25, v31, vcc
	v_lshlrev_b64 v[28:29], 4, v[28:29]
	v_add_co_u32_e32 v38, vcc, s12, v32
	v_addc_co_u32_e32 v39, vcc, v26, v33, vcc
	v_add_co_u32_e32 v46, vcc, s12, v28
	v_addc_co_u32_e32 v47, vcc, v26, v29, vcc
	global_load_dword v11, v[36:37], off
	global_load_dwordx4 v[28:31], v[38:39], off
	global_load_dwordx4 v[32:35], v[38:39], off offset:16
	v_mov_b32_e32 v21, v23
	v_lshlrev_b64 v[21:22], 4, v[20:21]
	v_mov_b32_e32 v45, v23
	v_add_co_u32_e32 v21, vcc, s12, v21
	v_addc_co_u32_e32 v22, vcc, v26, v22, vcc
	v_add_u32_e32 v10, 8, v10
	s_waitcnt vmcnt(2)
	v_subrev_u32_e32 v11, s2, v11
	v_lshl_add_u32 v44, v11, 1, v11
	v_lshlrev_b64 v[36:37], 4, v[44:45]
	v_add_co_u32_e32 v36, vcc, s14, v36
	v_addc_co_u32_e32 v37, vcc, v27, v37, vcc
	global_load_dwordx4 v[36:39], v[36:37], off
	s_waitcnt vmcnt(0)
	v_fma_f64 v[18:19], v[28:29], v[36:37], v[18:19]
	v_fma_f64 v[11:12], v[30:31], v[36:37], v[12:13]
	v_fma_f64 v[18:19], -v[30:31], v[38:39], v[18:19]
	v_fma_f64 v[48:49], v[28:29], v[38:39], v[11:12]
	global_load_dwordx4 v[28:31], v[46:47], off
	global_load_dwordx4 v[40:43], v[21:22], off
	v_add_u32_e32 v22, 1, v44
	s_waitcnt vmcnt(1)
	v_fma_f64 v[11:12], v[28:29], v[36:37], v[16:17]
	v_fma_f64 v[13:14], v[30:31], v[36:37], v[14:15]
	v_fma_f64 v[36:37], -v[30:31], v[38:39], v[11:12]
	v_lshlrev_b64 v[11:12], 4, v[22:23]
	v_fma_f64 v[38:39], v[28:29], v[38:39], v[13:14]
	v_add_co_u32_e32 v11, vcc, s14, v11
	v_addc_co_u32_e32 v12, vcc, v27, v12, vcc
	global_load_dwordx4 v[11:14], v[11:12], off
	v_add_u32_e32 v22, -1, v20
	v_lshlrev_b64 v[15:16], 4, v[22:23]
	v_add_u32_e32 v22, -3, v20
	v_add_co_u32_e32 v15, vcc, s12, v15
	v_addc_co_u32_e32 v16, vcc, v26, v16, vcc
	v_lshlrev_b64 v[28:29], 4, v[22:23]
	v_add_u32_e32 v22, 2, v44
	v_add_co_u32_e32 v28, vcc, s12, v28
	v_addc_co_u32_e32 v29, vcc, v26, v29, vcc
	v_lshlrev_b64 v[21:22], 4, v[22:23]
	v_add_u32_e32 v20, 48, v20
	v_add_co_u32_e32 v21, vcc, s14, v21
	v_addc_co_u32_e32 v22, vcc, v27, v22, vcc
	v_cmp_ge_i32_e32 vcc, v10, v24
	s_or_b64 s[0:1], vcc, s[0:1]
	s_waitcnt vmcnt(0)
	v_fma_f64 v[17:18], v[32:33], v[11:12], v[18:19]
	v_fma_f64 v[30:31], v[34:35], v[11:12], v[48:49]
	v_fma_f64 v[34:35], -v[34:35], v[13:14], v[17:18]
	global_load_dwordx4 v[15:18], v[15:16], off
	v_fma_f64 v[32:33], v[32:33], v[13:14], v[30:31]
	global_load_dwordx4 v[28:31], v[28:29], off
	s_waitcnt vmcnt(1)
	v_fma_f64 v[36:37], v[15:16], v[11:12], v[36:37]
	v_fma_f64 v[11:12], v[17:18], v[11:12], v[38:39]
	v_fma_f64 v[17:18], -v[17:18], v[13:14], v[36:37]
	v_fma_f64 v[36:37], v[15:16], v[13:14], v[11:12]
	global_load_dwordx4 v[12:15], v[21:22], off
	s_waitcnt vmcnt(0)
	v_fma_f64 v[21:22], v[28:29], v[12:13], v[34:35]
	v_fma_f64 v[32:33], v[30:31], v[12:13], v[32:33]
	;; [unrolled: 1-line block ×4, first 2 shown]
	v_fma_f64 v[18:19], -v[30:31], v[14:15], v[21:22]
	v_fma_f64 v[12:13], v[28:29], v[14:15], v[32:33]
	v_fma_f64 v[16:17], -v[42:43], v[14:15], v[16:17]
	v_fma_f64 v[14:15], v[40:41], v[14:15], v[34:35]
	s_andn2_b64 exec, exec, s[0:1]
	s_cbranch_execnz .LBB234_13
; %bb.14:
	s_or_b64 exec, exec, s[0:1]
.LBB234_15:
	s_or_b64 exec, exec, s[6:7]
.LBB234_16:
	v_mov_b32_dpp v10, v18 row_shr:1 row_mask:0xf bank_mask:0xf
	v_mov_b32_dpp v11, v19 row_shr:1 row_mask:0xf bank_mask:0xf
	v_add_f64 v[10:11], v[18:19], v[10:11]
	v_mov_b32_dpp v18, v12 row_shr:1 row_mask:0xf bank_mask:0xf
	v_mov_b32_dpp v19, v13 row_shr:1 row_mask:0xf bank_mask:0xf
	;; [unrolled: 1-line block ×4, first 2 shown]
	v_add_f64 v[12:13], v[12:13], v[18:19]
	v_add_f64 v[16:17], v[16:17], v[20:21]
	v_mov_b32_dpp v20, v14 row_shr:1 row_mask:0xf bank_mask:0xf
	v_mov_b32_dpp v21, v15 row_shr:1 row_mask:0xf bank_mask:0xf
	v_add_f64 v[14:15], v[14:15], v[20:21]
	v_mov_b32_dpp v18, v10 row_shr:2 row_mask:0xf bank_mask:0xf
	v_mov_b32_dpp v19, v11 row_shr:2 row_mask:0xf bank_mask:0xf
	;; [unrolled: 3-line block ×6, first 2 shown]
	v_mov_b32_dpp v16, v12 row_shr:4 row_mask:0xf bank_mask:0xe
	v_mov_b32_dpp v17, v13 row_shr:4 row_mask:0xf bank_mask:0xe
	;; [unrolled: 1-line block ×4, first 2 shown]
	v_cmp_eq_u32_e32 vcc, 7, v0
	v_mov_b32_dpp v20, v14 row_shr:4 row_mask:0xf bank_mask:0xe
	v_mov_b32_dpp v21, v15 row_shr:4 row_mask:0xf bank_mask:0xe
	s_and_b64 exec, exec, vcc
	s_cbranch_execz .LBB234_21
; %bb.17:
	v_cmp_eq_f64_e32 vcc, 0, v[5:6]
	v_cmp_eq_f64_e64 s[0:1], 0, v[7:8]
	v_add_f64 v[10:11], v[10:11], v[24:25]
	v_add_f64 v[16:17], v[12:13], v[16:17]
	;; [unrolled: 1-line block ×4, first 2 shown]
	s_load_dwordx2 s[2:3], s[4:5], 0x48
	s_and_b64 s[0:1], vcc, s[0:1]
	s_and_saveexec_b64 s[4:5], s[0:1]
	s_xor_b64 s[0:1], exec, s[4:5]
	s_cbranch_execz .LBB234_19
; %bb.18:
	v_mul_f64 v[5:6], v[16:17], -v[3:4]
	v_mul_f64 v[7:8], v[1:2], v[16:17]
	v_mul_f64 v[16:17], v[14:15], -v[3:4]
	v_mul_f64 v[14:15], v[1:2], v[14:15]
	v_lshlrev_b32_e32 v9, 1, v9
	s_waitcnt lgkmcnt(0)
	v_mov_b32_e32 v18, s3
	v_fma_f64 v[5:6], v[1:2], v[10:11], v[5:6]
	v_fma_f64 v[7:8], v[3:4], v[10:11], v[7:8]
	;; [unrolled: 1-line block ×4, first 2 shown]
	v_ashrrev_i32_e32 v10, 31, v9
	v_lshlrev_b64 v[9:10], 4, v[9:10]
                                        ; implicit-def: $vgpr16_vgpr17
                                        ; implicit-def: $vgpr12_vgpr13
                                        ; implicit-def: $vgpr14_vgpr15
	v_add_co_u32_e32 v9, vcc, s2, v9
	v_addc_co_u32_e32 v10, vcc, v18, v10, vcc
	global_store_dwordx4 v[9:10], v[5:8], off
	global_store_dwordx4 v[9:10], v[0:3], off offset:16
                                        ; implicit-def: $vgpr9
                                        ; implicit-def: $vgpr10_vgpr11
                                        ; implicit-def: $vgpr7_vgpr8
                                        ; implicit-def: $vgpr3_vgpr4
.LBB234_19:
	s_andn2_saveexec_b64 s[0:1], s[0:1]
	s_cbranch_execz .LBB234_21
; %bb.20:
	v_lshlrev_b32_e32 v18, 1, v9
	v_ashrrev_i32_e32 v19, 31, v18
	v_lshlrev_b64 v[18:19], 4, v[18:19]
	s_waitcnt lgkmcnt(0)
	v_mov_b32_e32 v0, s3
	v_add_co_u32_e32 v26, vcc, s2, v18
	v_addc_co_u32_e32 v27, vcc, v0, v19, vcc
	global_load_dwordx4 v[18:21], v[26:27], off
	global_load_dwordx4 v[22:25], v[26:27], off offset:16
	v_mul_f64 v[28:29], v[16:17], -v[3:4]
	v_mul_f64 v[16:17], v[1:2], v[16:17]
	v_mul_f64 v[30:31], v[14:15], -v[3:4]
	v_mul_f64 v[14:15], v[1:2], v[14:15]
	v_fma_f64 v[28:29], v[1:2], v[10:11], v[28:29]
	v_fma_f64 v[9:10], v[3:4], v[10:11], v[16:17]
	;; [unrolled: 1-line block ×4, first 2 shown]
	s_waitcnt vmcnt(1)
	v_fma_f64 v[11:12], v[5:6], v[18:19], v[28:29]
	v_fma_f64 v[9:10], v[7:8], v[18:19], v[9:10]
	s_waitcnt vmcnt(0)
	v_fma_f64 v[13:14], v[5:6], v[22:23], v[0:1]
	v_fma_f64 v[15:16], v[7:8], v[22:23], v[2:3]
	v_fma_f64 v[0:1], -v[7:8], v[20:21], v[11:12]
	v_fma_f64 v[2:3], v[5:6], v[20:21], v[9:10]
	v_fma_f64 v[7:8], -v[7:8], v[24:25], v[13:14]
	v_fma_f64 v[9:10], v[5:6], v[24:25], v[15:16]
	global_store_dwordx4 v[26:27], v[0:3], off
	global_store_dwordx4 v[26:27], v[7:10], off offset:16
.LBB234_21:
	s_endpgm
	.section	.rodata,"a",@progbits
	.p2align	6, 0x0
	.amdhsa_kernel _ZN9rocsparseL19gebsrmvn_2xn_kernelILj128ELj3ELj8E21rocsparse_complex_numIdEEEvi20rocsparse_direction_NS_24const_host_device_scalarIT2_EEPKiS8_PKS5_SA_S6_PS5_21rocsparse_index_base_b
		.amdhsa_group_segment_fixed_size 0
		.amdhsa_private_segment_fixed_size 0
		.amdhsa_kernarg_size 88
		.amdhsa_user_sgpr_count 6
		.amdhsa_user_sgpr_private_segment_buffer 1
		.amdhsa_user_sgpr_dispatch_ptr 0
		.amdhsa_user_sgpr_queue_ptr 0
		.amdhsa_user_sgpr_kernarg_segment_ptr 1
		.amdhsa_user_sgpr_dispatch_id 0
		.amdhsa_user_sgpr_flat_scratch_init 0
		.amdhsa_user_sgpr_private_segment_size 0
		.amdhsa_uses_dynamic_stack 0
		.amdhsa_system_sgpr_private_segment_wavefront_offset 0
		.amdhsa_system_sgpr_workgroup_id_x 1
		.amdhsa_system_sgpr_workgroup_id_y 0
		.amdhsa_system_sgpr_workgroup_id_z 0
		.amdhsa_system_sgpr_workgroup_info 0
		.amdhsa_system_vgpr_workitem_id 0
		.amdhsa_next_free_vgpr 56
		.amdhsa_next_free_sgpr 16
		.amdhsa_reserve_vcc 1
		.amdhsa_reserve_flat_scratch 0
		.amdhsa_float_round_mode_32 0
		.amdhsa_float_round_mode_16_64 0
		.amdhsa_float_denorm_mode_32 3
		.amdhsa_float_denorm_mode_16_64 3
		.amdhsa_dx10_clamp 1
		.amdhsa_ieee_mode 1
		.amdhsa_fp16_overflow 0
		.amdhsa_exception_fp_ieee_invalid_op 0
		.amdhsa_exception_fp_denorm_src 0
		.amdhsa_exception_fp_ieee_div_zero 0
		.amdhsa_exception_fp_ieee_overflow 0
		.amdhsa_exception_fp_ieee_underflow 0
		.amdhsa_exception_fp_ieee_inexact 0
		.amdhsa_exception_int_div_zero 0
	.end_amdhsa_kernel
	.section	.text._ZN9rocsparseL19gebsrmvn_2xn_kernelILj128ELj3ELj8E21rocsparse_complex_numIdEEEvi20rocsparse_direction_NS_24const_host_device_scalarIT2_EEPKiS8_PKS5_SA_S6_PS5_21rocsparse_index_base_b,"axG",@progbits,_ZN9rocsparseL19gebsrmvn_2xn_kernelILj128ELj3ELj8E21rocsparse_complex_numIdEEEvi20rocsparse_direction_NS_24const_host_device_scalarIT2_EEPKiS8_PKS5_SA_S6_PS5_21rocsparse_index_base_b,comdat
.Lfunc_end234:
	.size	_ZN9rocsparseL19gebsrmvn_2xn_kernelILj128ELj3ELj8E21rocsparse_complex_numIdEEEvi20rocsparse_direction_NS_24const_host_device_scalarIT2_EEPKiS8_PKS5_SA_S6_PS5_21rocsparse_index_base_b, .Lfunc_end234-_ZN9rocsparseL19gebsrmvn_2xn_kernelILj128ELj3ELj8E21rocsparse_complex_numIdEEEvi20rocsparse_direction_NS_24const_host_device_scalarIT2_EEPKiS8_PKS5_SA_S6_PS5_21rocsparse_index_base_b
                                        ; -- End function
	.set _ZN9rocsparseL19gebsrmvn_2xn_kernelILj128ELj3ELj8E21rocsparse_complex_numIdEEEvi20rocsparse_direction_NS_24const_host_device_scalarIT2_EEPKiS8_PKS5_SA_S6_PS5_21rocsparse_index_base_b.num_vgpr, 56
	.set _ZN9rocsparseL19gebsrmvn_2xn_kernelILj128ELj3ELj8E21rocsparse_complex_numIdEEEvi20rocsparse_direction_NS_24const_host_device_scalarIT2_EEPKiS8_PKS5_SA_S6_PS5_21rocsparse_index_base_b.num_agpr, 0
	.set _ZN9rocsparseL19gebsrmvn_2xn_kernelILj128ELj3ELj8E21rocsparse_complex_numIdEEEvi20rocsparse_direction_NS_24const_host_device_scalarIT2_EEPKiS8_PKS5_SA_S6_PS5_21rocsparse_index_base_b.numbered_sgpr, 16
	.set _ZN9rocsparseL19gebsrmvn_2xn_kernelILj128ELj3ELj8E21rocsparse_complex_numIdEEEvi20rocsparse_direction_NS_24const_host_device_scalarIT2_EEPKiS8_PKS5_SA_S6_PS5_21rocsparse_index_base_b.num_named_barrier, 0
	.set _ZN9rocsparseL19gebsrmvn_2xn_kernelILj128ELj3ELj8E21rocsparse_complex_numIdEEEvi20rocsparse_direction_NS_24const_host_device_scalarIT2_EEPKiS8_PKS5_SA_S6_PS5_21rocsparse_index_base_b.private_seg_size, 0
	.set _ZN9rocsparseL19gebsrmvn_2xn_kernelILj128ELj3ELj8E21rocsparse_complex_numIdEEEvi20rocsparse_direction_NS_24const_host_device_scalarIT2_EEPKiS8_PKS5_SA_S6_PS5_21rocsparse_index_base_b.uses_vcc, 1
	.set _ZN9rocsparseL19gebsrmvn_2xn_kernelILj128ELj3ELj8E21rocsparse_complex_numIdEEEvi20rocsparse_direction_NS_24const_host_device_scalarIT2_EEPKiS8_PKS5_SA_S6_PS5_21rocsparse_index_base_b.uses_flat_scratch, 0
	.set _ZN9rocsparseL19gebsrmvn_2xn_kernelILj128ELj3ELj8E21rocsparse_complex_numIdEEEvi20rocsparse_direction_NS_24const_host_device_scalarIT2_EEPKiS8_PKS5_SA_S6_PS5_21rocsparse_index_base_b.has_dyn_sized_stack, 0
	.set _ZN9rocsparseL19gebsrmvn_2xn_kernelILj128ELj3ELj8E21rocsparse_complex_numIdEEEvi20rocsparse_direction_NS_24const_host_device_scalarIT2_EEPKiS8_PKS5_SA_S6_PS5_21rocsparse_index_base_b.has_recursion, 0
	.set _ZN9rocsparseL19gebsrmvn_2xn_kernelILj128ELj3ELj8E21rocsparse_complex_numIdEEEvi20rocsparse_direction_NS_24const_host_device_scalarIT2_EEPKiS8_PKS5_SA_S6_PS5_21rocsparse_index_base_b.has_indirect_call, 0
	.section	.AMDGPU.csdata,"",@progbits
; Kernel info:
; codeLenInByte = 2156
; TotalNumSgprs: 20
; NumVgprs: 56
; ScratchSize: 0
; MemoryBound: 0
; FloatMode: 240
; IeeeMode: 1
; LDSByteSize: 0 bytes/workgroup (compile time only)
; SGPRBlocks: 2
; VGPRBlocks: 13
; NumSGPRsForWavesPerEU: 20
; NumVGPRsForWavesPerEU: 56
; Occupancy: 4
; WaveLimiterHint : 1
; COMPUTE_PGM_RSRC2:SCRATCH_EN: 0
; COMPUTE_PGM_RSRC2:USER_SGPR: 6
; COMPUTE_PGM_RSRC2:TRAP_HANDLER: 0
; COMPUTE_PGM_RSRC2:TGID_X_EN: 1
; COMPUTE_PGM_RSRC2:TGID_Y_EN: 0
; COMPUTE_PGM_RSRC2:TGID_Z_EN: 0
; COMPUTE_PGM_RSRC2:TIDIG_COMP_CNT: 0
	.section	.text._ZN9rocsparseL19gebsrmvn_2xn_kernelILj128ELj3ELj16E21rocsparse_complex_numIdEEEvi20rocsparse_direction_NS_24const_host_device_scalarIT2_EEPKiS8_PKS5_SA_S6_PS5_21rocsparse_index_base_b,"axG",@progbits,_ZN9rocsparseL19gebsrmvn_2xn_kernelILj128ELj3ELj16E21rocsparse_complex_numIdEEEvi20rocsparse_direction_NS_24const_host_device_scalarIT2_EEPKiS8_PKS5_SA_S6_PS5_21rocsparse_index_base_b,comdat
	.globl	_ZN9rocsparseL19gebsrmvn_2xn_kernelILj128ELj3ELj16E21rocsparse_complex_numIdEEEvi20rocsparse_direction_NS_24const_host_device_scalarIT2_EEPKiS8_PKS5_SA_S6_PS5_21rocsparse_index_base_b ; -- Begin function _ZN9rocsparseL19gebsrmvn_2xn_kernelILj128ELj3ELj16E21rocsparse_complex_numIdEEEvi20rocsparse_direction_NS_24const_host_device_scalarIT2_EEPKiS8_PKS5_SA_S6_PS5_21rocsparse_index_base_b
	.p2align	8
	.type	_ZN9rocsparseL19gebsrmvn_2xn_kernelILj128ELj3ELj16E21rocsparse_complex_numIdEEEvi20rocsparse_direction_NS_24const_host_device_scalarIT2_EEPKiS8_PKS5_SA_S6_PS5_21rocsparse_index_base_b,@function
_ZN9rocsparseL19gebsrmvn_2xn_kernelILj128ELj3ELj16E21rocsparse_complex_numIdEEEvi20rocsparse_direction_NS_24const_host_device_scalarIT2_EEPKiS8_PKS5_SA_S6_PS5_21rocsparse_index_base_b: ; @_ZN9rocsparseL19gebsrmvn_2xn_kernelILj128ELj3ELj16E21rocsparse_complex_numIdEEEvi20rocsparse_direction_NS_24const_host_device_scalarIT2_EEPKiS8_PKS5_SA_S6_PS5_21rocsparse_index_base_b
; %bb.0:
	s_load_dwordx2 s[0:1], s[4:5], 0x8
	s_load_dwordx2 s[8:9], s[4:5], 0x38
	;; [unrolled: 1-line block ×3, first 2 shown]
	s_add_u32 s7, s4, 8
	s_addc_u32 s10, s5, 0
	s_add_u32 s11, s4, 56
	s_addc_u32 s12, s5, 0
	s_waitcnt lgkmcnt(0)
	s_bitcmp1_b32 s3, 0
	s_cselect_b32 s1, s10, s1
	s_cselect_b32 s0, s7, s0
	v_mov_b32_e32 v1, s0
	v_mov_b32_e32 v2, s1
	flat_load_dwordx4 v[1:4], v[1:2]
	s_cselect_b32 s0, s12, s9
	s_cselect_b32 s1, s11, s8
	v_mov_b32_e32 v5, s1
	v_mov_b32_e32 v6, s0
	flat_load_dwordx4 v[5:8], v[5:6]
	s_waitcnt vmcnt(0) lgkmcnt(0)
	v_cmp_eq_f64_e32 vcc, 0, v[1:2]
	v_cmp_eq_f64_e64 s[0:1], 0, v[3:4]
	s_and_b64 s[10:11], vcc, s[0:1]
	s_mov_b64 s[0:1], -1
	s_and_saveexec_b64 s[8:9], s[10:11]
	s_cbranch_execz .LBB235_2
; %bb.1:
	v_cmp_neq_f64_e32 vcc, 1.0, v[5:6]
	v_cmp_neq_f64_e64 s[0:1], 0, v[7:8]
	s_or_b64 s[0:1], vcc, s[0:1]
	s_orn2_b64 s[0:1], s[0:1], exec
.LBB235_2:
	s_or_b64 exec, exec, s[8:9]
	s_and_saveexec_b64 s[8:9], s[0:1]
	s_cbranch_execz .LBB235_21
; %bb.3:
	s_load_dwordx2 s[0:1], s[4:5], 0x0
	v_lshrrev_b32_e32 v9, 4, v0
	v_lshl_or_b32 v9, s6, 3, v9
	s_waitcnt lgkmcnt(0)
	v_cmp_gt_i32_e32 vcc, s0, v9
	s_and_b64 exec, exec, vcc
	s_cbranch_execz .LBB235_21
; %bb.4:
	s_load_dwordx8 s[8:15], s[4:5], 0x18
	v_ashrrev_i32_e32 v10, 31, v9
	v_lshlrev_b64 v[10:11], 2, v[9:10]
	v_and_b32_e32 v0, 15, v0
	s_cmp_lg_u32 s1, 0
	s_waitcnt lgkmcnt(0)
	v_mov_b32_e32 v12, s9
	v_add_co_u32_e32 v10, vcc, s8, v10
	v_addc_co_u32_e32 v11, vcc, v12, v11, vcc
	global_load_dwordx2 v[10:11], v[10:11], off
	s_waitcnt vmcnt(0)
	v_subrev_u32_e32 v10, s2, v10
	v_subrev_u32_e32 v24, s2, v11
	v_add_u32_e32 v10, v10, v0
	v_cmp_lt_i32_e64 s[0:1], v10, v24
	s_cbranch_scc0 .LBB235_10
; %bb.5:
	v_mov_b32_e32 v16, 0
	v_mov_b32_e32 v18, 0
	;; [unrolled: 1-line block ×8, first 2 shown]
	s_and_saveexec_b64 s[6:7], s[0:1]
	s_cbranch_execz .LBB235_9
; %bb.6:
	v_mul_lo_u32 v20, v10, 6
	v_mov_b32_e32 v16, 0
	v_mov_b32_e32 v18, 0
	;; [unrolled: 1-line block ×5, first 2 shown]
	s_mov_b64 s[8:9], 0
	v_mov_b32_e32 v11, s11
	v_mov_b32_e32 v21, 0
	;; [unrolled: 1-line block ×8, first 2 shown]
.LBB235_7:                              ; =>This Inner Loop Header: Depth=1
	v_lshlrev_b64 v[27:28], 4, v[20:21]
	v_ashrrev_i32_e32 v23, 31, v22
	v_lshlrev_b64 v[33:34], 2, v[22:23]
	v_add_co_u32_e32 v39, vcc, s12, v27
	v_add_u32_e32 v29, 2, v20
	v_mov_b32_e32 v30, v21
	v_addc_co_u32_e32 v40, vcc, v25, v28, vcc
	v_lshlrev_b64 v[35:36], 4, v[29:30]
	v_add_co_u32_e32 v45, vcc, s10, v33
	v_add_u32_e32 v31, 4, v20
	v_mov_b32_e32 v32, v21
	v_addc_co_u32_e32 v46, vcc, v11, v34, vcc
	v_lshlrev_b64 v[37:38], 4, v[31:32]
	v_add_co_u32_e32 v50, vcc, s12, v35
	v_addc_co_u32_e32 v51, vcc, v25, v36, vcc
	v_add_co_u32_e32 v52, vcc, s12, v37
	global_load_dwordx4 v[27:30], v[39:40], off
	global_load_dwordx4 v[31:34], v[39:40], off offset:16
	v_addc_co_u32_e32 v53, vcc, v25, v38, vcc
	global_load_dword v23, v[45:46], off
	global_load_dwordx4 v[35:38], v[50:51], off
	global_load_dwordx4 v[39:42], v[50:51], off offset:16
	v_mov_b32_e32 v48, v21
	v_mov_b32_e32 v44, v21
	;; [unrolled: 1-line block ×3, first 2 shown]
	v_add_u32_e32 v22, 16, v22
	v_add_u32_e32 v20, 0x60, v20
	s_waitcnt vmcnt(2)
	v_subrev_u32_e32 v23, s2, v23
	v_lshl_add_u32 v47, v23, 1, v23
	v_lshlrev_b64 v[45:46], 4, v[47:48]
	v_add_u32_e32 v43, 1, v47
	v_lshlrev_b64 v[43:44], 4, v[43:44]
	v_add_co_u32_e32 v45, vcc, s14, v45
	v_addc_co_u32_e32 v46, vcc, v26, v46, vcc
	v_add_co_u32_e32 v50, vcc, s14, v43
	v_addc_co_u32_e32 v51, vcc, v26, v44, vcc
	global_load_dwordx4 v[43:46], v[45:46], off
	v_add_u32_e32 v48, 2, v47
	s_waitcnt vmcnt(0)
	v_fma_f64 v[18:19], v[27:28], v[43:44], v[18:19]
	v_fma_f64 v[16:17], v[29:30], v[43:44], v[16:17]
	;; [unrolled: 1-line block ×4, first 2 shown]
	v_fma_f64 v[54:55], -v[29:30], v[45:46], v[18:19]
	v_fma_f64 v[56:57], v[27:28], v[45:46], v[16:17]
	global_load_dwordx4 v[16:19], v[50:51], off
	v_fma_f64 v[43:44], -v[33:34], v[45:46], v[12:13]
	v_fma_f64 v[45:46], v[31:32], v[45:46], v[14:15]
	v_lshlrev_b64 v[31:32], 4, v[48:49]
	global_load_dwordx4 v[27:30], v[52:53], off offset:16
	global_load_dwordx4 v[12:15], v[52:53], off
	v_add_co_u32_e32 v31, vcc, s14, v31
	v_addc_co_u32_e32 v32, vcc, v26, v32, vcc
	global_load_dwordx4 v[31:34], v[31:32], off
	v_cmp_ge_i32_e32 vcc, v22, v24
	s_or_b64 s[8:9], vcc, s[8:9]
	s_waitcnt vmcnt(3)
	v_fma_f64 v[47:48], v[35:36], v[16:17], v[54:55]
	v_fma_f64 v[49:50], v[37:38], v[16:17], v[56:57]
	;; [unrolled: 1-line block ×4, first 2 shown]
	v_fma_f64 v[37:38], -v[37:38], v[18:19], v[47:48]
	v_fma_f64 v[35:36], v[35:36], v[18:19], v[49:50]
	v_fma_f64 v[41:42], -v[41:42], v[18:19], v[43:44]
	v_fma_f64 v[16:17], v[39:40], v[18:19], v[16:17]
	s_waitcnt vmcnt(0)
	v_fma_f64 v[18:19], v[12:13], v[31:32], v[37:38]
	v_fma_f64 v[35:36], v[14:15], v[31:32], v[35:36]
	;; [unrolled: 1-line block ×4, first 2 shown]
	v_fma_f64 v[18:19], -v[14:15], v[33:34], v[18:19]
	v_fma_f64 v[16:17], v[12:13], v[33:34], v[35:36]
	v_fma_f64 v[12:13], -v[29:30], v[33:34], v[37:38]
	v_fma_f64 v[14:15], v[27:28], v[33:34], v[31:32]
	s_andn2_b64 exec, exec, s[8:9]
	s_cbranch_execnz .LBB235_7
; %bb.8:
	s_or_b64 exec, exec, s[8:9]
.LBB235_9:
	s_or_b64 exec, exec, s[6:7]
	s_cbranch_execz .LBB235_11
	s_branch .LBB235_16
.LBB235_10:
                                        ; implicit-def: $vgpr16_vgpr17
                                        ; implicit-def: $vgpr18_vgpr19
                                        ; implicit-def: $vgpr12_vgpr13
                                        ; implicit-def: $vgpr14_vgpr15
.LBB235_11:
	v_mov_b32_e32 v16, 0
	v_mov_b32_e32 v18, 0
	;; [unrolled: 1-line block ×8, first 2 shown]
	s_and_saveexec_b64 s[6:7], s[0:1]
	s_cbranch_execz .LBB235_15
; %bb.12:
	v_mad_u64_u32 v[20:21], s[0:1], v10, 6, 5
	v_mov_b32_e32 v16, 0
	v_mov_b32_e32 v18, 0
	;; [unrolled: 1-line block ×5, first 2 shown]
	s_mov_b64 s[0:1], 0
	v_mov_b32_e32 v25, s11
	v_mov_b32_e32 v23, 0
	;; [unrolled: 1-line block ×7, first 2 shown]
.LBB235_13:                             ; =>This Inner Loop Header: Depth=1
	v_ashrrev_i32_e32 v11, 31, v10
	v_lshlrev_b64 v[30:31], 2, v[10:11]
	v_add_u32_e32 v22, -5, v20
	v_lshlrev_b64 v[32:33], 4, v[22:23]
	v_add_co_u32_e32 v36, vcc, s10, v30
	v_add_u32_e32 v28, -2, v20
	v_mov_b32_e32 v29, v23
	v_addc_co_u32_e32 v37, vcc, v25, v31, vcc
	v_lshlrev_b64 v[28:29], 4, v[28:29]
	v_add_co_u32_e32 v38, vcc, s12, v32
	v_addc_co_u32_e32 v39, vcc, v26, v33, vcc
	v_add_co_u32_e32 v42, vcc, s12, v28
	v_addc_co_u32_e32 v43, vcc, v26, v29, vcc
	global_load_dword v11, v[36:37], off
	global_load_dwordx4 v[28:31], v[38:39], off
	global_load_dwordx4 v[32:35], v[38:39], off offset:16
	v_mov_b32_e32 v21, v23
	v_lshlrev_b64 v[21:22], 4, v[20:21]
	v_mov_b32_e32 v41, v23
	v_add_co_u32_e32 v21, vcc, s12, v21
	v_addc_co_u32_e32 v22, vcc, v26, v22, vcc
	v_add_u32_e32 v10, 16, v10
	s_waitcnt vmcnt(2)
	v_subrev_u32_e32 v11, s2, v11
	v_lshl_add_u32 v40, v11, 1, v11
	v_lshlrev_b64 v[36:37], 4, v[40:41]
	v_add_co_u32_e32 v36, vcc, s14, v36
	v_addc_co_u32_e32 v37, vcc, v27, v37, vcc
	global_load_dwordx4 v[36:39], v[36:37], off
	s_waitcnt vmcnt(0)
	v_fma_f64 v[18:19], v[28:29], v[36:37], v[18:19]
	v_fma_f64 v[16:17], v[30:31], v[36:37], v[16:17]
	v_fma_f64 v[44:45], -v[30:31], v[38:39], v[18:19]
	v_fma_f64 v[46:47], v[28:29], v[38:39], v[16:17]
	global_load_dwordx4 v[16:19], v[42:43], off
	global_load_dwordx4 v[28:31], v[21:22], off
	v_add_u32_e32 v22, 1, v40
	s_waitcnt vmcnt(1)
	v_fma_f64 v[11:12], v[16:17], v[36:37], v[12:13]
	v_fma_f64 v[13:14], v[18:19], v[36:37], v[14:15]
	v_fma_f64 v[36:37], -v[18:19], v[38:39], v[11:12]
	v_lshlrev_b64 v[11:12], 4, v[22:23]
	v_fma_f64 v[38:39], v[16:17], v[38:39], v[13:14]
	v_add_co_u32_e32 v11, vcc, s14, v11
	v_addc_co_u32_e32 v12, vcc, v27, v12, vcc
	global_load_dwordx4 v[11:14], v[11:12], off
	v_add_u32_e32 v22, -1, v20
	v_lshlrev_b64 v[15:16], 4, v[22:23]
	v_add_u32_e32 v22, -3, v20
	v_add_co_u32_e32 v15, vcc, s12, v15
	v_addc_co_u32_e32 v16, vcc, v26, v16, vcc
	v_lshlrev_b64 v[41:42], 4, v[22:23]
	v_add_u32_e32 v22, 2, v40
	v_lshlrev_b64 v[21:22], 4, v[22:23]
	v_add_u32_e32 v20, 0x60, v20
	s_waitcnt vmcnt(0)
	v_fma_f64 v[17:18], v[32:33], v[11:12], v[44:45]
	v_fma_f64 v[43:44], v[34:35], v[11:12], v[46:47]
	v_fma_f64 v[45:46], -v[34:35], v[13:14], v[17:18]
	global_load_dwordx4 v[15:18], v[15:16], off
	v_fma_f64 v[43:44], v[32:33], v[13:14], v[43:44]
	v_add_co_u32_e32 v32, vcc, s12, v41
	v_addc_co_u32_e32 v33, vcc, v26, v42, vcc
	global_load_dwordx4 v[32:35], v[32:33], off
	v_add_co_u32_e32 v21, vcc, s14, v21
	v_addc_co_u32_e32 v22, vcc, v27, v22, vcc
	v_cmp_ge_i32_e32 vcc, v10, v24
	s_or_b64 s[0:1], vcc, s[0:1]
	s_waitcnt vmcnt(1)
	v_fma_f64 v[36:37], v[15:16], v[11:12], v[36:37]
	v_fma_f64 v[11:12], v[17:18], v[11:12], v[38:39]
	v_fma_f64 v[17:18], -v[17:18], v[13:14], v[36:37]
	v_fma_f64 v[36:37], v[15:16], v[13:14], v[11:12]
	global_load_dwordx4 v[12:15], v[21:22], off
	s_waitcnt vmcnt(0)
	v_fma_f64 v[21:22], v[32:33], v[12:13], v[45:46]
	v_fma_f64 v[38:39], v[34:35], v[12:13], v[43:44]
	;; [unrolled: 1-line block ×4, first 2 shown]
	v_fma_f64 v[18:19], -v[34:35], v[14:15], v[21:22]
	v_fma_f64 v[16:17], v[32:33], v[14:15], v[38:39]
	v_fma_f64 v[12:13], -v[30:31], v[14:15], v[40:41]
	v_fma_f64 v[14:15], v[28:29], v[14:15], v[36:37]
	s_andn2_b64 exec, exec, s[0:1]
	s_cbranch_execnz .LBB235_13
; %bb.14:
	s_or_b64 exec, exec, s[0:1]
.LBB235_15:
	s_or_b64 exec, exec, s[6:7]
.LBB235_16:
	v_mov_b32_dpp v10, v18 row_shr:1 row_mask:0xf bank_mask:0xf
	v_mov_b32_dpp v11, v19 row_shr:1 row_mask:0xf bank_mask:0xf
	v_add_f64 v[10:11], v[18:19], v[10:11]
	v_mov_b32_dpp v18, v16 row_shr:1 row_mask:0xf bank_mask:0xf
	v_mov_b32_dpp v19, v17 row_shr:1 row_mask:0xf bank_mask:0xf
	;; [unrolled: 1-line block ×3, first 2 shown]
	v_add_f64 v[16:17], v[16:17], v[18:19]
	v_mov_b32_dpp v21, v13 row_shr:1 row_mask:0xf bank_mask:0xf
	v_add_f64 v[12:13], v[12:13], v[20:21]
	v_cmp_eq_u32_e32 vcc, 15, v0
	v_mov_b32_dpp v18, v10 row_shr:2 row_mask:0xf bank_mask:0xf
	v_mov_b32_dpp v19, v11 row_shr:2 row_mask:0xf bank_mask:0xf
	v_add_f64 v[10:11], v[10:11], v[18:19]
	v_mov_b32_dpp v18, v14 row_shr:1 row_mask:0xf bank_mask:0xf
	v_mov_b32_dpp v19, v15 row_shr:1 row_mask:0xf bank_mask:0xf
	v_add_f64 v[14:15], v[14:15], v[18:19]
	;; [unrolled: 3-line block ×4, first 2 shown]
	v_mov_b32_dpp v20, v10 row_shr:4 row_mask:0xf bank_mask:0xe
	v_mov_b32_dpp v12, v14 row_shr:2 row_mask:0xf bank_mask:0xf
	v_mov_b32_dpp v13, v15 row_shr:2 row_mask:0xf bank_mask:0xf
	v_add_f64 v[14:15], v[14:15], v[12:13]
	v_mov_b32_dpp v12, v16 row_shr:4 row_mask:0xf bank_mask:0xe
	v_mov_b32_dpp v13, v17 row_shr:4 row_mask:0xf bank_mask:0xe
	v_add_f64 v[12:13], v[16:17], v[12:13]
	v_mov_b32_dpp v16, v18 row_shr:4 row_mask:0xf bank_mask:0xe
	v_mov_b32_dpp v17, v19 row_shr:4 row_mask:0xf bank_mask:0xe
	v_mov_b32_dpp v21, v11 row_shr:4 row_mask:0xf bank_mask:0xe
	v_add_f64 v[18:19], v[18:19], v[16:17]
	v_mov_b32_dpp v16, v14 row_shr:4 row_mask:0xf bank_mask:0xe
	v_mov_b32_dpp v17, v15 row_shr:4 row_mask:0xf bank_mask:0xe
	v_add_f64 v[10:11], v[10:11], v[20:21]
	v_add_f64 v[14:15], v[14:15], v[16:17]
	v_mov_b32_dpp v16, v12 row_shr:8 row_mask:0xf bank_mask:0xc
	v_mov_b32_dpp v17, v13 row_shr:8 row_mask:0xf bank_mask:0xc
	;; [unrolled: 1-line block ×8, first 2 shown]
	s_and_b64 exec, exec, vcc
	s_cbranch_execz .LBB235_21
; %bb.17:
	v_cmp_eq_f64_e32 vcc, 0, v[5:6]
	v_cmp_eq_f64_e64 s[0:1], 0, v[7:8]
	v_add_f64 v[10:11], v[10:11], v[24:25]
	v_add_f64 v[16:17], v[12:13], v[16:17]
	;; [unrolled: 1-line block ×4, first 2 shown]
	s_load_dwordx2 s[2:3], s[4:5], 0x48
	s_and_b64 s[0:1], vcc, s[0:1]
	s_and_saveexec_b64 s[4:5], s[0:1]
	s_xor_b64 s[0:1], exec, s[4:5]
	s_cbranch_execz .LBB235_19
; %bb.18:
	v_mul_f64 v[5:6], v[16:17], -v[3:4]
	v_mul_f64 v[7:8], v[1:2], v[16:17]
	v_mul_f64 v[16:17], v[14:15], -v[3:4]
	v_mul_f64 v[14:15], v[1:2], v[14:15]
	v_lshlrev_b32_e32 v9, 1, v9
	s_waitcnt lgkmcnt(0)
	v_mov_b32_e32 v18, s3
	v_fma_f64 v[5:6], v[1:2], v[10:11], v[5:6]
	v_fma_f64 v[7:8], v[3:4], v[10:11], v[7:8]
	;; [unrolled: 1-line block ×4, first 2 shown]
	v_ashrrev_i32_e32 v10, 31, v9
	v_lshlrev_b64 v[9:10], 4, v[9:10]
                                        ; implicit-def: $vgpr16_vgpr17
                                        ; implicit-def: $vgpr12_vgpr13
                                        ; implicit-def: $vgpr14_vgpr15
	v_add_co_u32_e32 v9, vcc, s2, v9
	v_addc_co_u32_e32 v10, vcc, v18, v10, vcc
	global_store_dwordx4 v[9:10], v[5:8], off
	global_store_dwordx4 v[9:10], v[0:3], off offset:16
                                        ; implicit-def: $vgpr9
                                        ; implicit-def: $vgpr10_vgpr11
                                        ; implicit-def: $vgpr7_vgpr8
                                        ; implicit-def: $vgpr3_vgpr4
.LBB235_19:
	s_andn2_saveexec_b64 s[0:1], s[0:1]
	s_cbranch_execz .LBB235_21
; %bb.20:
	v_lshlrev_b32_e32 v18, 1, v9
	v_ashrrev_i32_e32 v19, 31, v18
	v_lshlrev_b64 v[18:19], 4, v[18:19]
	s_waitcnt lgkmcnt(0)
	v_mov_b32_e32 v0, s3
	v_add_co_u32_e32 v26, vcc, s2, v18
	v_addc_co_u32_e32 v27, vcc, v0, v19, vcc
	global_load_dwordx4 v[18:21], v[26:27], off
	global_load_dwordx4 v[22:25], v[26:27], off offset:16
	v_mul_f64 v[28:29], v[16:17], -v[3:4]
	v_mul_f64 v[16:17], v[1:2], v[16:17]
	v_mul_f64 v[30:31], v[14:15], -v[3:4]
	v_mul_f64 v[14:15], v[1:2], v[14:15]
	v_fma_f64 v[28:29], v[1:2], v[10:11], v[28:29]
	v_fma_f64 v[9:10], v[3:4], v[10:11], v[16:17]
	;; [unrolled: 1-line block ×4, first 2 shown]
	s_waitcnt vmcnt(1)
	v_fma_f64 v[11:12], v[5:6], v[18:19], v[28:29]
	v_fma_f64 v[9:10], v[7:8], v[18:19], v[9:10]
	s_waitcnt vmcnt(0)
	v_fma_f64 v[13:14], v[5:6], v[22:23], v[0:1]
	v_fma_f64 v[15:16], v[7:8], v[22:23], v[2:3]
	v_fma_f64 v[0:1], -v[7:8], v[20:21], v[11:12]
	v_fma_f64 v[2:3], v[5:6], v[20:21], v[9:10]
	v_fma_f64 v[7:8], -v[7:8], v[24:25], v[13:14]
	v_fma_f64 v[9:10], v[5:6], v[24:25], v[15:16]
	global_store_dwordx4 v[26:27], v[0:3], off
	global_store_dwordx4 v[26:27], v[7:10], off offset:16
.LBB235_21:
	s_endpgm
	.section	.rodata,"a",@progbits
	.p2align	6, 0x0
	.amdhsa_kernel _ZN9rocsparseL19gebsrmvn_2xn_kernelILj128ELj3ELj16E21rocsparse_complex_numIdEEEvi20rocsparse_direction_NS_24const_host_device_scalarIT2_EEPKiS8_PKS5_SA_S6_PS5_21rocsparse_index_base_b
		.amdhsa_group_segment_fixed_size 0
		.amdhsa_private_segment_fixed_size 0
		.amdhsa_kernarg_size 88
		.amdhsa_user_sgpr_count 6
		.amdhsa_user_sgpr_private_segment_buffer 1
		.amdhsa_user_sgpr_dispatch_ptr 0
		.amdhsa_user_sgpr_queue_ptr 0
		.amdhsa_user_sgpr_kernarg_segment_ptr 1
		.amdhsa_user_sgpr_dispatch_id 0
		.amdhsa_user_sgpr_flat_scratch_init 0
		.amdhsa_user_sgpr_private_segment_size 0
		.amdhsa_uses_dynamic_stack 0
		.amdhsa_system_sgpr_private_segment_wavefront_offset 0
		.amdhsa_system_sgpr_workgroup_id_x 1
		.amdhsa_system_sgpr_workgroup_id_y 0
		.amdhsa_system_sgpr_workgroup_id_z 0
		.amdhsa_system_sgpr_workgroup_info 0
		.amdhsa_system_vgpr_workitem_id 0
		.amdhsa_next_free_vgpr 58
		.amdhsa_next_free_sgpr 16
		.amdhsa_reserve_vcc 1
		.amdhsa_reserve_flat_scratch 0
		.amdhsa_float_round_mode_32 0
		.amdhsa_float_round_mode_16_64 0
		.amdhsa_float_denorm_mode_32 3
		.amdhsa_float_denorm_mode_16_64 3
		.amdhsa_dx10_clamp 1
		.amdhsa_ieee_mode 1
		.amdhsa_fp16_overflow 0
		.amdhsa_exception_fp_ieee_invalid_op 0
		.amdhsa_exception_fp_denorm_src 0
		.amdhsa_exception_fp_ieee_div_zero 0
		.amdhsa_exception_fp_ieee_overflow 0
		.amdhsa_exception_fp_ieee_underflow 0
		.amdhsa_exception_fp_ieee_inexact 0
		.amdhsa_exception_int_div_zero 0
	.end_amdhsa_kernel
	.section	.text._ZN9rocsparseL19gebsrmvn_2xn_kernelILj128ELj3ELj16E21rocsparse_complex_numIdEEEvi20rocsparse_direction_NS_24const_host_device_scalarIT2_EEPKiS8_PKS5_SA_S6_PS5_21rocsparse_index_base_b,"axG",@progbits,_ZN9rocsparseL19gebsrmvn_2xn_kernelILj128ELj3ELj16E21rocsparse_complex_numIdEEEvi20rocsparse_direction_NS_24const_host_device_scalarIT2_EEPKiS8_PKS5_SA_S6_PS5_21rocsparse_index_base_b,comdat
.Lfunc_end235:
	.size	_ZN9rocsparseL19gebsrmvn_2xn_kernelILj128ELj3ELj16E21rocsparse_complex_numIdEEEvi20rocsparse_direction_NS_24const_host_device_scalarIT2_EEPKiS8_PKS5_SA_S6_PS5_21rocsparse_index_base_b, .Lfunc_end235-_ZN9rocsparseL19gebsrmvn_2xn_kernelILj128ELj3ELj16E21rocsparse_complex_numIdEEEvi20rocsparse_direction_NS_24const_host_device_scalarIT2_EEPKiS8_PKS5_SA_S6_PS5_21rocsparse_index_base_b
                                        ; -- End function
	.set _ZN9rocsparseL19gebsrmvn_2xn_kernelILj128ELj3ELj16E21rocsparse_complex_numIdEEEvi20rocsparse_direction_NS_24const_host_device_scalarIT2_EEPKiS8_PKS5_SA_S6_PS5_21rocsparse_index_base_b.num_vgpr, 58
	.set _ZN9rocsparseL19gebsrmvn_2xn_kernelILj128ELj3ELj16E21rocsparse_complex_numIdEEEvi20rocsparse_direction_NS_24const_host_device_scalarIT2_EEPKiS8_PKS5_SA_S6_PS5_21rocsparse_index_base_b.num_agpr, 0
	.set _ZN9rocsparseL19gebsrmvn_2xn_kernelILj128ELj3ELj16E21rocsparse_complex_numIdEEEvi20rocsparse_direction_NS_24const_host_device_scalarIT2_EEPKiS8_PKS5_SA_S6_PS5_21rocsparse_index_base_b.numbered_sgpr, 16
	.set _ZN9rocsparseL19gebsrmvn_2xn_kernelILj128ELj3ELj16E21rocsparse_complex_numIdEEEvi20rocsparse_direction_NS_24const_host_device_scalarIT2_EEPKiS8_PKS5_SA_S6_PS5_21rocsparse_index_base_b.num_named_barrier, 0
	.set _ZN9rocsparseL19gebsrmvn_2xn_kernelILj128ELj3ELj16E21rocsparse_complex_numIdEEEvi20rocsparse_direction_NS_24const_host_device_scalarIT2_EEPKiS8_PKS5_SA_S6_PS5_21rocsparse_index_base_b.private_seg_size, 0
	.set _ZN9rocsparseL19gebsrmvn_2xn_kernelILj128ELj3ELj16E21rocsparse_complex_numIdEEEvi20rocsparse_direction_NS_24const_host_device_scalarIT2_EEPKiS8_PKS5_SA_S6_PS5_21rocsparse_index_base_b.uses_vcc, 1
	.set _ZN9rocsparseL19gebsrmvn_2xn_kernelILj128ELj3ELj16E21rocsparse_complex_numIdEEEvi20rocsparse_direction_NS_24const_host_device_scalarIT2_EEPKiS8_PKS5_SA_S6_PS5_21rocsparse_index_base_b.uses_flat_scratch, 0
	.set _ZN9rocsparseL19gebsrmvn_2xn_kernelILj128ELj3ELj16E21rocsparse_complex_numIdEEEvi20rocsparse_direction_NS_24const_host_device_scalarIT2_EEPKiS8_PKS5_SA_S6_PS5_21rocsparse_index_base_b.has_dyn_sized_stack, 0
	.set _ZN9rocsparseL19gebsrmvn_2xn_kernelILj128ELj3ELj16E21rocsparse_complex_numIdEEEvi20rocsparse_direction_NS_24const_host_device_scalarIT2_EEPKiS8_PKS5_SA_S6_PS5_21rocsparse_index_base_b.has_recursion, 0
	.set _ZN9rocsparseL19gebsrmvn_2xn_kernelILj128ELj3ELj16E21rocsparse_complex_numIdEEEvi20rocsparse_direction_NS_24const_host_device_scalarIT2_EEPKiS8_PKS5_SA_S6_PS5_21rocsparse_index_base_b.has_indirect_call, 0
	.section	.AMDGPU.csdata,"",@progbits
; Kernel info:
; codeLenInByte = 2260
; TotalNumSgprs: 20
; NumVgprs: 58
; ScratchSize: 0
; MemoryBound: 0
; FloatMode: 240
; IeeeMode: 1
; LDSByteSize: 0 bytes/workgroup (compile time only)
; SGPRBlocks: 2
; VGPRBlocks: 14
; NumSGPRsForWavesPerEU: 20
; NumVGPRsForWavesPerEU: 58
; Occupancy: 4
; WaveLimiterHint : 1
; COMPUTE_PGM_RSRC2:SCRATCH_EN: 0
; COMPUTE_PGM_RSRC2:USER_SGPR: 6
; COMPUTE_PGM_RSRC2:TRAP_HANDLER: 0
; COMPUTE_PGM_RSRC2:TGID_X_EN: 1
; COMPUTE_PGM_RSRC2:TGID_Y_EN: 0
; COMPUTE_PGM_RSRC2:TGID_Z_EN: 0
; COMPUTE_PGM_RSRC2:TIDIG_COMP_CNT: 0
	.section	.text._ZN9rocsparseL19gebsrmvn_2xn_kernelILj128ELj3ELj32E21rocsparse_complex_numIdEEEvi20rocsparse_direction_NS_24const_host_device_scalarIT2_EEPKiS8_PKS5_SA_S6_PS5_21rocsparse_index_base_b,"axG",@progbits,_ZN9rocsparseL19gebsrmvn_2xn_kernelILj128ELj3ELj32E21rocsparse_complex_numIdEEEvi20rocsparse_direction_NS_24const_host_device_scalarIT2_EEPKiS8_PKS5_SA_S6_PS5_21rocsparse_index_base_b,comdat
	.globl	_ZN9rocsparseL19gebsrmvn_2xn_kernelILj128ELj3ELj32E21rocsparse_complex_numIdEEEvi20rocsparse_direction_NS_24const_host_device_scalarIT2_EEPKiS8_PKS5_SA_S6_PS5_21rocsparse_index_base_b ; -- Begin function _ZN9rocsparseL19gebsrmvn_2xn_kernelILj128ELj3ELj32E21rocsparse_complex_numIdEEEvi20rocsparse_direction_NS_24const_host_device_scalarIT2_EEPKiS8_PKS5_SA_S6_PS5_21rocsparse_index_base_b
	.p2align	8
	.type	_ZN9rocsparseL19gebsrmvn_2xn_kernelILj128ELj3ELj32E21rocsparse_complex_numIdEEEvi20rocsparse_direction_NS_24const_host_device_scalarIT2_EEPKiS8_PKS5_SA_S6_PS5_21rocsparse_index_base_b,@function
_ZN9rocsparseL19gebsrmvn_2xn_kernelILj128ELj3ELj32E21rocsparse_complex_numIdEEEvi20rocsparse_direction_NS_24const_host_device_scalarIT2_EEPKiS8_PKS5_SA_S6_PS5_21rocsparse_index_base_b: ; @_ZN9rocsparseL19gebsrmvn_2xn_kernelILj128ELj3ELj32E21rocsparse_complex_numIdEEEvi20rocsparse_direction_NS_24const_host_device_scalarIT2_EEPKiS8_PKS5_SA_S6_PS5_21rocsparse_index_base_b
; %bb.0:
	s_load_dwordx2 s[0:1], s[4:5], 0x8
	s_load_dwordx2 s[8:9], s[4:5], 0x38
	;; [unrolled: 1-line block ×3, first 2 shown]
	s_add_u32 s7, s4, 8
	s_addc_u32 s10, s5, 0
	s_add_u32 s11, s4, 56
	s_addc_u32 s12, s5, 0
	s_waitcnt lgkmcnt(0)
	s_bitcmp1_b32 s3, 0
	s_cselect_b32 s1, s10, s1
	s_cselect_b32 s0, s7, s0
	v_mov_b32_e32 v1, s0
	v_mov_b32_e32 v2, s1
	flat_load_dwordx4 v[1:4], v[1:2]
	s_cselect_b32 s0, s12, s9
	s_cselect_b32 s1, s11, s8
	v_mov_b32_e32 v5, s1
	v_mov_b32_e32 v6, s0
	flat_load_dwordx4 v[5:8], v[5:6]
	s_waitcnt vmcnt(0) lgkmcnt(0)
	v_cmp_eq_f64_e32 vcc, 0, v[1:2]
	v_cmp_eq_f64_e64 s[0:1], 0, v[3:4]
	s_and_b64 s[10:11], vcc, s[0:1]
	s_mov_b64 s[0:1], -1
	s_and_saveexec_b64 s[8:9], s[10:11]
	s_cbranch_execz .LBB236_2
; %bb.1:
	v_cmp_neq_f64_e32 vcc, 1.0, v[5:6]
	v_cmp_neq_f64_e64 s[0:1], 0, v[7:8]
	s_or_b64 s[0:1], vcc, s[0:1]
	s_orn2_b64 s[0:1], s[0:1], exec
.LBB236_2:
	s_or_b64 exec, exec, s[8:9]
	s_and_saveexec_b64 s[8:9], s[0:1]
	s_cbranch_execz .LBB236_21
; %bb.3:
	s_load_dwordx2 s[0:1], s[4:5], 0x0
	v_lshrrev_b32_e32 v9, 5, v0
	v_lshl_or_b32 v9, s6, 2, v9
	s_waitcnt lgkmcnt(0)
	v_cmp_gt_i32_e32 vcc, s0, v9
	s_and_b64 exec, exec, vcc
	s_cbranch_execz .LBB236_21
; %bb.4:
	s_load_dwordx8 s[8:15], s[4:5], 0x18
	v_ashrrev_i32_e32 v10, 31, v9
	v_lshlrev_b64 v[10:11], 2, v[9:10]
	v_and_b32_e32 v0, 31, v0
	s_cmp_lg_u32 s1, 0
	s_waitcnt lgkmcnt(0)
	v_mov_b32_e32 v12, s9
	v_add_co_u32_e32 v10, vcc, s8, v10
	v_addc_co_u32_e32 v11, vcc, v12, v11, vcc
	global_load_dwordx2 v[10:11], v[10:11], off
	s_waitcnt vmcnt(0)
	v_subrev_u32_e32 v10, s2, v10
	v_subrev_u32_e32 v24, s2, v11
	v_add_u32_e32 v10, v10, v0
	v_cmp_lt_i32_e64 s[0:1], v10, v24
	s_cbranch_scc0 .LBB236_10
; %bb.5:
	v_mov_b32_e32 v16, 0
	v_mov_b32_e32 v18, 0
	;; [unrolled: 1-line block ×8, first 2 shown]
	s_and_saveexec_b64 s[6:7], s[0:1]
	s_cbranch_execz .LBB236_9
; %bb.6:
	v_mul_lo_u32 v20, v10, 6
	v_mov_b32_e32 v16, 0
	v_mov_b32_e32 v18, 0
	v_mov_b32_e32 v12, 0
	v_mov_b32_e32 v14, 0
	v_mov_b32_e32 v17, 0
	s_mov_b64 s[8:9], 0
	v_mov_b32_e32 v11, s11
	v_mov_b32_e32 v21, 0
	v_mov_b32_e32 v25, s13
	v_mov_b32_e32 v26, s15
	v_mov_b32_e32 v19, 0
	v_mov_b32_e32 v13, 0
	v_mov_b32_e32 v15, 0
	v_mov_b32_e32 v22, v10
.LBB236_7:                              ; =>This Inner Loop Header: Depth=1
	v_lshlrev_b64 v[27:28], 4, v[20:21]
	v_ashrrev_i32_e32 v23, 31, v22
	v_lshlrev_b64 v[33:34], 2, v[22:23]
	v_add_co_u32_e32 v39, vcc, s12, v27
	v_add_u32_e32 v29, 2, v20
	v_mov_b32_e32 v30, v21
	v_addc_co_u32_e32 v40, vcc, v25, v28, vcc
	v_lshlrev_b64 v[35:36], 4, v[29:30]
	v_add_co_u32_e32 v45, vcc, s10, v33
	v_add_u32_e32 v31, 4, v20
	v_mov_b32_e32 v32, v21
	v_addc_co_u32_e32 v46, vcc, v11, v34, vcc
	v_lshlrev_b64 v[37:38], 4, v[31:32]
	v_add_co_u32_e32 v50, vcc, s12, v35
	v_addc_co_u32_e32 v51, vcc, v25, v36, vcc
	v_add_co_u32_e32 v52, vcc, s12, v37
	global_load_dwordx4 v[27:30], v[39:40], off
	global_load_dwordx4 v[31:34], v[39:40], off offset:16
	v_addc_co_u32_e32 v53, vcc, v25, v38, vcc
	global_load_dword v23, v[45:46], off
	global_load_dwordx4 v[35:38], v[50:51], off
	global_load_dwordx4 v[39:42], v[50:51], off offset:16
	v_mov_b32_e32 v48, v21
	v_mov_b32_e32 v44, v21
	;; [unrolled: 1-line block ×3, first 2 shown]
	v_add_u32_e32 v22, 32, v22
	v_add_u32_e32 v20, 0xc0, v20
	s_waitcnt vmcnt(2)
	v_subrev_u32_e32 v23, s2, v23
	v_lshl_add_u32 v47, v23, 1, v23
	v_lshlrev_b64 v[45:46], 4, v[47:48]
	v_add_u32_e32 v43, 1, v47
	v_lshlrev_b64 v[43:44], 4, v[43:44]
	v_add_co_u32_e32 v45, vcc, s14, v45
	v_addc_co_u32_e32 v46, vcc, v26, v46, vcc
	v_add_co_u32_e32 v50, vcc, s14, v43
	v_addc_co_u32_e32 v51, vcc, v26, v44, vcc
	global_load_dwordx4 v[43:46], v[45:46], off
	v_add_u32_e32 v48, 2, v47
	s_waitcnt vmcnt(0)
	v_fma_f64 v[18:19], v[27:28], v[43:44], v[18:19]
	v_fma_f64 v[16:17], v[29:30], v[43:44], v[16:17]
	;; [unrolled: 1-line block ×4, first 2 shown]
	v_fma_f64 v[54:55], -v[29:30], v[45:46], v[18:19]
	v_fma_f64 v[56:57], v[27:28], v[45:46], v[16:17]
	global_load_dwordx4 v[16:19], v[50:51], off
	v_fma_f64 v[43:44], -v[33:34], v[45:46], v[12:13]
	v_fma_f64 v[45:46], v[31:32], v[45:46], v[14:15]
	v_lshlrev_b64 v[31:32], 4, v[48:49]
	global_load_dwordx4 v[27:30], v[52:53], off offset:16
	global_load_dwordx4 v[12:15], v[52:53], off
	v_add_co_u32_e32 v31, vcc, s14, v31
	v_addc_co_u32_e32 v32, vcc, v26, v32, vcc
	global_load_dwordx4 v[31:34], v[31:32], off
	v_cmp_ge_i32_e32 vcc, v22, v24
	s_or_b64 s[8:9], vcc, s[8:9]
	s_waitcnt vmcnt(3)
	v_fma_f64 v[47:48], v[35:36], v[16:17], v[54:55]
	v_fma_f64 v[49:50], v[37:38], v[16:17], v[56:57]
	;; [unrolled: 1-line block ×4, first 2 shown]
	v_fma_f64 v[37:38], -v[37:38], v[18:19], v[47:48]
	v_fma_f64 v[35:36], v[35:36], v[18:19], v[49:50]
	v_fma_f64 v[41:42], -v[41:42], v[18:19], v[43:44]
	v_fma_f64 v[16:17], v[39:40], v[18:19], v[16:17]
	s_waitcnt vmcnt(0)
	v_fma_f64 v[18:19], v[12:13], v[31:32], v[37:38]
	v_fma_f64 v[35:36], v[14:15], v[31:32], v[35:36]
	;; [unrolled: 1-line block ×4, first 2 shown]
	v_fma_f64 v[18:19], -v[14:15], v[33:34], v[18:19]
	v_fma_f64 v[16:17], v[12:13], v[33:34], v[35:36]
	v_fma_f64 v[12:13], -v[29:30], v[33:34], v[37:38]
	v_fma_f64 v[14:15], v[27:28], v[33:34], v[31:32]
	s_andn2_b64 exec, exec, s[8:9]
	s_cbranch_execnz .LBB236_7
; %bb.8:
	s_or_b64 exec, exec, s[8:9]
.LBB236_9:
	s_or_b64 exec, exec, s[6:7]
	s_cbranch_execz .LBB236_11
	s_branch .LBB236_16
.LBB236_10:
                                        ; implicit-def: $vgpr16_vgpr17
                                        ; implicit-def: $vgpr18_vgpr19
                                        ; implicit-def: $vgpr12_vgpr13
                                        ; implicit-def: $vgpr14_vgpr15
.LBB236_11:
	v_mov_b32_e32 v16, 0
	v_mov_b32_e32 v18, 0
	;; [unrolled: 1-line block ×8, first 2 shown]
	s_and_saveexec_b64 s[6:7], s[0:1]
	s_cbranch_execz .LBB236_15
; %bb.12:
	v_mad_u64_u32 v[20:21], s[0:1], v10, 6, 5
	v_mov_b32_e32 v16, 0
	v_mov_b32_e32 v18, 0
	;; [unrolled: 1-line block ×5, first 2 shown]
	s_mov_b64 s[0:1], 0
	v_mov_b32_e32 v25, s11
	v_mov_b32_e32 v23, 0
	;; [unrolled: 1-line block ×7, first 2 shown]
.LBB236_13:                             ; =>This Inner Loop Header: Depth=1
	v_ashrrev_i32_e32 v11, 31, v10
	v_lshlrev_b64 v[30:31], 2, v[10:11]
	v_add_u32_e32 v22, -5, v20
	v_lshlrev_b64 v[32:33], 4, v[22:23]
	v_add_co_u32_e32 v36, vcc, s10, v30
	v_add_u32_e32 v28, -2, v20
	v_mov_b32_e32 v29, v23
	v_addc_co_u32_e32 v37, vcc, v25, v31, vcc
	v_lshlrev_b64 v[28:29], 4, v[28:29]
	v_add_co_u32_e32 v38, vcc, s12, v32
	v_addc_co_u32_e32 v39, vcc, v26, v33, vcc
	v_add_co_u32_e32 v42, vcc, s12, v28
	v_addc_co_u32_e32 v43, vcc, v26, v29, vcc
	global_load_dword v11, v[36:37], off
	global_load_dwordx4 v[28:31], v[38:39], off
	global_load_dwordx4 v[32:35], v[38:39], off offset:16
	v_mov_b32_e32 v21, v23
	v_lshlrev_b64 v[21:22], 4, v[20:21]
	v_mov_b32_e32 v41, v23
	v_add_co_u32_e32 v21, vcc, s12, v21
	v_addc_co_u32_e32 v22, vcc, v26, v22, vcc
	v_add_u32_e32 v10, 32, v10
	s_waitcnt vmcnt(2)
	v_subrev_u32_e32 v11, s2, v11
	v_lshl_add_u32 v40, v11, 1, v11
	v_lshlrev_b64 v[36:37], 4, v[40:41]
	v_add_co_u32_e32 v36, vcc, s14, v36
	v_addc_co_u32_e32 v37, vcc, v27, v37, vcc
	global_load_dwordx4 v[36:39], v[36:37], off
	s_waitcnt vmcnt(0)
	v_fma_f64 v[18:19], v[28:29], v[36:37], v[18:19]
	v_fma_f64 v[16:17], v[30:31], v[36:37], v[16:17]
	v_fma_f64 v[44:45], -v[30:31], v[38:39], v[18:19]
	v_fma_f64 v[46:47], v[28:29], v[38:39], v[16:17]
	global_load_dwordx4 v[16:19], v[42:43], off
	global_load_dwordx4 v[28:31], v[21:22], off
	v_add_u32_e32 v22, 1, v40
	s_waitcnt vmcnt(1)
	v_fma_f64 v[11:12], v[16:17], v[36:37], v[12:13]
	v_fma_f64 v[13:14], v[18:19], v[36:37], v[14:15]
	v_fma_f64 v[36:37], -v[18:19], v[38:39], v[11:12]
	v_lshlrev_b64 v[11:12], 4, v[22:23]
	v_fma_f64 v[38:39], v[16:17], v[38:39], v[13:14]
	v_add_co_u32_e32 v11, vcc, s14, v11
	v_addc_co_u32_e32 v12, vcc, v27, v12, vcc
	global_load_dwordx4 v[11:14], v[11:12], off
	v_add_u32_e32 v22, -1, v20
	v_lshlrev_b64 v[15:16], 4, v[22:23]
	v_add_u32_e32 v22, -3, v20
	v_add_co_u32_e32 v15, vcc, s12, v15
	v_addc_co_u32_e32 v16, vcc, v26, v16, vcc
	v_lshlrev_b64 v[41:42], 4, v[22:23]
	v_add_u32_e32 v22, 2, v40
	v_lshlrev_b64 v[21:22], 4, v[22:23]
	v_add_u32_e32 v20, 0xc0, v20
	s_waitcnt vmcnt(0)
	v_fma_f64 v[17:18], v[32:33], v[11:12], v[44:45]
	v_fma_f64 v[43:44], v[34:35], v[11:12], v[46:47]
	v_fma_f64 v[45:46], -v[34:35], v[13:14], v[17:18]
	global_load_dwordx4 v[15:18], v[15:16], off
	v_fma_f64 v[43:44], v[32:33], v[13:14], v[43:44]
	v_add_co_u32_e32 v32, vcc, s12, v41
	v_addc_co_u32_e32 v33, vcc, v26, v42, vcc
	global_load_dwordx4 v[32:35], v[32:33], off
	v_add_co_u32_e32 v21, vcc, s14, v21
	v_addc_co_u32_e32 v22, vcc, v27, v22, vcc
	v_cmp_ge_i32_e32 vcc, v10, v24
	s_or_b64 s[0:1], vcc, s[0:1]
	s_waitcnt vmcnt(1)
	v_fma_f64 v[36:37], v[15:16], v[11:12], v[36:37]
	v_fma_f64 v[11:12], v[17:18], v[11:12], v[38:39]
	v_fma_f64 v[17:18], -v[17:18], v[13:14], v[36:37]
	v_fma_f64 v[36:37], v[15:16], v[13:14], v[11:12]
	global_load_dwordx4 v[12:15], v[21:22], off
	s_waitcnt vmcnt(0)
	v_fma_f64 v[21:22], v[32:33], v[12:13], v[45:46]
	v_fma_f64 v[38:39], v[34:35], v[12:13], v[43:44]
	;; [unrolled: 1-line block ×4, first 2 shown]
	v_fma_f64 v[18:19], -v[34:35], v[14:15], v[21:22]
	v_fma_f64 v[16:17], v[32:33], v[14:15], v[38:39]
	v_fma_f64 v[12:13], -v[30:31], v[14:15], v[40:41]
	v_fma_f64 v[14:15], v[28:29], v[14:15], v[36:37]
	s_andn2_b64 exec, exec, s[0:1]
	s_cbranch_execnz .LBB236_13
; %bb.14:
	s_or_b64 exec, exec, s[0:1]
.LBB236_15:
	s_or_b64 exec, exec, s[6:7]
.LBB236_16:
	v_mov_b32_dpp v10, v18 row_shr:1 row_mask:0xf bank_mask:0xf
	v_mov_b32_dpp v11, v19 row_shr:1 row_mask:0xf bank_mask:0xf
	v_add_f64 v[10:11], v[18:19], v[10:11]
	v_mov_b32_dpp v18, v16 row_shr:1 row_mask:0xf bank_mask:0xf
	v_mov_b32_dpp v19, v17 row_shr:1 row_mask:0xf bank_mask:0xf
	v_add_f64 v[16:17], v[16:17], v[18:19]
	;; [unrolled: 3-line block ×3, first 2 shown]
	v_cmp_eq_u32_e32 vcc, 31, v0
	v_mov_b32_dpp v18, v10 row_shr:2 row_mask:0xf bank_mask:0xf
	v_mov_b32_dpp v19, v11 row_shr:2 row_mask:0xf bank_mask:0xf
	v_add_f64 v[10:11], v[10:11], v[18:19]
	v_mov_b32_dpp v18, v14 row_shr:1 row_mask:0xf bank_mask:0xf
	v_mov_b32_dpp v19, v15 row_shr:1 row_mask:0xf bank_mask:0xf
	v_add_f64 v[14:15], v[14:15], v[18:19]
	;; [unrolled: 3-line block ×4, first 2 shown]
	v_mov_b32_dpp v20, v12 row_shr:2 row_mask:0xf bank_mask:0xf
	v_mov_b32_dpp v21, v13 row_shr:2 row_mask:0xf bank_mask:0xf
	;; [unrolled: 1-line block ×3, first 2 shown]
	v_add_f64 v[12:13], v[12:13], v[20:21]
	v_mov_b32_dpp v19, v15 row_shr:2 row_mask:0xf bank_mask:0xf
	v_add_f64 v[14:15], v[14:15], v[18:19]
	v_mov_b32_dpp v20, v16 row_shr:4 row_mask:0xf bank_mask:0xe
	v_mov_b32_dpp v21, v17 row_shr:4 row_mask:0xf bank_mask:0xe
	v_add_f64 v[16:17], v[16:17], v[20:21]
	v_mov_b32_dpp v18, v10 row_shr:8 row_mask:0xf bank_mask:0xc
	v_mov_b32_dpp v19, v11 row_shr:8 row_mask:0xf bank_mask:0xc
	;; [unrolled: 1-line block ×4, first 2 shown]
	v_add_f64 v[20:21], v[12:13], v[20:21]
	v_mov_b32_dpp v12, v14 row_shr:4 row_mask:0xf bank_mask:0xe
	v_mov_b32_dpp v13, v15 row_shr:4 row_mask:0xf bank_mask:0xe
	v_add_f64 v[14:15], v[14:15], v[12:13]
	v_mov_b32_dpp v12, v16 row_shr:8 row_mask:0xf bank_mask:0xc
	v_mov_b32_dpp v13, v17 row_shr:8 row_mask:0xf bank_mask:0xc
	v_add_f64 v[12:13], v[16:17], v[12:13]
	v_add_f64 v[10:11], v[10:11], v[18:19]
	v_mov_b32_dpp v16, v20 row_shr:8 row_mask:0xf bank_mask:0xc
	v_mov_b32_dpp v17, v21 row_shr:8 row_mask:0xf bank_mask:0xc
	v_add_f64 v[18:19], v[20:21], v[16:17]
	v_mov_b32_dpp v16, v14 row_shr:8 row_mask:0xf bank_mask:0xc
	v_mov_b32_dpp v17, v15 row_shr:8 row_mask:0xf bank_mask:0xc
	v_add_f64 v[14:15], v[14:15], v[16:17]
	v_mov_b32_dpp v16, v12 row_bcast:15 row_mask:0xa bank_mask:0xf
	v_mov_b32_dpp v24, v10 row_bcast:15 row_mask:0xa bank_mask:0xf
	;; [unrolled: 1-line block ×8, first 2 shown]
	s_and_b64 exec, exec, vcc
	s_cbranch_execz .LBB236_21
; %bb.17:
	v_cmp_eq_f64_e32 vcc, 0, v[5:6]
	v_cmp_eq_f64_e64 s[0:1], 0, v[7:8]
	v_add_f64 v[10:11], v[10:11], v[24:25]
	v_add_f64 v[16:17], v[12:13], v[16:17]
	;; [unrolled: 1-line block ×4, first 2 shown]
	s_load_dwordx2 s[2:3], s[4:5], 0x48
	s_and_b64 s[0:1], vcc, s[0:1]
	s_and_saveexec_b64 s[4:5], s[0:1]
	s_xor_b64 s[0:1], exec, s[4:5]
	s_cbranch_execz .LBB236_19
; %bb.18:
	v_mul_f64 v[5:6], v[16:17], -v[3:4]
	v_mul_f64 v[7:8], v[1:2], v[16:17]
	v_mul_f64 v[16:17], v[14:15], -v[3:4]
	v_mul_f64 v[14:15], v[1:2], v[14:15]
	v_lshlrev_b32_e32 v9, 1, v9
	s_waitcnt lgkmcnt(0)
	v_mov_b32_e32 v18, s3
	v_fma_f64 v[5:6], v[1:2], v[10:11], v[5:6]
	v_fma_f64 v[7:8], v[3:4], v[10:11], v[7:8]
	;; [unrolled: 1-line block ×4, first 2 shown]
	v_ashrrev_i32_e32 v10, 31, v9
	v_lshlrev_b64 v[9:10], 4, v[9:10]
                                        ; implicit-def: $vgpr16_vgpr17
                                        ; implicit-def: $vgpr12_vgpr13
                                        ; implicit-def: $vgpr14_vgpr15
	v_add_co_u32_e32 v9, vcc, s2, v9
	v_addc_co_u32_e32 v10, vcc, v18, v10, vcc
	global_store_dwordx4 v[9:10], v[5:8], off
	global_store_dwordx4 v[9:10], v[0:3], off offset:16
                                        ; implicit-def: $vgpr9
                                        ; implicit-def: $vgpr10_vgpr11
                                        ; implicit-def: $vgpr7_vgpr8
                                        ; implicit-def: $vgpr3_vgpr4
.LBB236_19:
	s_andn2_saveexec_b64 s[0:1], s[0:1]
	s_cbranch_execz .LBB236_21
; %bb.20:
	v_lshlrev_b32_e32 v18, 1, v9
	v_ashrrev_i32_e32 v19, 31, v18
	v_lshlrev_b64 v[18:19], 4, v[18:19]
	s_waitcnt lgkmcnt(0)
	v_mov_b32_e32 v0, s3
	v_add_co_u32_e32 v26, vcc, s2, v18
	v_addc_co_u32_e32 v27, vcc, v0, v19, vcc
	global_load_dwordx4 v[18:21], v[26:27], off
	global_load_dwordx4 v[22:25], v[26:27], off offset:16
	v_mul_f64 v[28:29], v[16:17], -v[3:4]
	v_mul_f64 v[16:17], v[1:2], v[16:17]
	v_mul_f64 v[30:31], v[14:15], -v[3:4]
	v_mul_f64 v[14:15], v[1:2], v[14:15]
	v_fma_f64 v[28:29], v[1:2], v[10:11], v[28:29]
	v_fma_f64 v[9:10], v[3:4], v[10:11], v[16:17]
	;; [unrolled: 1-line block ×4, first 2 shown]
	s_waitcnt vmcnt(1)
	v_fma_f64 v[11:12], v[5:6], v[18:19], v[28:29]
	v_fma_f64 v[9:10], v[7:8], v[18:19], v[9:10]
	s_waitcnt vmcnt(0)
	v_fma_f64 v[13:14], v[5:6], v[22:23], v[0:1]
	v_fma_f64 v[15:16], v[7:8], v[22:23], v[2:3]
	v_fma_f64 v[0:1], -v[7:8], v[20:21], v[11:12]
	v_fma_f64 v[2:3], v[5:6], v[20:21], v[9:10]
	v_fma_f64 v[7:8], -v[7:8], v[24:25], v[13:14]
	v_fma_f64 v[9:10], v[5:6], v[24:25], v[15:16]
	global_store_dwordx4 v[26:27], v[0:3], off
	global_store_dwordx4 v[26:27], v[7:10], off offset:16
.LBB236_21:
	s_endpgm
	.section	.rodata,"a",@progbits
	.p2align	6, 0x0
	.amdhsa_kernel _ZN9rocsparseL19gebsrmvn_2xn_kernelILj128ELj3ELj32E21rocsparse_complex_numIdEEEvi20rocsparse_direction_NS_24const_host_device_scalarIT2_EEPKiS8_PKS5_SA_S6_PS5_21rocsparse_index_base_b
		.amdhsa_group_segment_fixed_size 0
		.amdhsa_private_segment_fixed_size 0
		.amdhsa_kernarg_size 88
		.amdhsa_user_sgpr_count 6
		.amdhsa_user_sgpr_private_segment_buffer 1
		.amdhsa_user_sgpr_dispatch_ptr 0
		.amdhsa_user_sgpr_queue_ptr 0
		.amdhsa_user_sgpr_kernarg_segment_ptr 1
		.amdhsa_user_sgpr_dispatch_id 0
		.amdhsa_user_sgpr_flat_scratch_init 0
		.amdhsa_user_sgpr_private_segment_size 0
		.amdhsa_uses_dynamic_stack 0
		.amdhsa_system_sgpr_private_segment_wavefront_offset 0
		.amdhsa_system_sgpr_workgroup_id_x 1
		.amdhsa_system_sgpr_workgroup_id_y 0
		.amdhsa_system_sgpr_workgroup_id_z 0
		.amdhsa_system_sgpr_workgroup_info 0
		.amdhsa_system_vgpr_workitem_id 0
		.amdhsa_next_free_vgpr 58
		.amdhsa_next_free_sgpr 16
		.amdhsa_reserve_vcc 1
		.amdhsa_reserve_flat_scratch 0
		.amdhsa_float_round_mode_32 0
		.amdhsa_float_round_mode_16_64 0
		.amdhsa_float_denorm_mode_32 3
		.amdhsa_float_denorm_mode_16_64 3
		.amdhsa_dx10_clamp 1
		.amdhsa_ieee_mode 1
		.amdhsa_fp16_overflow 0
		.amdhsa_exception_fp_ieee_invalid_op 0
		.amdhsa_exception_fp_denorm_src 0
		.amdhsa_exception_fp_ieee_div_zero 0
		.amdhsa_exception_fp_ieee_overflow 0
		.amdhsa_exception_fp_ieee_underflow 0
		.amdhsa_exception_fp_ieee_inexact 0
		.amdhsa_exception_int_div_zero 0
	.end_amdhsa_kernel
	.section	.text._ZN9rocsparseL19gebsrmvn_2xn_kernelILj128ELj3ELj32E21rocsparse_complex_numIdEEEvi20rocsparse_direction_NS_24const_host_device_scalarIT2_EEPKiS8_PKS5_SA_S6_PS5_21rocsparse_index_base_b,"axG",@progbits,_ZN9rocsparseL19gebsrmvn_2xn_kernelILj128ELj3ELj32E21rocsparse_complex_numIdEEEvi20rocsparse_direction_NS_24const_host_device_scalarIT2_EEPKiS8_PKS5_SA_S6_PS5_21rocsparse_index_base_b,comdat
.Lfunc_end236:
	.size	_ZN9rocsparseL19gebsrmvn_2xn_kernelILj128ELj3ELj32E21rocsparse_complex_numIdEEEvi20rocsparse_direction_NS_24const_host_device_scalarIT2_EEPKiS8_PKS5_SA_S6_PS5_21rocsparse_index_base_b, .Lfunc_end236-_ZN9rocsparseL19gebsrmvn_2xn_kernelILj128ELj3ELj32E21rocsparse_complex_numIdEEEvi20rocsparse_direction_NS_24const_host_device_scalarIT2_EEPKiS8_PKS5_SA_S6_PS5_21rocsparse_index_base_b
                                        ; -- End function
	.set _ZN9rocsparseL19gebsrmvn_2xn_kernelILj128ELj3ELj32E21rocsparse_complex_numIdEEEvi20rocsparse_direction_NS_24const_host_device_scalarIT2_EEPKiS8_PKS5_SA_S6_PS5_21rocsparse_index_base_b.num_vgpr, 58
	.set _ZN9rocsparseL19gebsrmvn_2xn_kernelILj128ELj3ELj32E21rocsparse_complex_numIdEEEvi20rocsparse_direction_NS_24const_host_device_scalarIT2_EEPKiS8_PKS5_SA_S6_PS5_21rocsparse_index_base_b.num_agpr, 0
	.set _ZN9rocsparseL19gebsrmvn_2xn_kernelILj128ELj3ELj32E21rocsparse_complex_numIdEEEvi20rocsparse_direction_NS_24const_host_device_scalarIT2_EEPKiS8_PKS5_SA_S6_PS5_21rocsparse_index_base_b.numbered_sgpr, 16
	.set _ZN9rocsparseL19gebsrmvn_2xn_kernelILj128ELj3ELj32E21rocsparse_complex_numIdEEEvi20rocsparse_direction_NS_24const_host_device_scalarIT2_EEPKiS8_PKS5_SA_S6_PS5_21rocsparse_index_base_b.num_named_barrier, 0
	.set _ZN9rocsparseL19gebsrmvn_2xn_kernelILj128ELj3ELj32E21rocsparse_complex_numIdEEEvi20rocsparse_direction_NS_24const_host_device_scalarIT2_EEPKiS8_PKS5_SA_S6_PS5_21rocsparse_index_base_b.private_seg_size, 0
	.set _ZN9rocsparseL19gebsrmvn_2xn_kernelILj128ELj3ELj32E21rocsparse_complex_numIdEEEvi20rocsparse_direction_NS_24const_host_device_scalarIT2_EEPKiS8_PKS5_SA_S6_PS5_21rocsparse_index_base_b.uses_vcc, 1
	.set _ZN9rocsparseL19gebsrmvn_2xn_kernelILj128ELj3ELj32E21rocsparse_complex_numIdEEEvi20rocsparse_direction_NS_24const_host_device_scalarIT2_EEPKiS8_PKS5_SA_S6_PS5_21rocsparse_index_base_b.uses_flat_scratch, 0
	.set _ZN9rocsparseL19gebsrmvn_2xn_kernelILj128ELj3ELj32E21rocsparse_complex_numIdEEEvi20rocsparse_direction_NS_24const_host_device_scalarIT2_EEPKiS8_PKS5_SA_S6_PS5_21rocsparse_index_base_b.has_dyn_sized_stack, 0
	.set _ZN9rocsparseL19gebsrmvn_2xn_kernelILj128ELj3ELj32E21rocsparse_complex_numIdEEEvi20rocsparse_direction_NS_24const_host_device_scalarIT2_EEPKiS8_PKS5_SA_S6_PS5_21rocsparse_index_base_b.has_recursion, 0
	.set _ZN9rocsparseL19gebsrmvn_2xn_kernelILj128ELj3ELj32E21rocsparse_complex_numIdEEEvi20rocsparse_direction_NS_24const_host_device_scalarIT2_EEPKiS8_PKS5_SA_S6_PS5_21rocsparse_index_base_b.has_indirect_call, 0
	.section	.AMDGPU.csdata,"",@progbits
; Kernel info:
; codeLenInByte = 2356
; TotalNumSgprs: 20
; NumVgprs: 58
; ScratchSize: 0
; MemoryBound: 0
; FloatMode: 240
; IeeeMode: 1
; LDSByteSize: 0 bytes/workgroup (compile time only)
; SGPRBlocks: 2
; VGPRBlocks: 14
; NumSGPRsForWavesPerEU: 20
; NumVGPRsForWavesPerEU: 58
; Occupancy: 4
; WaveLimiterHint : 1
; COMPUTE_PGM_RSRC2:SCRATCH_EN: 0
; COMPUTE_PGM_RSRC2:USER_SGPR: 6
; COMPUTE_PGM_RSRC2:TRAP_HANDLER: 0
; COMPUTE_PGM_RSRC2:TGID_X_EN: 1
; COMPUTE_PGM_RSRC2:TGID_Y_EN: 0
; COMPUTE_PGM_RSRC2:TGID_Z_EN: 0
; COMPUTE_PGM_RSRC2:TIDIG_COMP_CNT: 0
	.section	.text._ZN9rocsparseL19gebsrmvn_2xn_kernelILj128ELj3ELj64E21rocsparse_complex_numIdEEEvi20rocsparse_direction_NS_24const_host_device_scalarIT2_EEPKiS8_PKS5_SA_S6_PS5_21rocsparse_index_base_b,"axG",@progbits,_ZN9rocsparseL19gebsrmvn_2xn_kernelILj128ELj3ELj64E21rocsparse_complex_numIdEEEvi20rocsparse_direction_NS_24const_host_device_scalarIT2_EEPKiS8_PKS5_SA_S6_PS5_21rocsparse_index_base_b,comdat
	.globl	_ZN9rocsparseL19gebsrmvn_2xn_kernelILj128ELj3ELj64E21rocsparse_complex_numIdEEEvi20rocsparse_direction_NS_24const_host_device_scalarIT2_EEPKiS8_PKS5_SA_S6_PS5_21rocsparse_index_base_b ; -- Begin function _ZN9rocsparseL19gebsrmvn_2xn_kernelILj128ELj3ELj64E21rocsparse_complex_numIdEEEvi20rocsparse_direction_NS_24const_host_device_scalarIT2_EEPKiS8_PKS5_SA_S6_PS5_21rocsparse_index_base_b
	.p2align	8
	.type	_ZN9rocsparseL19gebsrmvn_2xn_kernelILj128ELj3ELj64E21rocsparse_complex_numIdEEEvi20rocsparse_direction_NS_24const_host_device_scalarIT2_EEPKiS8_PKS5_SA_S6_PS5_21rocsparse_index_base_b,@function
_ZN9rocsparseL19gebsrmvn_2xn_kernelILj128ELj3ELj64E21rocsparse_complex_numIdEEEvi20rocsparse_direction_NS_24const_host_device_scalarIT2_EEPKiS8_PKS5_SA_S6_PS5_21rocsparse_index_base_b: ; @_ZN9rocsparseL19gebsrmvn_2xn_kernelILj128ELj3ELj64E21rocsparse_complex_numIdEEEvi20rocsparse_direction_NS_24const_host_device_scalarIT2_EEPKiS8_PKS5_SA_S6_PS5_21rocsparse_index_base_b
; %bb.0:
	s_load_dwordx2 s[0:1], s[4:5], 0x8
	s_load_dwordx2 s[8:9], s[4:5], 0x38
	s_load_dwordx2 s[2:3], s[4:5], 0x50
	s_add_u32 s7, s4, 8
	s_addc_u32 s10, s5, 0
	s_add_u32 s11, s4, 56
	s_addc_u32 s12, s5, 0
	s_waitcnt lgkmcnt(0)
	s_bitcmp1_b32 s3, 0
	s_cselect_b32 s1, s10, s1
	s_cselect_b32 s0, s7, s0
	v_mov_b32_e32 v1, s0
	v_mov_b32_e32 v2, s1
	flat_load_dwordx4 v[1:4], v[1:2]
	s_cselect_b32 s0, s12, s9
	s_cselect_b32 s1, s11, s8
	v_mov_b32_e32 v5, s1
	v_mov_b32_e32 v6, s0
	flat_load_dwordx4 v[5:8], v[5:6]
	s_waitcnt vmcnt(0) lgkmcnt(0)
	v_cmp_eq_f64_e32 vcc, 0, v[1:2]
	v_cmp_eq_f64_e64 s[0:1], 0, v[3:4]
	s_and_b64 s[10:11], vcc, s[0:1]
	s_mov_b64 s[0:1], -1
	s_and_saveexec_b64 s[8:9], s[10:11]
	s_cbranch_execz .LBB237_2
; %bb.1:
	v_cmp_neq_f64_e32 vcc, 1.0, v[5:6]
	v_cmp_neq_f64_e64 s[0:1], 0, v[7:8]
	s_or_b64 s[0:1], vcc, s[0:1]
	s_orn2_b64 s[0:1], s[0:1], exec
.LBB237_2:
	s_or_b64 exec, exec, s[8:9]
	s_and_saveexec_b64 s[8:9], s[0:1]
	s_cbranch_execz .LBB237_21
; %bb.3:
	s_load_dwordx2 s[0:1], s[4:5], 0x0
	v_lshrrev_b32_e32 v9, 6, v0
	v_lshl_or_b32 v9, s6, 1, v9
	s_waitcnt lgkmcnt(0)
	v_cmp_gt_i32_e32 vcc, s0, v9
	s_and_b64 exec, exec, vcc
	s_cbranch_execz .LBB237_21
; %bb.4:
	s_load_dwordx8 s[8:15], s[4:5], 0x18
	v_ashrrev_i32_e32 v10, 31, v9
	v_lshlrev_b64 v[10:11], 2, v[9:10]
	v_and_b32_e32 v0, 63, v0
	s_cmp_lg_u32 s1, 0
	s_waitcnt lgkmcnt(0)
	v_mov_b32_e32 v12, s9
	v_add_co_u32_e32 v10, vcc, s8, v10
	v_addc_co_u32_e32 v11, vcc, v12, v11, vcc
	global_load_dwordx2 v[10:11], v[10:11], off
	s_waitcnt vmcnt(0)
	v_subrev_u32_e32 v10, s2, v10
	v_subrev_u32_e32 v24, s2, v11
	v_add_u32_e32 v10, v10, v0
	v_cmp_lt_i32_e64 s[0:1], v10, v24
	s_cbranch_scc0 .LBB237_10
; %bb.5:
	v_mov_b32_e32 v16, 0
	v_mov_b32_e32 v18, 0
	;; [unrolled: 1-line block ×8, first 2 shown]
	s_and_saveexec_b64 s[6:7], s[0:1]
	s_cbranch_execz .LBB237_9
; %bb.6:
	v_mul_lo_u32 v20, v10, 6
	v_mov_b32_e32 v16, 0
	v_mov_b32_e32 v18, 0
	v_mov_b32_e32 v12, 0
	v_mov_b32_e32 v14, 0
	v_mov_b32_e32 v17, 0
	s_mov_b64 s[8:9], 0
	v_mov_b32_e32 v11, s11
	v_mov_b32_e32 v21, 0
	;; [unrolled: 1-line block ×8, first 2 shown]
.LBB237_7:                              ; =>This Inner Loop Header: Depth=1
	v_lshlrev_b64 v[27:28], 4, v[20:21]
	v_ashrrev_i32_e32 v23, 31, v22
	v_lshlrev_b64 v[33:34], 2, v[22:23]
	v_add_co_u32_e32 v39, vcc, s12, v27
	v_add_u32_e32 v29, 2, v20
	v_mov_b32_e32 v30, v21
	v_addc_co_u32_e32 v40, vcc, v25, v28, vcc
	v_lshlrev_b64 v[35:36], 4, v[29:30]
	v_add_co_u32_e32 v45, vcc, s10, v33
	v_add_u32_e32 v31, 4, v20
	v_mov_b32_e32 v32, v21
	v_addc_co_u32_e32 v46, vcc, v11, v34, vcc
	v_lshlrev_b64 v[37:38], 4, v[31:32]
	v_add_co_u32_e32 v50, vcc, s12, v35
	v_addc_co_u32_e32 v51, vcc, v25, v36, vcc
	v_add_co_u32_e32 v52, vcc, s12, v37
	global_load_dwordx4 v[27:30], v[39:40], off
	global_load_dwordx4 v[31:34], v[39:40], off offset:16
	v_addc_co_u32_e32 v53, vcc, v25, v38, vcc
	global_load_dword v23, v[45:46], off
	global_load_dwordx4 v[35:38], v[50:51], off
	global_load_dwordx4 v[39:42], v[50:51], off offset:16
	v_mov_b32_e32 v48, v21
	v_mov_b32_e32 v44, v21
	;; [unrolled: 1-line block ×3, first 2 shown]
	v_add_u32_e32 v22, 64, v22
	v_add_u32_e32 v20, 0x180, v20
	s_waitcnt vmcnt(2)
	v_subrev_u32_e32 v23, s2, v23
	v_lshl_add_u32 v47, v23, 1, v23
	v_lshlrev_b64 v[45:46], 4, v[47:48]
	v_add_u32_e32 v43, 1, v47
	v_lshlrev_b64 v[43:44], 4, v[43:44]
	v_add_co_u32_e32 v45, vcc, s14, v45
	v_addc_co_u32_e32 v46, vcc, v26, v46, vcc
	v_add_co_u32_e32 v50, vcc, s14, v43
	v_addc_co_u32_e32 v51, vcc, v26, v44, vcc
	global_load_dwordx4 v[43:46], v[45:46], off
	v_add_u32_e32 v48, 2, v47
	s_waitcnt vmcnt(0)
	v_fma_f64 v[18:19], v[27:28], v[43:44], v[18:19]
	v_fma_f64 v[16:17], v[29:30], v[43:44], v[16:17]
	v_fma_f64 v[12:13], v[31:32], v[43:44], v[12:13]
	v_fma_f64 v[14:15], v[33:34], v[43:44], v[14:15]
	v_fma_f64 v[54:55], -v[29:30], v[45:46], v[18:19]
	v_fma_f64 v[56:57], v[27:28], v[45:46], v[16:17]
	global_load_dwordx4 v[16:19], v[50:51], off
	v_fma_f64 v[43:44], -v[33:34], v[45:46], v[12:13]
	v_fma_f64 v[45:46], v[31:32], v[45:46], v[14:15]
	v_lshlrev_b64 v[31:32], 4, v[48:49]
	global_load_dwordx4 v[27:30], v[52:53], off offset:16
	global_load_dwordx4 v[12:15], v[52:53], off
	v_add_co_u32_e32 v31, vcc, s14, v31
	v_addc_co_u32_e32 v32, vcc, v26, v32, vcc
	global_load_dwordx4 v[31:34], v[31:32], off
	v_cmp_ge_i32_e32 vcc, v22, v24
	s_or_b64 s[8:9], vcc, s[8:9]
	s_waitcnt vmcnt(3)
	v_fma_f64 v[47:48], v[35:36], v[16:17], v[54:55]
	v_fma_f64 v[49:50], v[37:38], v[16:17], v[56:57]
	v_fma_f64 v[43:44], v[39:40], v[16:17], v[43:44]
	v_fma_f64 v[16:17], v[41:42], v[16:17], v[45:46]
	v_fma_f64 v[37:38], -v[37:38], v[18:19], v[47:48]
	v_fma_f64 v[35:36], v[35:36], v[18:19], v[49:50]
	v_fma_f64 v[41:42], -v[41:42], v[18:19], v[43:44]
	v_fma_f64 v[16:17], v[39:40], v[18:19], v[16:17]
	s_waitcnt vmcnt(0)
	v_fma_f64 v[18:19], v[12:13], v[31:32], v[37:38]
	v_fma_f64 v[35:36], v[14:15], v[31:32], v[35:36]
	;; [unrolled: 1-line block ×4, first 2 shown]
	v_fma_f64 v[18:19], -v[14:15], v[33:34], v[18:19]
	v_fma_f64 v[16:17], v[12:13], v[33:34], v[35:36]
	v_fma_f64 v[12:13], -v[29:30], v[33:34], v[37:38]
	v_fma_f64 v[14:15], v[27:28], v[33:34], v[31:32]
	s_andn2_b64 exec, exec, s[8:9]
	s_cbranch_execnz .LBB237_7
; %bb.8:
	s_or_b64 exec, exec, s[8:9]
.LBB237_9:
	s_or_b64 exec, exec, s[6:7]
	s_cbranch_execz .LBB237_11
	s_branch .LBB237_16
.LBB237_10:
                                        ; implicit-def: $vgpr16_vgpr17
                                        ; implicit-def: $vgpr18_vgpr19
                                        ; implicit-def: $vgpr12_vgpr13
                                        ; implicit-def: $vgpr14_vgpr15
.LBB237_11:
	v_mov_b32_e32 v16, 0
	v_mov_b32_e32 v18, 0
	;; [unrolled: 1-line block ×8, first 2 shown]
	s_and_saveexec_b64 s[6:7], s[0:1]
	s_cbranch_execz .LBB237_15
; %bb.12:
	v_mad_u64_u32 v[20:21], s[0:1], v10, 6, 5
	v_mov_b32_e32 v16, 0
	v_mov_b32_e32 v18, 0
	;; [unrolled: 1-line block ×5, first 2 shown]
	s_mov_b64 s[0:1], 0
	v_mov_b32_e32 v25, s11
	v_mov_b32_e32 v23, 0
	;; [unrolled: 1-line block ×7, first 2 shown]
.LBB237_13:                             ; =>This Inner Loop Header: Depth=1
	v_ashrrev_i32_e32 v11, 31, v10
	v_lshlrev_b64 v[30:31], 2, v[10:11]
	v_add_u32_e32 v22, -5, v20
	v_lshlrev_b64 v[32:33], 4, v[22:23]
	v_add_co_u32_e32 v36, vcc, s10, v30
	v_add_u32_e32 v28, -2, v20
	v_mov_b32_e32 v29, v23
	v_addc_co_u32_e32 v37, vcc, v25, v31, vcc
	v_lshlrev_b64 v[28:29], 4, v[28:29]
	v_add_co_u32_e32 v38, vcc, s12, v32
	v_addc_co_u32_e32 v39, vcc, v26, v33, vcc
	v_add_co_u32_e32 v42, vcc, s12, v28
	v_addc_co_u32_e32 v43, vcc, v26, v29, vcc
	global_load_dword v11, v[36:37], off
	global_load_dwordx4 v[28:31], v[38:39], off
	global_load_dwordx4 v[32:35], v[38:39], off offset:16
	v_mov_b32_e32 v21, v23
	v_lshlrev_b64 v[21:22], 4, v[20:21]
	v_mov_b32_e32 v41, v23
	v_add_co_u32_e32 v21, vcc, s12, v21
	v_addc_co_u32_e32 v22, vcc, v26, v22, vcc
	v_add_u32_e32 v10, 64, v10
	s_waitcnt vmcnt(2)
	v_subrev_u32_e32 v11, s2, v11
	v_lshl_add_u32 v40, v11, 1, v11
	v_lshlrev_b64 v[36:37], 4, v[40:41]
	v_add_co_u32_e32 v36, vcc, s14, v36
	v_addc_co_u32_e32 v37, vcc, v27, v37, vcc
	global_load_dwordx4 v[36:39], v[36:37], off
	s_waitcnt vmcnt(0)
	v_fma_f64 v[18:19], v[28:29], v[36:37], v[18:19]
	v_fma_f64 v[16:17], v[30:31], v[36:37], v[16:17]
	v_fma_f64 v[44:45], -v[30:31], v[38:39], v[18:19]
	v_fma_f64 v[46:47], v[28:29], v[38:39], v[16:17]
	global_load_dwordx4 v[16:19], v[42:43], off
	global_load_dwordx4 v[28:31], v[21:22], off
	v_add_u32_e32 v22, 1, v40
	s_waitcnt vmcnt(1)
	v_fma_f64 v[11:12], v[16:17], v[36:37], v[12:13]
	v_fma_f64 v[13:14], v[18:19], v[36:37], v[14:15]
	v_fma_f64 v[36:37], -v[18:19], v[38:39], v[11:12]
	v_lshlrev_b64 v[11:12], 4, v[22:23]
	v_fma_f64 v[38:39], v[16:17], v[38:39], v[13:14]
	v_add_co_u32_e32 v11, vcc, s14, v11
	v_addc_co_u32_e32 v12, vcc, v27, v12, vcc
	global_load_dwordx4 v[11:14], v[11:12], off
	v_add_u32_e32 v22, -1, v20
	v_lshlrev_b64 v[15:16], 4, v[22:23]
	v_add_u32_e32 v22, -3, v20
	v_add_co_u32_e32 v15, vcc, s12, v15
	v_addc_co_u32_e32 v16, vcc, v26, v16, vcc
	v_lshlrev_b64 v[41:42], 4, v[22:23]
	v_add_u32_e32 v22, 2, v40
	v_lshlrev_b64 v[21:22], 4, v[22:23]
	v_add_u32_e32 v20, 0x180, v20
	s_waitcnt vmcnt(0)
	v_fma_f64 v[17:18], v[32:33], v[11:12], v[44:45]
	v_fma_f64 v[43:44], v[34:35], v[11:12], v[46:47]
	v_fma_f64 v[45:46], -v[34:35], v[13:14], v[17:18]
	global_load_dwordx4 v[15:18], v[15:16], off
	v_fma_f64 v[43:44], v[32:33], v[13:14], v[43:44]
	v_add_co_u32_e32 v32, vcc, s12, v41
	v_addc_co_u32_e32 v33, vcc, v26, v42, vcc
	global_load_dwordx4 v[32:35], v[32:33], off
	v_add_co_u32_e32 v21, vcc, s14, v21
	v_addc_co_u32_e32 v22, vcc, v27, v22, vcc
	v_cmp_ge_i32_e32 vcc, v10, v24
	s_or_b64 s[0:1], vcc, s[0:1]
	s_waitcnt vmcnt(1)
	v_fma_f64 v[36:37], v[15:16], v[11:12], v[36:37]
	v_fma_f64 v[11:12], v[17:18], v[11:12], v[38:39]
	v_fma_f64 v[17:18], -v[17:18], v[13:14], v[36:37]
	v_fma_f64 v[36:37], v[15:16], v[13:14], v[11:12]
	global_load_dwordx4 v[12:15], v[21:22], off
	s_waitcnt vmcnt(0)
	v_fma_f64 v[21:22], v[32:33], v[12:13], v[45:46]
	v_fma_f64 v[38:39], v[34:35], v[12:13], v[43:44]
	;; [unrolled: 1-line block ×4, first 2 shown]
	v_fma_f64 v[18:19], -v[34:35], v[14:15], v[21:22]
	v_fma_f64 v[16:17], v[32:33], v[14:15], v[38:39]
	v_fma_f64 v[12:13], -v[30:31], v[14:15], v[40:41]
	v_fma_f64 v[14:15], v[28:29], v[14:15], v[36:37]
	s_andn2_b64 exec, exec, s[0:1]
	s_cbranch_execnz .LBB237_13
; %bb.14:
	s_or_b64 exec, exec, s[0:1]
.LBB237_15:
	s_or_b64 exec, exec, s[6:7]
.LBB237_16:
	v_mov_b32_dpp v10, v18 row_shr:1 row_mask:0xf bank_mask:0xf
	v_mov_b32_dpp v11, v19 row_shr:1 row_mask:0xf bank_mask:0xf
	v_add_f64 v[10:11], v[18:19], v[10:11]
	v_mov_b32_dpp v18, v16 row_shr:1 row_mask:0xf bank_mask:0xf
	v_mov_b32_dpp v19, v17 row_shr:1 row_mask:0xf bank_mask:0xf
	v_add_f64 v[16:17], v[16:17], v[18:19]
	v_mov_b32_dpp v20, v14 row_shr:1 row_mask:0xf bank_mask:0xf
	v_mov_b32_dpp v21, v15 row_shr:1 row_mask:0xf bank_mask:0xf
	v_add_f64 v[14:15], v[14:15], v[20:21]
	v_cmp_eq_u32_e32 vcc, 63, v0
	v_mov_b32_dpp v18, v10 row_shr:2 row_mask:0xf bank_mask:0xf
	v_mov_b32_dpp v19, v11 row_shr:2 row_mask:0xf bank_mask:0xf
	v_add_f64 v[10:11], v[10:11], v[18:19]
	v_mov_b32_dpp v18, v12 row_shr:1 row_mask:0xf bank_mask:0xf
	v_mov_b32_dpp v19, v13 row_shr:1 row_mask:0xf bank_mask:0xf
	v_add_f64 v[12:13], v[12:13], v[18:19]
	v_mov_b32_dpp v18, v16 row_shr:2 row_mask:0xf bank_mask:0xf
	v_mov_b32_dpp v19, v10 row_shr:4 row_mask:0xf bank_mask:0xe
	v_mov_b32_dpp v20, v11 row_shr:4 row_mask:0xf bank_mask:0xe
	v_add_f64 v[10:11], v[10:11], v[19:20]
	v_mov_b32_dpp v19, v17 row_shr:2 row_mask:0xf bank_mask:0xf
	;; [unrolled: 4-line block ×3, first 2 shown]
	v_add_f64 v[12:13], v[12:13], v[20:21]
	v_mov_b32_dpp v19, v15 row_shr:2 row_mask:0xf bank_mask:0xf
	v_add_f64 v[14:15], v[14:15], v[18:19]
	v_mov_b32_dpp v20, v10 row_shr:8 row_mask:0xf bank_mask:0xc
	v_mov_b32_dpp v21, v11 row_shr:8 row_mask:0xf bank_mask:0xc
	v_add_f64 v[10:11], v[10:11], v[20:21]
	v_mov_b32_dpp v18, v16 row_shr:4 row_mask:0xf bank_mask:0xe
	v_mov_b32_dpp v19, v17 row_shr:4 row_mask:0xf bank_mask:0xe
	;; [unrolled: 1-line block ×3, first 2 shown]
	v_add_f64 v[16:17], v[16:17], v[18:19]
	v_mov_b32_dpp v21, v13 row_shr:4 row_mask:0xf bank_mask:0xe
	v_add_f64 v[12:13], v[12:13], v[20:21]
	v_mov_b32_dpp v19, v14 row_shr:4 row_mask:0xf bank_mask:0xe
	v_mov_b32_dpp v20, v15 row_shr:4 row_mask:0xf bank_mask:0xe
	v_add_f64 v[14:15], v[14:15], v[19:20]
	v_mov_b32_dpp v18, v10 row_bcast:15 row_mask:0xa bank_mask:0xf
	v_mov_b32_dpp v19, v11 row_bcast:15 row_mask:0xa bank_mask:0xf
	v_mov_b32_dpp v20, v16 row_shr:8 row_mask:0xf bank_mask:0xc
	v_mov_b32_dpp v21, v17 row_shr:8 row_mask:0xf bank_mask:0xc
	v_add_f64 v[16:17], v[16:17], v[20:21]
	v_mov_b32_dpp v20, v12 row_shr:8 row_mask:0xf bank_mask:0xc
	v_mov_b32_dpp v21, v13 row_shr:8 row_mask:0xf bank_mask:0xc
	v_add_f64 v[20:21], v[12:13], v[20:21]
	;; [unrolled: 3-line block ×3, first 2 shown]
	v_add_f64 v[10:11], v[10:11], v[18:19]
	v_mov_b32_dpp v12, v16 row_bcast:15 row_mask:0xa bank_mask:0xf
	v_mov_b32_dpp v13, v17 row_bcast:15 row_mask:0xa bank_mask:0xf
	v_add_f64 v[12:13], v[16:17], v[12:13]
	v_mov_b32_dpp v16, v20 row_bcast:15 row_mask:0xa bank_mask:0xf
	v_mov_b32_dpp v17, v21 row_bcast:15 row_mask:0xa bank_mask:0xf
	v_add_f64 v[18:19], v[20:21], v[16:17]
	v_mov_b32_dpp v16, v14 row_bcast:15 row_mask:0xa bank_mask:0xf
	v_mov_b32_dpp v17, v15 row_bcast:15 row_mask:0xa bank_mask:0xf
	v_add_f64 v[14:15], v[14:15], v[16:17]
	v_mov_b32_dpp v24, v10 row_bcast:31 row_mask:0xc bank_mask:0xf
	v_mov_b32_dpp v25, v11 row_bcast:31 row_mask:0xc bank_mask:0xf
	v_mov_b32_dpp v16, v12 row_bcast:31 row_mask:0xc bank_mask:0xf
	v_mov_b32_dpp v17, v13 row_bcast:31 row_mask:0xc bank_mask:0xf
	;; [unrolled: 1-line block ×6, first 2 shown]
	s_and_b64 exec, exec, vcc
	s_cbranch_execz .LBB237_21
; %bb.17:
	v_cmp_eq_f64_e32 vcc, 0, v[5:6]
	v_cmp_eq_f64_e64 s[0:1], 0, v[7:8]
	v_add_f64 v[10:11], v[10:11], v[24:25]
	v_add_f64 v[16:17], v[12:13], v[16:17]
	;; [unrolled: 1-line block ×4, first 2 shown]
	s_load_dwordx2 s[2:3], s[4:5], 0x48
	s_and_b64 s[0:1], vcc, s[0:1]
	s_and_saveexec_b64 s[4:5], s[0:1]
	s_xor_b64 s[0:1], exec, s[4:5]
	s_cbranch_execz .LBB237_19
; %bb.18:
	v_mul_f64 v[5:6], v[16:17], -v[3:4]
	v_mul_f64 v[7:8], v[1:2], v[16:17]
	v_mul_f64 v[16:17], v[14:15], -v[3:4]
	v_mul_f64 v[14:15], v[1:2], v[14:15]
	v_lshlrev_b32_e32 v9, 1, v9
	s_waitcnt lgkmcnt(0)
	v_mov_b32_e32 v18, s3
	v_fma_f64 v[5:6], v[1:2], v[10:11], v[5:6]
	v_fma_f64 v[7:8], v[3:4], v[10:11], v[7:8]
	;; [unrolled: 1-line block ×4, first 2 shown]
	v_ashrrev_i32_e32 v10, 31, v9
	v_lshlrev_b64 v[9:10], 4, v[9:10]
                                        ; implicit-def: $vgpr16_vgpr17
                                        ; implicit-def: $vgpr12_vgpr13
                                        ; implicit-def: $vgpr14_vgpr15
	v_add_co_u32_e32 v9, vcc, s2, v9
	v_addc_co_u32_e32 v10, vcc, v18, v10, vcc
	global_store_dwordx4 v[9:10], v[5:8], off
	global_store_dwordx4 v[9:10], v[0:3], off offset:16
                                        ; implicit-def: $vgpr9
                                        ; implicit-def: $vgpr10_vgpr11
                                        ; implicit-def: $vgpr7_vgpr8
                                        ; implicit-def: $vgpr3_vgpr4
.LBB237_19:
	s_andn2_saveexec_b64 s[0:1], s[0:1]
	s_cbranch_execz .LBB237_21
; %bb.20:
	v_lshlrev_b32_e32 v18, 1, v9
	v_ashrrev_i32_e32 v19, 31, v18
	v_lshlrev_b64 v[18:19], 4, v[18:19]
	s_waitcnt lgkmcnt(0)
	v_mov_b32_e32 v0, s3
	v_add_co_u32_e32 v26, vcc, s2, v18
	v_addc_co_u32_e32 v27, vcc, v0, v19, vcc
	global_load_dwordx4 v[18:21], v[26:27], off
	global_load_dwordx4 v[22:25], v[26:27], off offset:16
	v_mul_f64 v[28:29], v[16:17], -v[3:4]
	v_mul_f64 v[16:17], v[1:2], v[16:17]
	v_mul_f64 v[30:31], v[14:15], -v[3:4]
	v_mul_f64 v[14:15], v[1:2], v[14:15]
	v_fma_f64 v[28:29], v[1:2], v[10:11], v[28:29]
	v_fma_f64 v[9:10], v[3:4], v[10:11], v[16:17]
	;; [unrolled: 1-line block ×4, first 2 shown]
	s_waitcnt vmcnt(1)
	v_fma_f64 v[11:12], v[5:6], v[18:19], v[28:29]
	v_fma_f64 v[9:10], v[7:8], v[18:19], v[9:10]
	s_waitcnt vmcnt(0)
	v_fma_f64 v[13:14], v[5:6], v[22:23], v[0:1]
	v_fma_f64 v[15:16], v[7:8], v[22:23], v[2:3]
	v_fma_f64 v[0:1], -v[7:8], v[20:21], v[11:12]
	v_fma_f64 v[2:3], v[5:6], v[20:21], v[9:10]
	v_fma_f64 v[7:8], -v[7:8], v[24:25], v[13:14]
	v_fma_f64 v[9:10], v[5:6], v[24:25], v[15:16]
	global_store_dwordx4 v[26:27], v[0:3], off
	global_store_dwordx4 v[26:27], v[7:10], off offset:16
.LBB237_21:
	s_endpgm
	.section	.rodata,"a",@progbits
	.p2align	6, 0x0
	.amdhsa_kernel _ZN9rocsparseL19gebsrmvn_2xn_kernelILj128ELj3ELj64E21rocsparse_complex_numIdEEEvi20rocsparse_direction_NS_24const_host_device_scalarIT2_EEPKiS8_PKS5_SA_S6_PS5_21rocsparse_index_base_b
		.amdhsa_group_segment_fixed_size 0
		.amdhsa_private_segment_fixed_size 0
		.amdhsa_kernarg_size 88
		.amdhsa_user_sgpr_count 6
		.amdhsa_user_sgpr_private_segment_buffer 1
		.amdhsa_user_sgpr_dispatch_ptr 0
		.amdhsa_user_sgpr_queue_ptr 0
		.amdhsa_user_sgpr_kernarg_segment_ptr 1
		.amdhsa_user_sgpr_dispatch_id 0
		.amdhsa_user_sgpr_flat_scratch_init 0
		.amdhsa_user_sgpr_private_segment_size 0
		.amdhsa_uses_dynamic_stack 0
		.amdhsa_system_sgpr_private_segment_wavefront_offset 0
		.amdhsa_system_sgpr_workgroup_id_x 1
		.amdhsa_system_sgpr_workgroup_id_y 0
		.amdhsa_system_sgpr_workgroup_id_z 0
		.amdhsa_system_sgpr_workgroup_info 0
		.amdhsa_system_vgpr_workitem_id 0
		.amdhsa_next_free_vgpr 58
		.amdhsa_next_free_sgpr 16
		.amdhsa_reserve_vcc 1
		.amdhsa_reserve_flat_scratch 0
		.amdhsa_float_round_mode_32 0
		.amdhsa_float_round_mode_16_64 0
		.amdhsa_float_denorm_mode_32 3
		.amdhsa_float_denorm_mode_16_64 3
		.amdhsa_dx10_clamp 1
		.amdhsa_ieee_mode 1
		.amdhsa_fp16_overflow 0
		.amdhsa_exception_fp_ieee_invalid_op 0
		.amdhsa_exception_fp_denorm_src 0
		.amdhsa_exception_fp_ieee_div_zero 0
		.amdhsa_exception_fp_ieee_overflow 0
		.amdhsa_exception_fp_ieee_underflow 0
		.amdhsa_exception_fp_ieee_inexact 0
		.amdhsa_exception_int_div_zero 0
	.end_amdhsa_kernel
	.section	.text._ZN9rocsparseL19gebsrmvn_2xn_kernelILj128ELj3ELj64E21rocsparse_complex_numIdEEEvi20rocsparse_direction_NS_24const_host_device_scalarIT2_EEPKiS8_PKS5_SA_S6_PS5_21rocsparse_index_base_b,"axG",@progbits,_ZN9rocsparseL19gebsrmvn_2xn_kernelILj128ELj3ELj64E21rocsparse_complex_numIdEEEvi20rocsparse_direction_NS_24const_host_device_scalarIT2_EEPKiS8_PKS5_SA_S6_PS5_21rocsparse_index_base_b,comdat
.Lfunc_end237:
	.size	_ZN9rocsparseL19gebsrmvn_2xn_kernelILj128ELj3ELj64E21rocsparse_complex_numIdEEEvi20rocsparse_direction_NS_24const_host_device_scalarIT2_EEPKiS8_PKS5_SA_S6_PS5_21rocsparse_index_base_b, .Lfunc_end237-_ZN9rocsparseL19gebsrmvn_2xn_kernelILj128ELj3ELj64E21rocsparse_complex_numIdEEEvi20rocsparse_direction_NS_24const_host_device_scalarIT2_EEPKiS8_PKS5_SA_S6_PS5_21rocsparse_index_base_b
                                        ; -- End function
	.set _ZN9rocsparseL19gebsrmvn_2xn_kernelILj128ELj3ELj64E21rocsparse_complex_numIdEEEvi20rocsparse_direction_NS_24const_host_device_scalarIT2_EEPKiS8_PKS5_SA_S6_PS5_21rocsparse_index_base_b.num_vgpr, 58
	.set _ZN9rocsparseL19gebsrmvn_2xn_kernelILj128ELj3ELj64E21rocsparse_complex_numIdEEEvi20rocsparse_direction_NS_24const_host_device_scalarIT2_EEPKiS8_PKS5_SA_S6_PS5_21rocsparse_index_base_b.num_agpr, 0
	.set _ZN9rocsparseL19gebsrmvn_2xn_kernelILj128ELj3ELj64E21rocsparse_complex_numIdEEEvi20rocsparse_direction_NS_24const_host_device_scalarIT2_EEPKiS8_PKS5_SA_S6_PS5_21rocsparse_index_base_b.numbered_sgpr, 16
	.set _ZN9rocsparseL19gebsrmvn_2xn_kernelILj128ELj3ELj64E21rocsparse_complex_numIdEEEvi20rocsparse_direction_NS_24const_host_device_scalarIT2_EEPKiS8_PKS5_SA_S6_PS5_21rocsparse_index_base_b.num_named_barrier, 0
	.set _ZN9rocsparseL19gebsrmvn_2xn_kernelILj128ELj3ELj64E21rocsparse_complex_numIdEEEvi20rocsparse_direction_NS_24const_host_device_scalarIT2_EEPKiS8_PKS5_SA_S6_PS5_21rocsparse_index_base_b.private_seg_size, 0
	.set _ZN9rocsparseL19gebsrmvn_2xn_kernelILj128ELj3ELj64E21rocsparse_complex_numIdEEEvi20rocsparse_direction_NS_24const_host_device_scalarIT2_EEPKiS8_PKS5_SA_S6_PS5_21rocsparse_index_base_b.uses_vcc, 1
	.set _ZN9rocsparseL19gebsrmvn_2xn_kernelILj128ELj3ELj64E21rocsparse_complex_numIdEEEvi20rocsparse_direction_NS_24const_host_device_scalarIT2_EEPKiS8_PKS5_SA_S6_PS5_21rocsparse_index_base_b.uses_flat_scratch, 0
	.set _ZN9rocsparseL19gebsrmvn_2xn_kernelILj128ELj3ELj64E21rocsparse_complex_numIdEEEvi20rocsparse_direction_NS_24const_host_device_scalarIT2_EEPKiS8_PKS5_SA_S6_PS5_21rocsparse_index_base_b.has_dyn_sized_stack, 0
	.set _ZN9rocsparseL19gebsrmvn_2xn_kernelILj128ELj3ELj64E21rocsparse_complex_numIdEEEvi20rocsparse_direction_NS_24const_host_device_scalarIT2_EEPKiS8_PKS5_SA_S6_PS5_21rocsparse_index_base_b.has_recursion, 0
	.set _ZN9rocsparseL19gebsrmvn_2xn_kernelILj128ELj3ELj64E21rocsparse_complex_numIdEEEvi20rocsparse_direction_NS_24const_host_device_scalarIT2_EEPKiS8_PKS5_SA_S6_PS5_21rocsparse_index_base_b.has_indirect_call, 0
	.section	.AMDGPU.csdata,"",@progbits
; Kernel info:
; codeLenInByte = 2452
; TotalNumSgprs: 20
; NumVgprs: 58
; ScratchSize: 0
; MemoryBound: 0
; FloatMode: 240
; IeeeMode: 1
; LDSByteSize: 0 bytes/workgroup (compile time only)
; SGPRBlocks: 2
; VGPRBlocks: 14
; NumSGPRsForWavesPerEU: 20
; NumVGPRsForWavesPerEU: 58
; Occupancy: 4
; WaveLimiterHint : 1
; COMPUTE_PGM_RSRC2:SCRATCH_EN: 0
; COMPUTE_PGM_RSRC2:USER_SGPR: 6
; COMPUTE_PGM_RSRC2:TRAP_HANDLER: 0
; COMPUTE_PGM_RSRC2:TGID_X_EN: 1
; COMPUTE_PGM_RSRC2:TGID_Y_EN: 0
; COMPUTE_PGM_RSRC2:TGID_Z_EN: 0
; COMPUTE_PGM_RSRC2:TIDIG_COMP_CNT: 0
	.section	.text._ZN9rocsparseL19gebsrmvn_2xn_kernelILj128ELj4ELj4E21rocsparse_complex_numIdEEEvi20rocsparse_direction_NS_24const_host_device_scalarIT2_EEPKiS8_PKS5_SA_S6_PS5_21rocsparse_index_base_b,"axG",@progbits,_ZN9rocsparseL19gebsrmvn_2xn_kernelILj128ELj4ELj4E21rocsparse_complex_numIdEEEvi20rocsparse_direction_NS_24const_host_device_scalarIT2_EEPKiS8_PKS5_SA_S6_PS5_21rocsparse_index_base_b,comdat
	.globl	_ZN9rocsparseL19gebsrmvn_2xn_kernelILj128ELj4ELj4E21rocsparse_complex_numIdEEEvi20rocsparse_direction_NS_24const_host_device_scalarIT2_EEPKiS8_PKS5_SA_S6_PS5_21rocsparse_index_base_b ; -- Begin function _ZN9rocsparseL19gebsrmvn_2xn_kernelILj128ELj4ELj4E21rocsparse_complex_numIdEEEvi20rocsparse_direction_NS_24const_host_device_scalarIT2_EEPKiS8_PKS5_SA_S6_PS5_21rocsparse_index_base_b
	.p2align	8
	.type	_ZN9rocsparseL19gebsrmvn_2xn_kernelILj128ELj4ELj4E21rocsparse_complex_numIdEEEvi20rocsparse_direction_NS_24const_host_device_scalarIT2_EEPKiS8_PKS5_SA_S6_PS5_21rocsparse_index_base_b,@function
_ZN9rocsparseL19gebsrmvn_2xn_kernelILj128ELj4ELj4E21rocsparse_complex_numIdEEEvi20rocsparse_direction_NS_24const_host_device_scalarIT2_EEPKiS8_PKS5_SA_S6_PS5_21rocsparse_index_base_b: ; @_ZN9rocsparseL19gebsrmvn_2xn_kernelILj128ELj4ELj4E21rocsparse_complex_numIdEEEvi20rocsparse_direction_NS_24const_host_device_scalarIT2_EEPKiS8_PKS5_SA_S6_PS5_21rocsparse_index_base_b
; %bb.0:
	s_load_dwordx2 s[0:1], s[4:5], 0x8
	s_load_dwordx2 s[8:9], s[4:5], 0x38
	;; [unrolled: 1-line block ×3, first 2 shown]
	s_add_u32 s7, s4, 8
	s_addc_u32 s10, s5, 0
	s_add_u32 s11, s4, 56
	s_addc_u32 s12, s5, 0
	s_waitcnt lgkmcnt(0)
	s_bitcmp1_b32 s3, 0
	s_cselect_b32 s1, s10, s1
	s_cselect_b32 s0, s7, s0
	v_mov_b32_e32 v1, s0
	v_mov_b32_e32 v2, s1
	flat_load_dwordx4 v[1:4], v[1:2]
	s_cselect_b32 s0, s12, s9
	s_cselect_b32 s1, s11, s8
	v_mov_b32_e32 v5, s1
	v_mov_b32_e32 v6, s0
	flat_load_dwordx4 v[5:8], v[5:6]
	s_waitcnt vmcnt(0) lgkmcnt(0)
	v_cmp_eq_f64_e32 vcc, 0, v[1:2]
	v_cmp_eq_f64_e64 s[0:1], 0, v[3:4]
	s_and_b64 s[10:11], vcc, s[0:1]
	s_mov_b64 s[0:1], -1
	s_and_saveexec_b64 s[8:9], s[10:11]
	s_cbranch_execz .LBB238_2
; %bb.1:
	v_cmp_neq_f64_e32 vcc, 1.0, v[5:6]
	v_cmp_neq_f64_e64 s[0:1], 0, v[7:8]
	s_or_b64 s[0:1], vcc, s[0:1]
	s_orn2_b64 s[0:1], s[0:1], exec
.LBB238_2:
	s_or_b64 exec, exec, s[8:9]
	s_and_saveexec_b64 s[8:9], s[0:1]
	s_cbranch_execz .LBB238_21
; %bb.3:
	s_load_dwordx2 s[0:1], s[4:5], 0x0
	v_lshrrev_b32_e32 v9, 2, v0
	v_lshl_or_b32 v9, s6, 5, v9
	s_waitcnt lgkmcnt(0)
	v_cmp_gt_i32_e32 vcc, s0, v9
	s_and_b64 exec, exec, vcc
	s_cbranch_execz .LBB238_21
; %bb.4:
	s_load_dwordx8 s[8:15], s[4:5], 0x18
	v_ashrrev_i32_e32 v10, 31, v9
	v_lshlrev_b64 v[10:11], 2, v[9:10]
	v_and_b32_e32 v0, 3, v0
	s_cmp_lg_u32 s1, 0
	s_waitcnt lgkmcnt(0)
	v_mov_b32_e32 v12, s9
	v_add_co_u32_e32 v10, vcc, s8, v10
	v_addc_co_u32_e32 v11, vcc, v12, v11, vcc
	global_load_dwordx2 v[10:11], v[10:11], off
	s_waitcnt vmcnt(0)
	v_subrev_u32_e32 v10, s2, v10
	v_subrev_u32_e32 v24, s2, v11
	v_add_u32_e32 v10, v10, v0
	v_cmp_lt_i32_e64 s[0:1], v10, v24
	s_cbranch_scc0 .LBB238_10
; %bb.5:
	v_mov_b32_e32 v16, 0
	v_mov_b32_e32 v18, 0
	;; [unrolled: 1-line block ×8, first 2 shown]
	s_and_saveexec_b64 s[6:7], s[0:1]
	s_cbranch_execz .LBB238_9
; %bb.6:
	v_mov_b32_e32 v16, 0
	v_mov_b32_e32 v18, 0
	;; [unrolled: 1-line block ×4, first 2 shown]
	v_lshlrev_b32_e32 v20, 3, v10
	v_mov_b32_e32 v17, 0
	s_mov_b64 s[8:9], 0
	v_mov_b32_e32 v11, s11
	v_mov_b32_e32 v21, 0
	;; [unrolled: 1-line block ×8, first 2 shown]
.LBB238_7:                              ; =>This Inner Loop Header: Depth=1
	v_lshlrev_b64 v[27:28], 4, v[20:21]
	v_ashrrev_i32_e32 v23, 31, v22
	v_lshlrev_b64 v[29:30], 2, v[22:23]
	v_add_co_u32_e32 v35, vcc, s12, v27
	v_addc_co_u32_e32 v36, vcc, v25, v28, vcc
	v_add_co_u32_e32 v33, vcc, s10, v29
	v_addc_co_u32_e32 v34, vcc, v11, v30, vcc
	global_load_dwordx4 v[27:30], v[35:36], off
	global_load_dword v23, v[33:34], off
	v_mov_b32_e32 v32, v21
	v_add_u32_e32 v22, 4, v22
	v_add_u32_e32 v20, 32, v20
	s_waitcnt vmcnt(0)
	v_subrev_u32_e32 v23, s2, v23
	v_lshlrev_b32_e32 v31, 2, v23
	v_lshlrev_b64 v[31:32], 4, v[31:32]
	v_add_co_u32_e32 v37, vcc, s14, v31
	v_addc_co_u32_e32 v38, vcc, v26, v32, vcc
	global_load_dwordx4 v[31:34], v[37:38], off
	v_cmp_ge_i32_e32 vcc, v22, v24
	s_or_b64 s[8:9], vcc, s[8:9]
	s_waitcnt vmcnt(0)
	v_fma_f64 v[18:19], v[27:28], v[31:32], v[18:19]
	v_fma_f64 v[16:17], v[29:30], v[31:32], v[16:17]
	v_fma_f64 v[29:30], -v[29:30], v[33:34], v[18:19]
	v_fma_f64 v[27:28], v[27:28], v[33:34], v[16:17]
	global_load_dwordx4 v[16:19], v[35:36], off offset:16
	s_waitcnt vmcnt(0)
	v_fma_f64 v[14:15], v[16:17], v[31:32], v[14:15]
	v_fma_f64 v[12:13], v[18:19], v[31:32], v[12:13]
	v_fma_f64 v[31:32], -v[18:19], v[33:34], v[14:15]
	v_fma_f64 v[33:34], v[16:17], v[33:34], v[12:13]
	global_load_dwordx4 v[12:15], v[35:36], off offset:32
	global_load_dwordx4 v[16:19], v[37:38], off offset:16
	s_waitcnt vmcnt(0)
	v_fma_f64 v[29:30], v[12:13], v[16:17], v[29:30]
	v_fma_f64 v[27:28], v[14:15], v[16:17], v[27:28]
	v_fma_f64 v[29:30], -v[14:15], v[18:19], v[29:30]
	v_fma_f64 v[27:28], v[12:13], v[18:19], v[27:28]
	global_load_dwordx4 v[12:15], v[35:36], off offset:48
	s_waitcnt vmcnt(0)
	v_fma_f64 v[31:32], v[12:13], v[16:17], v[31:32]
	v_fma_f64 v[16:17], v[14:15], v[16:17], v[33:34]
	v_fma_f64 v[31:32], -v[14:15], v[18:19], v[31:32]
	v_fma_f64 v[33:34], v[12:13], v[18:19], v[16:17]
	global_load_dwordx4 v[12:15], v[35:36], off offset:64
	global_load_dwordx4 v[16:19], v[37:38], off offset:32
	;; [unrolled: 13-line block ×3, first 2 shown]
	global_load_dwordx4 v[31:34], v[37:38], off offset:48
	s_waitcnt vmcnt(0)
	v_fma_f64 v[18:19], v[12:13], v[31:32], v[39:40]
	v_fma_f64 v[35:36], v[14:15], v[31:32], v[41:42]
	;; [unrolled: 1-line block ×4, first 2 shown]
	v_fma_f64 v[18:19], -v[14:15], v[33:34], v[18:19]
	v_fma_f64 v[16:17], v[12:13], v[33:34], v[35:36]
	v_fma_f64 v[14:15], -v[29:30], v[33:34], v[37:38]
	v_fma_f64 v[12:13], v[27:28], v[33:34], v[31:32]
	s_andn2_b64 exec, exec, s[8:9]
	s_cbranch_execnz .LBB238_7
; %bb.8:
	s_or_b64 exec, exec, s[8:9]
.LBB238_9:
	s_or_b64 exec, exec, s[6:7]
	s_cbranch_execz .LBB238_11
	s_branch .LBB238_16
.LBB238_10:
                                        ; implicit-def: $vgpr16_vgpr17
                                        ; implicit-def: $vgpr18_vgpr19
                                        ; implicit-def: $vgpr14_vgpr15
                                        ; implicit-def: $vgpr12_vgpr13
.LBB238_11:
	v_mov_b32_e32 v16, 0
	v_mov_b32_e32 v18, 0
	;; [unrolled: 1-line block ×8, first 2 shown]
	s_and_saveexec_b64 s[6:7], s[0:1]
	s_cbranch_execz .LBB238_15
; %bb.12:
	v_mov_b32_e32 v16, 0
	v_mov_b32_e32 v18, 0
	;; [unrolled: 1-line block ×4, first 2 shown]
	v_lshlrev_b32_e32 v20, 3, v10
	v_mov_b32_e32 v17, 0
	s_mov_b64 s[0:1], 0
	v_mov_b32_e32 v22, s11
	v_mov_b32_e32 v21, 0
	;; [unrolled: 1-line block ×7, first 2 shown]
.LBB238_13:                             ; =>This Inner Loop Header: Depth=1
	v_lshlrev_b64 v[26:27], 4, v[20:21]
	v_ashrrev_i32_e32 v11, 31, v10
	v_lshlrev_b64 v[28:29], 2, v[10:11]
	v_add_co_u32_e32 v42, vcc, s12, v26
	v_addc_co_u32_e32 v43, vcc, v23, v27, vcc
	v_add_co_u32_e32 v36, vcc, s10, v28
	v_addc_co_u32_e32 v37, vcc, v22, v29, vcc
	global_load_dwordx4 v[26:29], v[42:43], off
	global_load_dwordx4 v[30:33], v[42:43], off offset:16
	global_load_dword v11, v[36:37], off
	v_mov_b32_e32 v35, v21
	v_add_u32_e32 v10, 4, v10
	v_add_u32_e32 v20, 32, v20
	s_waitcnt vmcnt(0)
	v_subrev_u32_e32 v11, s2, v11
	v_lshlrev_b32_e32 v34, 2, v11
	v_lshlrev_b64 v[34:35], 4, v[34:35]
	v_add_co_u32_e32 v44, vcc, s14, v34
	v_addc_co_u32_e32 v45, vcc, v25, v35, vcc
	global_load_dwordx4 v[34:37], v[44:45], off
	global_load_dwordx4 v[38:41], v[44:45], off offset:16
	v_cmp_ge_i32_e32 vcc, v10, v24
	s_or_b64 s[0:1], vcc, s[0:1]
	s_waitcnt vmcnt(1)
	v_fma_f64 v[18:19], v[26:27], v[34:35], v[18:19]
	v_fma_f64 v[16:17], v[28:29], v[34:35], v[16:17]
	v_fma_f64 v[46:47], -v[28:29], v[36:37], v[18:19]
	v_fma_f64 v[48:49], v[26:27], v[36:37], v[16:17]
	global_load_dwordx4 v[16:19], v[42:43], off offset:64
	global_load_dwordx4 v[26:29], v[42:43], off offset:80
	s_waitcnt vmcnt(1)
	v_fma_f64 v[14:15], v[16:17], v[34:35], v[14:15]
	v_fma_f64 v[11:12], v[18:19], v[34:35], v[12:13]
	v_fma_f64 v[34:35], -v[18:19], v[36:37], v[14:15]
	v_fma_f64 v[36:37], v[16:17], v[36:37], v[11:12]
	v_fma_f64 v[15:16], v[30:31], v[38:39], v[46:47]
	;; [unrolled: 1-line block ×3, first 2 shown]
	global_load_dwordx4 v[11:14], v[42:43], off offset:32
	v_fma_f64 v[46:47], -v[32:33], v[40:41], v[15:16]
	v_fma_f64 v[48:49], v[30:31], v[40:41], v[17:18]
	s_waitcnt vmcnt(1)
	v_fma_f64 v[30:31], v[26:27], v[38:39], v[34:35]
	v_fma_f64 v[32:33], v[28:29], v[38:39], v[36:37]
	global_load_dwordx4 v[15:18], v[42:43], off offset:48
	v_fma_f64 v[38:39], -v[28:29], v[40:41], v[30:31]
	v_fma_f64 v[40:41], v[26:27], v[40:41], v[32:33]
	global_load_dwordx4 v[26:29], v[44:45], off offset:32
	global_load_dwordx4 v[30:33], v[44:45], off offset:48
	s_waitcnt vmcnt(1)
	v_fma_f64 v[34:35], v[11:12], v[26:27], v[46:47]
	v_fma_f64 v[36:37], v[13:14], v[26:27], v[48:49]
	v_fma_f64 v[44:45], -v[13:14], v[28:29], v[34:35]
	v_fma_f64 v[46:47], v[11:12], v[28:29], v[36:37]
	global_load_dwordx4 v[11:14], v[42:43], off offset:96
	global_load_dwordx4 v[34:37], v[42:43], off offset:112
	s_waitcnt vmcnt(1)
	v_fma_f64 v[38:39], v[11:12], v[26:27], v[38:39]
	v_fma_f64 v[26:27], v[13:14], v[26:27], v[40:41]
	v_fma_f64 v[13:14], -v[13:14], v[28:29], v[38:39]
	v_fma_f64 v[11:12], v[11:12], v[28:29], v[26:27]
	v_fma_f64 v[26:27], v[15:16], v[30:31], v[44:45]
	;; [unrolled: 1-line block ×3, first 2 shown]
	s_waitcnt vmcnt(0)
	v_fma_f64 v[13:14], v[34:35], v[30:31], v[13:14]
	v_fma_f64 v[11:12], v[36:37], v[30:31], v[11:12]
	v_fma_f64 v[18:19], -v[17:18], v[32:33], v[26:27]
	v_fma_f64 v[16:17], v[15:16], v[32:33], v[28:29]
	v_fma_f64 v[14:15], -v[36:37], v[32:33], v[13:14]
	v_fma_f64 v[12:13], v[34:35], v[32:33], v[11:12]
	s_andn2_b64 exec, exec, s[0:1]
	s_cbranch_execnz .LBB238_13
; %bb.14:
	s_or_b64 exec, exec, s[0:1]
.LBB238_15:
	s_or_b64 exec, exec, s[6:7]
.LBB238_16:
	v_mov_b32_dpp v10, v18 row_shr:1 row_mask:0xf bank_mask:0xf
	v_mov_b32_dpp v11, v19 row_shr:1 row_mask:0xf bank_mask:0xf
	v_add_f64 v[10:11], v[18:19], v[10:11]
	v_mov_b32_dpp v18, v16 row_shr:1 row_mask:0xf bank_mask:0xf
	v_mov_b32_dpp v19, v17 row_shr:1 row_mask:0xf bank_mask:0xf
	v_add_f64 v[16:17], v[16:17], v[18:19]
	v_mov_b32_dpp v18, v14 row_shr:1 row_mask:0xf bank_mask:0xf
	v_mov_b32_dpp v19, v15 row_shr:1 row_mask:0xf bank_mask:0xf
	v_add_f64 v[14:15], v[14:15], v[18:19]
	v_mov_b32_dpp v18, v12 row_shr:1 row_mask:0xf bank_mask:0xf
	v_mov_b32_dpp v19, v13 row_shr:1 row_mask:0xf bank_mask:0xf
	v_add_f64 v[18:19], v[12:13], v[18:19]
	v_mov_b32_dpp v24, v10 row_shr:2 row_mask:0xf bank_mask:0xf
	v_mov_b32_dpp v25, v11 row_shr:2 row_mask:0xf bank_mask:0xf
	;; [unrolled: 1-line block ×6, first 2 shown]
	v_cmp_eq_u32_e32 vcc, 3, v0
	v_mov_b32_dpp v20, v18 row_shr:2 row_mask:0xf bank_mask:0xf
	v_mov_b32_dpp v21, v19 row_shr:2 row_mask:0xf bank_mask:0xf
	s_and_b64 exec, exec, vcc
	s_cbranch_execz .LBB238_21
; %bb.17:
	v_cmp_eq_f64_e32 vcc, 0, v[5:6]
	v_cmp_eq_f64_e64 s[0:1], 0, v[7:8]
	v_add_f64 v[10:11], v[10:11], v[24:25]
	v_add_f64 v[16:17], v[16:17], v[22:23]
	;; [unrolled: 1-line block ×4, first 2 shown]
	s_load_dwordx2 s[2:3], s[4:5], 0x48
	s_and_b64 s[0:1], vcc, s[0:1]
	s_and_saveexec_b64 s[4:5], s[0:1]
	s_xor_b64 s[0:1], exec, s[4:5]
	s_cbranch_execz .LBB238_19
; %bb.18:
	v_mul_f64 v[5:6], v[16:17], -v[3:4]
	v_mul_f64 v[7:8], v[1:2], v[16:17]
	v_mul_f64 v[16:17], v[14:15], -v[3:4]
	v_mul_f64 v[14:15], v[1:2], v[14:15]
	v_lshlrev_b32_e32 v9, 1, v9
	s_waitcnt lgkmcnt(0)
	v_mov_b32_e32 v18, s3
	v_fma_f64 v[5:6], v[1:2], v[10:11], v[5:6]
	v_fma_f64 v[7:8], v[3:4], v[10:11], v[7:8]
	;; [unrolled: 1-line block ×4, first 2 shown]
	v_ashrrev_i32_e32 v10, 31, v9
	v_lshlrev_b64 v[9:10], 4, v[9:10]
                                        ; implicit-def: $vgpr16_vgpr17
                                        ; implicit-def: $vgpr12_vgpr13
                                        ; implicit-def: $vgpr14_vgpr15
	v_add_co_u32_e32 v9, vcc, s2, v9
	v_addc_co_u32_e32 v10, vcc, v18, v10, vcc
	global_store_dwordx4 v[9:10], v[5:8], off
	global_store_dwordx4 v[9:10], v[0:3], off offset:16
                                        ; implicit-def: $vgpr9
                                        ; implicit-def: $vgpr10_vgpr11
                                        ; implicit-def: $vgpr7_vgpr8
                                        ; implicit-def: $vgpr3_vgpr4
.LBB238_19:
	s_andn2_saveexec_b64 s[0:1], s[0:1]
	s_cbranch_execz .LBB238_21
; %bb.20:
	v_lshlrev_b32_e32 v18, 1, v9
	v_ashrrev_i32_e32 v19, 31, v18
	v_lshlrev_b64 v[18:19], 4, v[18:19]
	s_waitcnt lgkmcnt(0)
	v_mov_b32_e32 v0, s3
	v_add_co_u32_e32 v26, vcc, s2, v18
	v_addc_co_u32_e32 v27, vcc, v0, v19, vcc
	global_load_dwordx4 v[18:21], v[26:27], off
	global_load_dwordx4 v[22:25], v[26:27], off offset:16
	v_mul_f64 v[28:29], v[16:17], -v[3:4]
	v_mul_f64 v[16:17], v[1:2], v[16:17]
	v_mul_f64 v[30:31], v[14:15], -v[3:4]
	v_mul_f64 v[14:15], v[1:2], v[14:15]
	v_fma_f64 v[28:29], v[1:2], v[10:11], v[28:29]
	v_fma_f64 v[9:10], v[3:4], v[10:11], v[16:17]
	v_fma_f64 v[0:1], v[1:2], v[12:13], v[30:31]
	v_fma_f64 v[2:3], v[3:4], v[12:13], v[14:15]
	s_waitcnt vmcnt(1)
	v_fma_f64 v[11:12], v[5:6], v[18:19], v[28:29]
	v_fma_f64 v[9:10], v[7:8], v[18:19], v[9:10]
	s_waitcnt vmcnt(0)
	v_fma_f64 v[13:14], v[5:6], v[22:23], v[0:1]
	v_fma_f64 v[15:16], v[7:8], v[22:23], v[2:3]
	v_fma_f64 v[0:1], -v[7:8], v[20:21], v[11:12]
	v_fma_f64 v[2:3], v[5:6], v[20:21], v[9:10]
	v_fma_f64 v[7:8], -v[7:8], v[24:25], v[13:14]
	v_fma_f64 v[9:10], v[5:6], v[24:25], v[15:16]
	global_store_dwordx4 v[26:27], v[0:3], off
	global_store_dwordx4 v[26:27], v[7:10], off offset:16
.LBB238_21:
	s_endpgm
	.section	.rodata,"a",@progbits
	.p2align	6, 0x0
	.amdhsa_kernel _ZN9rocsparseL19gebsrmvn_2xn_kernelILj128ELj4ELj4E21rocsparse_complex_numIdEEEvi20rocsparse_direction_NS_24const_host_device_scalarIT2_EEPKiS8_PKS5_SA_S6_PS5_21rocsparse_index_base_b
		.amdhsa_group_segment_fixed_size 0
		.amdhsa_private_segment_fixed_size 0
		.amdhsa_kernarg_size 88
		.amdhsa_user_sgpr_count 6
		.amdhsa_user_sgpr_private_segment_buffer 1
		.amdhsa_user_sgpr_dispatch_ptr 0
		.amdhsa_user_sgpr_queue_ptr 0
		.amdhsa_user_sgpr_kernarg_segment_ptr 1
		.amdhsa_user_sgpr_dispatch_id 0
		.amdhsa_user_sgpr_flat_scratch_init 0
		.amdhsa_user_sgpr_private_segment_size 0
		.amdhsa_uses_dynamic_stack 0
		.amdhsa_system_sgpr_private_segment_wavefront_offset 0
		.amdhsa_system_sgpr_workgroup_id_x 1
		.amdhsa_system_sgpr_workgroup_id_y 0
		.amdhsa_system_sgpr_workgroup_id_z 0
		.amdhsa_system_sgpr_workgroup_info 0
		.amdhsa_system_vgpr_workitem_id 0
		.amdhsa_next_free_vgpr 50
		.amdhsa_next_free_sgpr 16
		.amdhsa_reserve_vcc 1
		.amdhsa_reserve_flat_scratch 0
		.amdhsa_float_round_mode_32 0
		.amdhsa_float_round_mode_16_64 0
		.amdhsa_float_denorm_mode_32 3
		.amdhsa_float_denorm_mode_16_64 3
		.amdhsa_dx10_clamp 1
		.amdhsa_ieee_mode 1
		.amdhsa_fp16_overflow 0
		.amdhsa_exception_fp_ieee_invalid_op 0
		.amdhsa_exception_fp_denorm_src 0
		.amdhsa_exception_fp_ieee_div_zero 0
		.amdhsa_exception_fp_ieee_overflow 0
		.amdhsa_exception_fp_ieee_underflow 0
		.amdhsa_exception_fp_ieee_inexact 0
		.amdhsa_exception_int_div_zero 0
	.end_amdhsa_kernel
	.section	.text._ZN9rocsparseL19gebsrmvn_2xn_kernelILj128ELj4ELj4E21rocsparse_complex_numIdEEEvi20rocsparse_direction_NS_24const_host_device_scalarIT2_EEPKiS8_PKS5_SA_S6_PS5_21rocsparse_index_base_b,"axG",@progbits,_ZN9rocsparseL19gebsrmvn_2xn_kernelILj128ELj4ELj4E21rocsparse_complex_numIdEEEvi20rocsparse_direction_NS_24const_host_device_scalarIT2_EEPKiS8_PKS5_SA_S6_PS5_21rocsparse_index_base_b,comdat
.Lfunc_end238:
	.size	_ZN9rocsparseL19gebsrmvn_2xn_kernelILj128ELj4ELj4E21rocsparse_complex_numIdEEEvi20rocsparse_direction_NS_24const_host_device_scalarIT2_EEPKiS8_PKS5_SA_S6_PS5_21rocsparse_index_base_b, .Lfunc_end238-_ZN9rocsparseL19gebsrmvn_2xn_kernelILj128ELj4ELj4E21rocsparse_complex_numIdEEEvi20rocsparse_direction_NS_24const_host_device_scalarIT2_EEPKiS8_PKS5_SA_S6_PS5_21rocsparse_index_base_b
                                        ; -- End function
	.set _ZN9rocsparseL19gebsrmvn_2xn_kernelILj128ELj4ELj4E21rocsparse_complex_numIdEEEvi20rocsparse_direction_NS_24const_host_device_scalarIT2_EEPKiS8_PKS5_SA_S6_PS5_21rocsparse_index_base_b.num_vgpr, 50
	.set _ZN9rocsparseL19gebsrmvn_2xn_kernelILj128ELj4ELj4E21rocsparse_complex_numIdEEEvi20rocsparse_direction_NS_24const_host_device_scalarIT2_EEPKiS8_PKS5_SA_S6_PS5_21rocsparse_index_base_b.num_agpr, 0
	.set _ZN9rocsparseL19gebsrmvn_2xn_kernelILj128ELj4ELj4E21rocsparse_complex_numIdEEEvi20rocsparse_direction_NS_24const_host_device_scalarIT2_EEPKiS8_PKS5_SA_S6_PS5_21rocsparse_index_base_b.numbered_sgpr, 16
	.set _ZN9rocsparseL19gebsrmvn_2xn_kernelILj128ELj4ELj4E21rocsparse_complex_numIdEEEvi20rocsparse_direction_NS_24const_host_device_scalarIT2_EEPKiS8_PKS5_SA_S6_PS5_21rocsparse_index_base_b.num_named_barrier, 0
	.set _ZN9rocsparseL19gebsrmvn_2xn_kernelILj128ELj4ELj4E21rocsparse_complex_numIdEEEvi20rocsparse_direction_NS_24const_host_device_scalarIT2_EEPKiS8_PKS5_SA_S6_PS5_21rocsparse_index_base_b.private_seg_size, 0
	.set _ZN9rocsparseL19gebsrmvn_2xn_kernelILj128ELj4ELj4E21rocsparse_complex_numIdEEEvi20rocsparse_direction_NS_24const_host_device_scalarIT2_EEPKiS8_PKS5_SA_S6_PS5_21rocsparse_index_base_b.uses_vcc, 1
	.set _ZN9rocsparseL19gebsrmvn_2xn_kernelILj128ELj4ELj4E21rocsparse_complex_numIdEEEvi20rocsparse_direction_NS_24const_host_device_scalarIT2_EEPKiS8_PKS5_SA_S6_PS5_21rocsparse_index_base_b.uses_flat_scratch, 0
	.set _ZN9rocsparseL19gebsrmvn_2xn_kernelILj128ELj4ELj4E21rocsparse_complex_numIdEEEvi20rocsparse_direction_NS_24const_host_device_scalarIT2_EEPKiS8_PKS5_SA_S6_PS5_21rocsparse_index_base_b.has_dyn_sized_stack, 0
	.set _ZN9rocsparseL19gebsrmvn_2xn_kernelILj128ELj4ELj4E21rocsparse_complex_numIdEEEvi20rocsparse_direction_NS_24const_host_device_scalarIT2_EEPKiS8_PKS5_SA_S6_PS5_21rocsparse_index_base_b.has_recursion, 0
	.set _ZN9rocsparseL19gebsrmvn_2xn_kernelILj128ELj4ELj4E21rocsparse_complex_numIdEEEvi20rocsparse_direction_NS_24const_host_device_scalarIT2_EEPKiS8_PKS5_SA_S6_PS5_21rocsparse_index_base_b.has_indirect_call, 0
	.section	.AMDGPU.csdata,"",@progbits
; Kernel info:
; codeLenInByte = 2016
; TotalNumSgprs: 20
; NumVgprs: 50
; ScratchSize: 0
; MemoryBound: 1
; FloatMode: 240
; IeeeMode: 1
; LDSByteSize: 0 bytes/workgroup (compile time only)
; SGPRBlocks: 2
; VGPRBlocks: 12
; NumSGPRsForWavesPerEU: 20
; NumVGPRsForWavesPerEU: 50
; Occupancy: 4
; WaveLimiterHint : 1
; COMPUTE_PGM_RSRC2:SCRATCH_EN: 0
; COMPUTE_PGM_RSRC2:USER_SGPR: 6
; COMPUTE_PGM_RSRC2:TRAP_HANDLER: 0
; COMPUTE_PGM_RSRC2:TGID_X_EN: 1
; COMPUTE_PGM_RSRC2:TGID_Y_EN: 0
; COMPUTE_PGM_RSRC2:TGID_Z_EN: 0
; COMPUTE_PGM_RSRC2:TIDIG_COMP_CNT: 0
	.section	.text._ZN9rocsparseL19gebsrmvn_2xn_kernelILj128ELj4ELj8E21rocsparse_complex_numIdEEEvi20rocsparse_direction_NS_24const_host_device_scalarIT2_EEPKiS8_PKS5_SA_S6_PS5_21rocsparse_index_base_b,"axG",@progbits,_ZN9rocsparseL19gebsrmvn_2xn_kernelILj128ELj4ELj8E21rocsparse_complex_numIdEEEvi20rocsparse_direction_NS_24const_host_device_scalarIT2_EEPKiS8_PKS5_SA_S6_PS5_21rocsparse_index_base_b,comdat
	.globl	_ZN9rocsparseL19gebsrmvn_2xn_kernelILj128ELj4ELj8E21rocsparse_complex_numIdEEEvi20rocsparse_direction_NS_24const_host_device_scalarIT2_EEPKiS8_PKS5_SA_S6_PS5_21rocsparse_index_base_b ; -- Begin function _ZN9rocsparseL19gebsrmvn_2xn_kernelILj128ELj4ELj8E21rocsparse_complex_numIdEEEvi20rocsparse_direction_NS_24const_host_device_scalarIT2_EEPKiS8_PKS5_SA_S6_PS5_21rocsparse_index_base_b
	.p2align	8
	.type	_ZN9rocsparseL19gebsrmvn_2xn_kernelILj128ELj4ELj8E21rocsparse_complex_numIdEEEvi20rocsparse_direction_NS_24const_host_device_scalarIT2_EEPKiS8_PKS5_SA_S6_PS5_21rocsparse_index_base_b,@function
_ZN9rocsparseL19gebsrmvn_2xn_kernelILj128ELj4ELj8E21rocsparse_complex_numIdEEEvi20rocsparse_direction_NS_24const_host_device_scalarIT2_EEPKiS8_PKS5_SA_S6_PS5_21rocsparse_index_base_b: ; @_ZN9rocsparseL19gebsrmvn_2xn_kernelILj128ELj4ELj8E21rocsparse_complex_numIdEEEvi20rocsparse_direction_NS_24const_host_device_scalarIT2_EEPKiS8_PKS5_SA_S6_PS5_21rocsparse_index_base_b
; %bb.0:
	s_load_dwordx2 s[0:1], s[4:5], 0x8
	s_load_dwordx2 s[8:9], s[4:5], 0x38
	;; [unrolled: 1-line block ×3, first 2 shown]
	s_add_u32 s7, s4, 8
	s_addc_u32 s10, s5, 0
	s_add_u32 s11, s4, 56
	s_addc_u32 s12, s5, 0
	s_waitcnt lgkmcnt(0)
	s_bitcmp1_b32 s3, 0
	s_cselect_b32 s1, s10, s1
	s_cselect_b32 s0, s7, s0
	v_mov_b32_e32 v1, s0
	v_mov_b32_e32 v2, s1
	flat_load_dwordx4 v[1:4], v[1:2]
	s_cselect_b32 s0, s12, s9
	s_cselect_b32 s1, s11, s8
	v_mov_b32_e32 v5, s1
	v_mov_b32_e32 v6, s0
	flat_load_dwordx4 v[5:8], v[5:6]
	s_waitcnt vmcnt(0) lgkmcnt(0)
	v_cmp_eq_f64_e32 vcc, 0, v[1:2]
	v_cmp_eq_f64_e64 s[0:1], 0, v[3:4]
	s_and_b64 s[10:11], vcc, s[0:1]
	s_mov_b64 s[0:1], -1
	s_and_saveexec_b64 s[8:9], s[10:11]
	s_cbranch_execz .LBB239_2
; %bb.1:
	v_cmp_neq_f64_e32 vcc, 1.0, v[5:6]
	v_cmp_neq_f64_e64 s[0:1], 0, v[7:8]
	s_or_b64 s[0:1], vcc, s[0:1]
	s_orn2_b64 s[0:1], s[0:1], exec
.LBB239_2:
	s_or_b64 exec, exec, s[8:9]
	s_and_saveexec_b64 s[8:9], s[0:1]
	s_cbranch_execz .LBB239_21
; %bb.3:
	s_load_dwordx2 s[0:1], s[4:5], 0x0
	v_lshrrev_b32_e32 v9, 3, v0
	v_lshl_or_b32 v9, s6, 4, v9
	s_waitcnt lgkmcnt(0)
	v_cmp_gt_i32_e32 vcc, s0, v9
	s_and_b64 exec, exec, vcc
	s_cbranch_execz .LBB239_21
; %bb.4:
	s_load_dwordx8 s[8:15], s[4:5], 0x18
	v_ashrrev_i32_e32 v10, 31, v9
	v_lshlrev_b64 v[10:11], 2, v[9:10]
	v_and_b32_e32 v0, 7, v0
	s_cmp_lg_u32 s1, 0
	s_waitcnt lgkmcnt(0)
	v_mov_b32_e32 v12, s9
	v_add_co_u32_e32 v10, vcc, s8, v10
	v_addc_co_u32_e32 v11, vcc, v12, v11, vcc
	global_load_dwordx2 v[10:11], v[10:11], off
	s_waitcnt vmcnt(0)
	v_subrev_u32_e32 v10, s2, v10
	v_subrev_u32_e32 v24, s2, v11
	v_add_u32_e32 v10, v10, v0
	v_cmp_lt_i32_e64 s[0:1], v10, v24
	s_cbranch_scc0 .LBB239_10
; %bb.5:
	v_mov_b32_e32 v16, 0
	v_mov_b32_e32 v18, 0
	;; [unrolled: 1-line block ×8, first 2 shown]
	s_and_saveexec_b64 s[6:7], s[0:1]
	s_cbranch_execz .LBB239_9
; %bb.6:
	v_mov_b32_e32 v16, 0
	v_mov_b32_e32 v18, 0
	;; [unrolled: 1-line block ×4, first 2 shown]
	v_lshlrev_b32_e32 v20, 3, v10
	v_mov_b32_e32 v17, 0
	s_mov_b64 s[8:9], 0
	v_mov_b32_e32 v11, s11
	v_mov_b32_e32 v21, 0
	v_mov_b32_e32 v25, s13
	v_mov_b32_e32 v26, s15
	v_mov_b32_e32 v19, 0
	v_mov_b32_e32 v15, 0
	v_mov_b32_e32 v13, 0
	v_mov_b32_e32 v22, v10
.LBB239_7:                              ; =>This Inner Loop Header: Depth=1
	v_lshlrev_b64 v[27:28], 4, v[20:21]
	v_ashrrev_i32_e32 v23, 31, v22
	v_lshlrev_b64 v[29:30], 2, v[22:23]
	v_add_co_u32_e32 v35, vcc, s12, v27
	v_addc_co_u32_e32 v36, vcc, v25, v28, vcc
	v_add_co_u32_e32 v33, vcc, s10, v29
	v_addc_co_u32_e32 v34, vcc, v11, v30, vcc
	global_load_dwordx4 v[27:30], v[35:36], off
	global_load_dword v23, v[33:34], off
	v_mov_b32_e32 v32, v21
	v_add_u32_e32 v22, 8, v22
	v_add_u32_e32 v20, 64, v20
	s_waitcnt vmcnt(0)
	v_subrev_u32_e32 v23, s2, v23
	v_lshlrev_b32_e32 v31, 2, v23
	v_lshlrev_b64 v[31:32], 4, v[31:32]
	v_add_co_u32_e32 v37, vcc, s14, v31
	v_addc_co_u32_e32 v38, vcc, v26, v32, vcc
	global_load_dwordx4 v[31:34], v[37:38], off
	v_cmp_ge_i32_e32 vcc, v22, v24
	s_or_b64 s[8:9], vcc, s[8:9]
	s_waitcnt vmcnt(0)
	v_fma_f64 v[18:19], v[27:28], v[31:32], v[18:19]
	v_fma_f64 v[16:17], v[29:30], v[31:32], v[16:17]
	v_fma_f64 v[29:30], -v[29:30], v[33:34], v[18:19]
	v_fma_f64 v[27:28], v[27:28], v[33:34], v[16:17]
	global_load_dwordx4 v[16:19], v[35:36], off offset:16
	s_waitcnt vmcnt(0)
	v_fma_f64 v[14:15], v[16:17], v[31:32], v[14:15]
	v_fma_f64 v[12:13], v[18:19], v[31:32], v[12:13]
	v_fma_f64 v[31:32], -v[18:19], v[33:34], v[14:15]
	v_fma_f64 v[33:34], v[16:17], v[33:34], v[12:13]
	global_load_dwordx4 v[12:15], v[35:36], off offset:32
	global_load_dwordx4 v[16:19], v[37:38], off offset:16
	s_waitcnt vmcnt(0)
	v_fma_f64 v[29:30], v[12:13], v[16:17], v[29:30]
	v_fma_f64 v[27:28], v[14:15], v[16:17], v[27:28]
	v_fma_f64 v[29:30], -v[14:15], v[18:19], v[29:30]
	v_fma_f64 v[27:28], v[12:13], v[18:19], v[27:28]
	global_load_dwordx4 v[12:15], v[35:36], off offset:48
	s_waitcnt vmcnt(0)
	v_fma_f64 v[31:32], v[12:13], v[16:17], v[31:32]
	v_fma_f64 v[16:17], v[14:15], v[16:17], v[33:34]
	v_fma_f64 v[31:32], -v[14:15], v[18:19], v[31:32]
	v_fma_f64 v[33:34], v[12:13], v[18:19], v[16:17]
	global_load_dwordx4 v[12:15], v[35:36], off offset:64
	global_load_dwordx4 v[16:19], v[37:38], off offset:32
	;; [unrolled: 13-line block ×3, first 2 shown]
	global_load_dwordx4 v[31:34], v[37:38], off offset:48
	s_waitcnt vmcnt(0)
	v_fma_f64 v[18:19], v[12:13], v[31:32], v[39:40]
	v_fma_f64 v[35:36], v[14:15], v[31:32], v[41:42]
	;; [unrolled: 1-line block ×4, first 2 shown]
	v_fma_f64 v[18:19], -v[14:15], v[33:34], v[18:19]
	v_fma_f64 v[16:17], v[12:13], v[33:34], v[35:36]
	v_fma_f64 v[14:15], -v[29:30], v[33:34], v[37:38]
	v_fma_f64 v[12:13], v[27:28], v[33:34], v[31:32]
	s_andn2_b64 exec, exec, s[8:9]
	s_cbranch_execnz .LBB239_7
; %bb.8:
	s_or_b64 exec, exec, s[8:9]
.LBB239_9:
	s_or_b64 exec, exec, s[6:7]
	s_cbranch_execz .LBB239_11
	s_branch .LBB239_16
.LBB239_10:
                                        ; implicit-def: $vgpr16_vgpr17
                                        ; implicit-def: $vgpr18_vgpr19
                                        ; implicit-def: $vgpr14_vgpr15
                                        ; implicit-def: $vgpr12_vgpr13
.LBB239_11:
	v_mov_b32_e32 v16, 0
	v_mov_b32_e32 v18, 0
	;; [unrolled: 1-line block ×8, first 2 shown]
	s_and_saveexec_b64 s[6:7], s[0:1]
	s_cbranch_execz .LBB239_15
; %bb.12:
	v_mov_b32_e32 v16, 0
	v_mov_b32_e32 v18, 0
	;; [unrolled: 1-line block ×4, first 2 shown]
	v_lshlrev_b32_e32 v20, 3, v10
	v_mov_b32_e32 v17, 0
	s_mov_b64 s[0:1], 0
	v_mov_b32_e32 v22, s11
	v_mov_b32_e32 v21, 0
	;; [unrolled: 1-line block ×7, first 2 shown]
.LBB239_13:                             ; =>This Inner Loop Header: Depth=1
	v_lshlrev_b64 v[26:27], 4, v[20:21]
	v_ashrrev_i32_e32 v11, 31, v10
	v_lshlrev_b64 v[28:29], 2, v[10:11]
	v_add_co_u32_e32 v42, vcc, s12, v26
	v_addc_co_u32_e32 v43, vcc, v23, v27, vcc
	v_add_co_u32_e32 v36, vcc, s10, v28
	v_addc_co_u32_e32 v37, vcc, v22, v29, vcc
	global_load_dwordx4 v[26:29], v[42:43], off
	global_load_dwordx4 v[30:33], v[42:43], off offset:16
	global_load_dword v11, v[36:37], off
	v_mov_b32_e32 v35, v21
	v_add_u32_e32 v10, 8, v10
	v_add_u32_e32 v20, 64, v20
	s_waitcnt vmcnt(0)
	v_subrev_u32_e32 v11, s2, v11
	v_lshlrev_b32_e32 v34, 2, v11
	v_lshlrev_b64 v[34:35], 4, v[34:35]
	v_add_co_u32_e32 v44, vcc, s14, v34
	v_addc_co_u32_e32 v45, vcc, v25, v35, vcc
	global_load_dwordx4 v[34:37], v[44:45], off
	global_load_dwordx4 v[38:41], v[44:45], off offset:16
	v_cmp_ge_i32_e32 vcc, v10, v24
	s_or_b64 s[0:1], vcc, s[0:1]
	s_waitcnt vmcnt(1)
	v_fma_f64 v[18:19], v[26:27], v[34:35], v[18:19]
	v_fma_f64 v[16:17], v[28:29], v[34:35], v[16:17]
	v_fma_f64 v[46:47], -v[28:29], v[36:37], v[18:19]
	v_fma_f64 v[48:49], v[26:27], v[36:37], v[16:17]
	global_load_dwordx4 v[16:19], v[42:43], off offset:64
	global_load_dwordx4 v[26:29], v[42:43], off offset:80
	s_waitcnt vmcnt(1)
	v_fma_f64 v[14:15], v[16:17], v[34:35], v[14:15]
	v_fma_f64 v[11:12], v[18:19], v[34:35], v[12:13]
	v_fma_f64 v[34:35], -v[18:19], v[36:37], v[14:15]
	v_fma_f64 v[36:37], v[16:17], v[36:37], v[11:12]
	v_fma_f64 v[15:16], v[30:31], v[38:39], v[46:47]
	;; [unrolled: 1-line block ×3, first 2 shown]
	global_load_dwordx4 v[11:14], v[42:43], off offset:32
	v_fma_f64 v[46:47], -v[32:33], v[40:41], v[15:16]
	v_fma_f64 v[48:49], v[30:31], v[40:41], v[17:18]
	s_waitcnt vmcnt(1)
	v_fma_f64 v[30:31], v[26:27], v[38:39], v[34:35]
	v_fma_f64 v[32:33], v[28:29], v[38:39], v[36:37]
	global_load_dwordx4 v[15:18], v[42:43], off offset:48
	v_fma_f64 v[38:39], -v[28:29], v[40:41], v[30:31]
	v_fma_f64 v[40:41], v[26:27], v[40:41], v[32:33]
	global_load_dwordx4 v[26:29], v[44:45], off offset:32
	global_load_dwordx4 v[30:33], v[44:45], off offset:48
	s_waitcnt vmcnt(1)
	v_fma_f64 v[34:35], v[11:12], v[26:27], v[46:47]
	v_fma_f64 v[36:37], v[13:14], v[26:27], v[48:49]
	v_fma_f64 v[44:45], -v[13:14], v[28:29], v[34:35]
	v_fma_f64 v[46:47], v[11:12], v[28:29], v[36:37]
	global_load_dwordx4 v[11:14], v[42:43], off offset:96
	global_load_dwordx4 v[34:37], v[42:43], off offset:112
	s_waitcnt vmcnt(1)
	v_fma_f64 v[38:39], v[11:12], v[26:27], v[38:39]
	v_fma_f64 v[26:27], v[13:14], v[26:27], v[40:41]
	v_fma_f64 v[13:14], -v[13:14], v[28:29], v[38:39]
	v_fma_f64 v[11:12], v[11:12], v[28:29], v[26:27]
	v_fma_f64 v[26:27], v[15:16], v[30:31], v[44:45]
	;; [unrolled: 1-line block ×3, first 2 shown]
	s_waitcnt vmcnt(0)
	v_fma_f64 v[13:14], v[34:35], v[30:31], v[13:14]
	v_fma_f64 v[11:12], v[36:37], v[30:31], v[11:12]
	v_fma_f64 v[18:19], -v[17:18], v[32:33], v[26:27]
	v_fma_f64 v[16:17], v[15:16], v[32:33], v[28:29]
	v_fma_f64 v[14:15], -v[36:37], v[32:33], v[13:14]
	v_fma_f64 v[12:13], v[34:35], v[32:33], v[11:12]
	s_andn2_b64 exec, exec, s[0:1]
	s_cbranch_execnz .LBB239_13
; %bb.14:
	s_or_b64 exec, exec, s[0:1]
.LBB239_15:
	s_or_b64 exec, exec, s[6:7]
.LBB239_16:
	v_mov_b32_dpp v10, v18 row_shr:1 row_mask:0xf bank_mask:0xf
	v_mov_b32_dpp v11, v19 row_shr:1 row_mask:0xf bank_mask:0xf
	v_add_f64 v[10:11], v[18:19], v[10:11]
	v_mov_b32_dpp v18, v16 row_shr:1 row_mask:0xf bank_mask:0xf
	v_mov_b32_dpp v19, v17 row_shr:1 row_mask:0xf bank_mask:0xf
	;; [unrolled: 1-line block ×4, first 2 shown]
	v_add_f64 v[16:17], v[16:17], v[18:19]
	v_add_f64 v[14:15], v[14:15], v[20:21]
	v_mov_b32_dpp v20, v12 row_shr:1 row_mask:0xf bank_mask:0xf
	v_mov_b32_dpp v21, v13 row_shr:1 row_mask:0xf bank_mask:0xf
	v_add_f64 v[20:21], v[12:13], v[20:21]
	v_mov_b32_dpp v18, v10 row_shr:2 row_mask:0xf bank_mask:0xf
	v_mov_b32_dpp v19, v11 row_shr:2 row_mask:0xf bank_mask:0xf
	;; [unrolled: 3-line block ×6, first 2 shown]
	v_mov_b32_dpp v16, v12 row_shr:4 row_mask:0xf bank_mask:0xe
	v_mov_b32_dpp v17, v13 row_shr:4 row_mask:0xf bank_mask:0xe
	;; [unrolled: 1-line block ×4, first 2 shown]
	v_cmp_eq_u32_e32 vcc, 7, v0
	v_mov_b32_dpp v20, v14 row_shr:4 row_mask:0xf bank_mask:0xe
	v_mov_b32_dpp v21, v15 row_shr:4 row_mask:0xf bank_mask:0xe
	s_and_b64 exec, exec, vcc
	s_cbranch_execz .LBB239_21
; %bb.17:
	v_cmp_eq_f64_e32 vcc, 0, v[5:6]
	v_cmp_eq_f64_e64 s[0:1], 0, v[7:8]
	v_add_f64 v[10:11], v[10:11], v[24:25]
	v_add_f64 v[16:17], v[12:13], v[16:17]
	;; [unrolled: 1-line block ×4, first 2 shown]
	s_load_dwordx2 s[2:3], s[4:5], 0x48
	s_and_b64 s[0:1], vcc, s[0:1]
	s_and_saveexec_b64 s[4:5], s[0:1]
	s_xor_b64 s[0:1], exec, s[4:5]
	s_cbranch_execz .LBB239_19
; %bb.18:
	v_mul_f64 v[5:6], v[16:17], -v[3:4]
	v_mul_f64 v[7:8], v[1:2], v[16:17]
	v_mul_f64 v[16:17], v[14:15], -v[3:4]
	v_mul_f64 v[14:15], v[1:2], v[14:15]
	v_lshlrev_b32_e32 v9, 1, v9
	s_waitcnt lgkmcnt(0)
	v_mov_b32_e32 v18, s3
	v_fma_f64 v[5:6], v[1:2], v[10:11], v[5:6]
	v_fma_f64 v[7:8], v[3:4], v[10:11], v[7:8]
	;; [unrolled: 1-line block ×4, first 2 shown]
	v_ashrrev_i32_e32 v10, 31, v9
	v_lshlrev_b64 v[9:10], 4, v[9:10]
                                        ; implicit-def: $vgpr16_vgpr17
                                        ; implicit-def: $vgpr12_vgpr13
                                        ; implicit-def: $vgpr14_vgpr15
	v_add_co_u32_e32 v9, vcc, s2, v9
	v_addc_co_u32_e32 v10, vcc, v18, v10, vcc
	global_store_dwordx4 v[9:10], v[5:8], off
	global_store_dwordx4 v[9:10], v[0:3], off offset:16
                                        ; implicit-def: $vgpr9
                                        ; implicit-def: $vgpr10_vgpr11
                                        ; implicit-def: $vgpr7_vgpr8
                                        ; implicit-def: $vgpr3_vgpr4
.LBB239_19:
	s_andn2_saveexec_b64 s[0:1], s[0:1]
	s_cbranch_execz .LBB239_21
; %bb.20:
	v_lshlrev_b32_e32 v18, 1, v9
	v_ashrrev_i32_e32 v19, 31, v18
	v_lshlrev_b64 v[18:19], 4, v[18:19]
	s_waitcnt lgkmcnt(0)
	v_mov_b32_e32 v0, s3
	v_add_co_u32_e32 v26, vcc, s2, v18
	v_addc_co_u32_e32 v27, vcc, v0, v19, vcc
	global_load_dwordx4 v[18:21], v[26:27], off
	global_load_dwordx4 v[22:25], v[26:27], off offset:16
	v_mul_f64 v[28:29], v[16:17], -v[3:4]
	v_mul_f64 v[16:17], v[1:2], v[16:17]
	v_mul_f64 v[30:31], v[14:15], -v[3:4]
	v_mul_f64 v[14:15], v[1:2], v[14:15]
	v_fma_f64 v[28:29], v[1:2], v[10:11], v[28:29]
	v_fma_f64 v[9:10], v[3:4], v[10:11], v[16:17]
	;; [unrolled: 1-line block ×4, first 2 shown]
	s_waitcnt vmcnt(1)
	v_fma_f64 v[11:12], v[5:6], v[18:19], v[28:29]
	v_fma_f64 v[9:10], v[7:8], v[18:19], v[9:10]
	s_waitcnt vmcnt(0)
	v_fma_f64 v[13:14], v[5:6], v[22:23], v[0:1]
	v_fma_f64 v[15:16], v[7:8], v[22:23], v[2:3]
	v_fma_f64 v[0:1], -v[7:8], v[20:21], v[11:12]
	v_fma_f64 v[2:3], v[5:6], v[20:21], v[9:10]
	v_fma_f64 v[7:8], -v[7:8], v[24:25], v[13:14]
	v_fma_f64 v[9:10], v[5:6], v[24:25], v[15:16]
	global_store_dwordx4 v[26:27], v[0:3], off
	global_store_dwordx4 v[26:27], v[7:10], off offset:16
.LBB239_21:
	s_endpgm
	.section	.rodata,"a",@progbits
	.p2align	6, 0x0
	.amdhsa_kernel _ZN9rocsparseL19gebsrmvn_2xn_kernelILj128ELj4ELj8E21rocsparse_complex_numIdEEEvi20rocsparse_direction_NS_24const_host_device_scalarIT2_EEPKiS8_PKS5_SA_S6_PS5_21rocsparse_index_base_b
		.amdhsa_group_segment_fixed_size 0
		.amdhsa_private_segment_fixed_size 0
		.amdhsa_kernarg_size 88
		.amdhsa_user_sgpr_count 6
		.amdhsa_user_sgpr_private_segment_buffer 1
		.amdhsa_user_sgpr_dispatch_ptr 0
		.amdhsa_user_sgpr_queue_ptr 0
		.amdhsa_user_sgpr_kernarg_segment_ptr 1
		.amdhsa_user_sgpr_dispatch_id 0
		.amdhsa_user_sgpr_flat_scratch_init 0
		.amdhsa_user_sgpr_private_segment_size 0
		.amdhsa_uses_dynamic_stack 0
		.amdhsa_system_sgpr_private_segment_wavefront_offset 0
		.amdhsa_system_sgpr_workgroup_id_x 1
		.amdhsa_system_sgpr_workgroup_id_y 0
		.amdhsa_system_sgpr_workgroup_id_z 0
		.amdhsa_system_sgpr_workgroup_info 0
		.amdhsa_system_vgpr_workitem_id 0
		.amdhsa_next_free_vgpr 50
		.amdhsa_next_free_sgpr 16
		.amdhsa_reserve_vcc 1
		.amdhsa_reserve_flat_scratch 0
		.amdhsa_float_round_mode_32 0
		.amdhsa_float_round_mode_16_64 0
		.amdhsa_float_denorm_mode_32 3
		.amdhsa_float_denorm_mode_16_64 3
		.amdhsa_dx10_clamp 1
		.amdhsa_ieee_mode 1
		.amdhsa_fp16_overflow 0
		.amdhsa_exception_fp_ieee_invalid_op 0
		.amdhsa_exception_fp_denorm_src 0
		.amdhsa_exception_fp_ieee_div_zero 0
		.amdhsa_exception_fp_ieee_overflow 0
		.amdhsa_exception_fp_ieee_underflow 0
		.amdhsa_exception_fp_ieee_inexact 0
		.amdhsa_exception_int_div_zero 0
	.end_amdhsa_kernel
	.section	.text._ZN9rocsparseL19gebsrmvn_2xn_kernelILj128ELj4ELj8E21rocsparse_complex_numIdEEEvi20rocsparse_direction_NS_24const_host_device_scalarIT2_EEPKiS8_PKS5_SA_S6_PS5_21rocsparse_index_base_b,"axG",@progbits,_ZN9rocsparseL19gebsrmvn_2xn_kernelILj128ELj4ELj8E21rocsparse_complex_numIdEEEvi20rocsparse_direction_NS_24const_host_device_scalarIT2_EEPKiS8_PKS5_SA_S6_PS5_21rocsparse_index_base_b,comdat
.Lfunc_end239:
	.size	_ZN9rocsparseL19gebsrmvn_2xn_kernelILj128ELj4ELj8E21rocsparse_complex_numIdEEEvi20rocsparse_direction_NS_24const_host_device_scalarIT2_EEPKiS8_PKS5_SA_S6_PS5_21rocsparse_index_base_b, .Lfunc_end239-_ZN9rocsparseL19gebsrmvn_2xn_kernelILj128ELj4ELj8E21rocsparse_complex_numIdEEEvi20rocsparse_direction_NS_24const_host_device_scalarIT2_EEPKiS8_PKS5_SA_S6_PS5_21rocsparse_index_base_b
                                        ; -- End function
	.set _ZN9rocsparseL19gebsrmvn_2xn_kernelILj128ELj4ELj8E21rocsparse_complex_numIdEEEvi20rocsparse_direction_NS_24const_host_device_scalarIT2_EEPKiS8_PKS5_SA_S6_PS5_21rocsparse_index_base_b.num_vgpr, 50
	.set _ZN9rocsparseL19gebsrmvn_2xn_kernelILj128ELj4ELj8E21rocsparse_complex_numIdEEEvi20rocsparse_direction_NS_24const_host_device_scalarIT2_EEPKiS8_PKS5_SA_S6_PS5_21rocsparse_index_base_b.num_agpr, 0
	.set _ZN9rocsparseL19gebsrmvn_2xn_kernelILj128ELj4ELj8E21rocsparse_complex_numIdEEEvi20rocsparse_direction_NS_24const_host_device_scalarIT2_EEPKiS8_PKS5_SA_S6_PS5_21rocsparse_index_base_b.numbered_sgpr, 16
	.set _ZN9rocsparseL19gebsrmvn_2xn_kernelILj128ELj4ELj8E21rocsparse_complex_numIdEEEvi20rocsparse_direction_NS_24const_host_device_scalarIT2_EEPKiS8_PKS5_SA_S6_PS5_21rocsparse_index_base_b.num_named_barrier, 0
	.set _ZN9rocsparseL19gebsrmvn_2xn_kernelILj128ELj4ELj8E21rocsparse_complex_numIdEEEvi20rocsparse_direction_NS_24const_host_device_scalarIT2_EEPKiS8_PKS5_SA_S6_PS5_21rocsparse_index_base_b.private_seg_size, 0
	.set _ZN9rocsparseL19gebsrmvn_2xn_kernelILj128ELj4ELj8E21rocsparse_complex_numIdEEEvi20rocsparse_direction_NS_24const_host_device_scalarIT2_EEPKiS8_PKS5_SA_S6_PS5_21rocsparse_index_base_b.uses_vcc, 1
	.set _ZN9rocsparseL19gebsrmvn_2xn_kernelILj128ELj4ELj8E21rocsparse_complex_numIdEEEvi20rocsparse_direction_NS_24const_host_device_scalarIT2_EEPKiS8_PKS5_SA_S6_PS5_21rocsparse_index_base_b.uses_flat_scratch, 0
	.set _ZN9rocsparseL19gebsrmvn_2xn_kernelILj128ELj4ELj8E21rocsparse_complex_numIdEEEvi20rocsparse_direction_NS_24const_host_device_scalarIT2_EEPKiS8_PKS5_SA_S6_PS5_21rocsparse_index_base_b.has_dyn_sized_stack, 0
	.set _ZN9rocsparseL19gebsrmvn_2xn_kernelILj128ELj4ELj8E21rocsparse_complex_numIdEEEvi20rocsparse_direction_NS_24const_host_device_scalarIT2_EEPKiS8_PKS5_SA_S6_PS5_21rocsparse_index_base_b.has_recursion, 0
	.set _ZN9rocsparseL19gebsrmvn_2xn_kernelILj128ELj4ELj8E21rocsparse_complex_numIdEEEvi20rocsparse_direction_NS_24const_host_device_scalarIT2_EEPKiS8_PKS5_SA_S6_PS5_21rocsparse_index_base_b.has_indirect_call, 0
	.section	.AMDGPU.csdata,"",@progbits
; Kernel info:
; codeLenInByte = 2112
; TotalNumSgprs: 20
; NumVgprs: 50
; ScratchSize: 0
; MemoryBound: 1
; FloatMode: 240
; IeeeMode: 1
; LDSByteSize: 0 bytes/workgroup (compile time only)
; SGPRBlocks: 2
; VGPRBlocks: 12
; NumSGPRsForWavesPerEU: 20
; NumVGPRsForWavesPerEU: 50
; Occupancy: 4
; WaveLimiterHint : 1
; COMPUTE_PGM_RSRC2:SCRATCH_EN: 0
; COMPUTE_PGM_RSRC2:USER_SGPR: 6
; COMPUTE_PGM_RSRC2:TRAP_HANDLER: 0
; COMPUTE_PGM_RSRC2:TGID_X_EN: 1
; COMPUTE_PGM_RSRC2:TGID_Y_EN: 0
; COMPUTE_PGM_RSRC2:TGID_Z_EN: 0
; COMPUTE_PGM_RSRC2:TIDIG_COMP_CNT: 0
	.section	.text._ZN9rocsparseL19gebsrmvn_2xn_kernelILj128ELj4ELj16E21rocsparse_complex_numIdEEEvi20rocsparse_direction_NS_24const_host_device_scalarIT2_EEPKiS8_PKS5_SA_S6_PS5_21rocsparse_index_base_b,"axG",@progbits,_ZN9rocsparseL19gebsrmvn_2xn_kernelILj128ELj4ELj16E21rocsparse_complex_numIdEEEvi20rocsparse_direction_NS_24const_host_device_scalarIT2_EEPKiS8_PKS5_SA_S6_PS5_21rocsparse_index_base_b,comdat
	.globl	_ZN9rocsparseL19gebsrmvn_2xn_kernelILj128ELj4ELj16E21rocsparse_complex_numIdEEEvi20rocsparse_direction_NS_24const_host_device_scalarIT2_EEPKiS8_PKS5_SA_S6_PS5_21rocsparse_index_base_b ; -- Begin function _ZN9rocsparseL19gebsrmvn_2xn_kernelILj128ELj4ELj16E21rocsparse_complex_numIdEEEvi20rocsparse_direction_NS_24const_host_device_scalarIT2_EEPKiS8_PKS5_SA_S6_PS5_21rocsparse_index_base_b
	.p2align	8
	.type	_ZN9rocsparseL19gebsrmvn_2xn_kernelILj128ELj4ELj16E21rocsparse_complex_numIdEEEvi20rocsparse_direction_NS_24const_host_device_scalarIT2_EEPKiS8_PKS5_SA_S6_PS5_21rocsparse_index_base_b,@function
_ZN9rocsparseL19gebsrmvn_2xn_kernelILj128ELj4ELj16E21rocsparse_complex_numIdEEEvi20rocsparse_direction_NS_24const_host_device_scalarIT2_EEPKiS8_PKS5_SA_S6_PS5_21rocsparse_index_base_b: ; @_ZN9rocsparseL19gebsrmvn_2xn_kernelILj128ELj4ELj16E21rocsparse_complex_numIdEEEvi20rocsparse_direction_NS_24const_host_device_scalarIT2_EEPKiS8_PKS5_SA_S6_PS5_21rocsparse_index_base_b
; %bb.0:
	s_load_dwordx2 s[0:1], s[4:5], 0x8
	s_load_dwordx2 s[8:9], s[4:5], 0x38
	;; [unrolled: 1-line block ×3, first 2 shown]
	s_add_u32 s7, s4, 8
	s_addc_u32 s10, s5, 0
	s_add_u32 s11, s4, 56
	s_addc_u32 s12, s5, 0
	s_waitcnt lgkmcnt(0)
	s_bitcmp1_b32 s3, 0
	s_cselect_b32 s1, s10, s1
	s_cselect_b32 s0, s7, s0
	v_mov_b32_e32 v1, s0
	v_mov_b32_e32 v2, s1
	flat_load_dwordx4 v[1:4], v[1:2]
	s_cselect_b32 s0, s12, s9
	s_cselect_b32 s1, s11, s8
	v_mov_b32_e32 v5, s1
	v_mov_b32_e32 v6, s0
	flat_load_dwordx4 v[5:8], v[5:6]
	s_waitcnt vmcnt(0) lgkmcnt(0)
	v_cmp_eq_f64_e32 vcc, 0, v[1:2]
	v_cmp_eq_f64_e64 s[0:1], 0, v[3:4]
	s_and_b64 s[10:11], vcc, s[0:1]
	s_mov_b64 s[0:1], -1
	s_and_saveexec_b64 s[8:9], s[10:11]
	s_cbranch_execz .LBB240_2
; %bb.1:
	v_cmp_neq_f64_e32 vcc, 1.0, v[5:6]
	v_cmp_neq_f64_e64 s[0:1], 0, v[7:8]
	s_or_b64 s[0:1], vcc, s[0:1]
	s_orn2_b64 s[0:1], s[0:1], exec
.LBB240_2:
	s_or_b64 exec, exec, s[8:9]
	s_and_saveexec_b64 s[8:9], s[0:1]
	s_cbranch_execz .LBB240_21
; %bb.3:
	s_load_dwordx2 s[0:1], s[4:5], 0x0
	v_lshrrev_b32_e32 v9, 4, v0
	v_lshl_or_b32 v9, s6, 3, v9
	s_waitcnt lgkmcnt(0)
	v_cmp_gt_i32_e32 vcc, s0, v9
	s_and_b64 exec, exec, vcc
	s_cbranch_execz .LBB240_21
; %bb.4:
	s_load_dwordx8 s[8:15], s[4:5], 0x18
	v_ashrrev_i32_e32 v10, 31, v9
	v_lshlrev_b64 v[10:11], 2, v[9:10]
	v_and_b32_e32 v0, 15, v0
	s_cmp_lg_u32 s1, 0
	s_waitcnt lgkmcnt(0)
	v_mov_b32_e32 v12, s9
	v_add_co_u32_e32 v10, vcc, s8, v10
	v_addc_co_u32_e32 v11, vcc, v12, v11, vcc
	global_load_dwordx2 v[10:11], v[10:11], off
	s_waitcnt vmcnt(0)
	v_subrev_u32_e32 v10, s2, v10
	v_subrev_u32_e32 v24, s2, v11
	v_add_u32_e32 v10, v10, v0
	v_cmp_lt_i32_e64 s[0:1], v10, v24
	s_cbranch_scc0 .LBB240_10
; %bb.5:
	v_mov_b32_e32 v16, 0
	v_mov_b32_e32 v18, 0
	;; [unrolled: 1-line block ×8, first 2 shown]
	s_and_saveexec_b64 s[6:7], s[0:1]
	s_cbranch_execz .LBB240_9
; %bb.6:
	v_mov_b32_e32 v16, 0
	v_mov_b32_e32 v18, 0
	;; [unrolled: 1-line block ×4, first 2 shown]
	v_lshlrev_b32_e32 v20, 3, v10
	v_mov_b32_e32 v17, 0
	s_mov_b64 s[8:9], 0
	v_mov_b32_e32 v11, s11
	v_mov_b32_e32 v21, 0
	;; [unrolled: 1-line block ×8, first 2 shown]
.LBB240_7:                              ; =>This Inner Loop Header: Depth=1
	v_lshlrev_b64 v[27:28], 4, v[20:21]
	v_ashrrev_i32_e32 v23, 31, v22
	v_lshlrev_b64 v[29:30], 2, v[22:23]
	v_add_co_u32_e32 v35, vcc, s12, v27
	v_addc_co_u32_e32 v36, vcc, v25, v28, vcc
	v_add_co_u32_e32 v33, vcc, s10, v29
	v_addc_co_u32_e32 v34, vcc, v11, v30, vcc
	global_load_dwordx4 v[27:30], v[35:36], off
	global_load_dword v23, v[33:34], off
	v_mov_b32_e32 v32, v21
	v_add_u32_e32 v22, 16, v22
	v_add_u32_e32 v20, 0x80, v20
	s_waitcnt vmcnt(0)
	v_subrev_u32_e32 v23, s2, v23
	v_lshlrev_b32_e32 v31, 2, v23
	v_lshlrev_b64 v[31:32], 4, v[31:32]
	v_add_co_u32_e32 v37, vcc, s14, v31
	v_addc_co_u32_e32 v38, vcc, v26, v32, vcc
	global_load_dwordx4 v[31:34], v[37:38], off
	v_cmp_ge_i32_e32 vcc, v22, v24
	s_or_b64 s[8:9], vcc, s[8:9]
	s_waitcnt vmcnt(0)
	v_fma_f64 v[18:19], v[27:28], v[31:32], v[18:19]
	v_fma_f64 v[16:17], v[29:30], v[31:32], v[16:17]
	v_fma_f64 v[29:30], -v[29:30], v[33:34], v[18:19]
	v_fma_f64 v[27:28], v[27:28], v[33:34], v[16:17]
	global_load_dwordx4 v[16:19], v[35:36], off offset:16
	s_waitcnt vmcnt(0)
	v_fma_f64 v[12:13], v[16:17], v[31:32], v[12:13]
	v_fma_f64 v[14:15], v[18:19], v[31:32], v[14:15]
	v_fma_f64 v[31:32], -v[18:19], v[33:34], v[12:13]
	v_fma_f64 v[33:34], v[16:17], v[33:34], v[14:15]
	global_load_dwordx4 v[12:15], v[35:36], off offset:32
	global_load_dwordx4 v[16:19], v[37:38], off offset:16
	s_waitcnt vmcnt(0)
	v_fma_f64 v[29:30], v[12:13], v[16:17], v[29:30]
	v_fma_f64 v[27:28], v[14:15], v[16:17], v[27:28]
	v_fma_f64 v[29:30], -v[14:15], v[18:19], v[29:30]
	v_fma_f64 v[27:28], v[12:13], v[18:19], v[27:28]
	global_load_dwordx4 v[12:15], v[35:36], off offset:48
	s_waitcnt vmcnt(0)
	v_fma_f64 v[31:32], v[12:13], v[16:17], v[31:32]
	v_fma_f64 v[16:17], v[14:15], v[16:17], v[33:34]
	v_fma_f64 v[31:32], -v[14:15], v[18:19], v[31:32]
	v_fma_f64 v[33:34], v[12:13], v[18:19], v[16:17]
	global_load_dwordx4 v[12:15], v[35:36], off offset:64
	global_load_dwordx4 v[16:19], v[37:38], off offset:32
	;; [unrolled: 13-line block ×3, first 2 shown]
	global_load_dwordx4 v[31:34], v[37:38], off offset:48
	s_waitcnt vmcnt(0)
	v_fma_f64 v[18:19], v[12:13], v[31:32], v[39:40]
	v_fma_f64 v[35:36], v[14:15], v[31:32], v[41:42]
	;; [unrolled: 1-line block ×4, first 2 shown]
	v_fma_f64 v[18:19], -v[14:15], v[33:34], v[18:19]
	v_fma_f64 v[16:17], v[12:13], v[33:34], v[35:36]
	v_fma_f64 v[12:13], -v[29:30], v[33:34], v[37:38]
	v_fma_f64 v[14:15], v[27:28], v[33:34], v[31:32]
	s_andn2_b64 exec, exec, s[8:9]
	s_cbranch_execnz .LBB240_7
; %bb.8:
	s_or_b64 exec, exec, s[8:9]
.LBB240_9:
	s_or_b64 exec, exec, s[6:7]
	s_cbranch_execz .LBB240_11
	s_branch .LBB240_16
.LBB240_10:
                                        ; implicit-def: $vgpr16_vgpr17
                                        ; implicit-def: $vgpr18_vgpr19
                                        ; implicit-def: $vgpr12_vgpr13
                                        ; implicit-def: $vgpr14_vgpr15
.LBB240_11:
	v_mov_b32_e32 v16, 0
	v_mov_b32_e32 v18, 0
	v_mov_b32_e32 v12, 0
	v_mov_b32_e32 v14, 0
	v_mov_b32_e32 v17, 0
	v_mov_b32_e32 v19, 0
	v_mov_b32_e32 v13, 0
	v_mov_b32_e32 v15, 0
	s_and_saveexec_b64 s[6:7], s[0:1]
	s_cbranch_execz .LBB240_15
; %bb.12:
	v_mov_b32_e32 v16, 0
	v_mov_b32_e32 v18, 0
	v_mov_b32_e32 v12, 0
	v_mov_b32_e32 v14, 0
	v_lshlrev_b32_e32 v20, 3, v10
	v_mov_b32_e32 v17, 0
	s_mov_b64 s[0:1], 0
	v_mov_b32_e32 v22, s11
	v_mov_b32_e32 v21, 0
	;; [unrolled: 1-line block ×7, first 2 shown]
.LBB240_13:                             ; =>This Inner Loop Header: Depth=1
	v_lshlrev_b64 v[26:27], 4, v[20:21]
	v_ashrrev_i32_e32 v11, 31, v10
	v_lshlrev_b64 v[28:29], 2, v[10:11]
	v_add_co_u32_e32 v42, vcc, s12, v26
	v_addc_co_u32_e32 v43, vcc, v23, v27, vcc
	v_add_co_u32_e32 v36, vcc, s10, v28
	v_addc_co_u32_e32 v37, vcc, v22, v29, vcc
	global_load_dwordx4 v[26:29], v[42:43], off
	global_load_dwordx4 v[30:33], v[42:43], off offset:16
	global_load_dword v11, v[36:37], off
	v_mov_b32_e32 v35, v21
	v_add_u32_e32 v10, 16, v10
	v_add_u32_e32 v20, 0x80, v20
	s_waitcnt vmcnt(0)
	v_subrev_u32_e32 v11, s2, v11
	v_lshlrev_b32_e32 v34, 2, v11
	v_lshlrev_b64 v[34:35], 4, v[34:35]
	v_add_co_u32_e32 v44, vcc, s14, v34
	v_addc_co_u32_e32 v45, vcc, v25, v35, vcc
	global_load_dwordx4 v[34:37], v[44:45], off
	global_load_dwordx4 v[38:41], v[44:45], off offset:16
	v_cmp_ge_i32_e32 vcc, v10, v24
	s_or_b64 s[0:1], vcc, s[0:1]
	s_waitcnt vmcnt(1)
	v_fma_f64 v[18:19], v[26:27], v[34:35], v[18:19]
	v_fma_f64 v[16:17], v[28:29], v[34:35], v[16:17]
	v_fma_f64 v[46:47], -v[28:29], v[36:37], v[18:19]
	v_fma_f64 v[48:49], v[26:27], v[36:37], v[16:17]
	global_load_dwordx4 v[16:19], v[42:43], off offset:64
	global_load_dwordx4 v[26:29], v[42:43], off offset:80
	s_waitcnt vmcnt(1)
	v_fma_f64 v[11:12], v[16:17], v[34:35], v[12:13]
	v_fma_f64 v[13:14], v[18:19], v[34:35], v[14:15]
	v_fma_f64 v[34:35], -v[18:19], v[36:37], v[11:12]
	v_fma_f64 v[36:37], v[16:17], v[36:37], v[13:14]
	v_fma_f64 v[15:16], v[30:31], v[38:39], v[46:47]
	;; [unrolled: 1-line block ×3, first 2 shown]
	global_load_dwordx4 v[11:14], v[42:43], off offset:32
	v_fma_f64 v[46:47], -v[32:33], v[40:41], v[15:16]
	v_fma_f64 v[48:49], v[30:31], v[40:41], v[17:18]
	s_waitcnt vmcnt(1)
	v_fma_f64 v[30:31], v[26:27], v[38:39], v[34:35]
	v_fma_f64 v[32:33], v[28:29], v[38:39], v[36:37]
	global_load_dwordx4 v[15:18], v[42:43], off offset:48
	v_fma_f64 v[38:39], -v[28:29], v[40:41], v[30:31]
	v_fma_f64 v[40:41], v[26:27], v[40:41], v[32:33]
	global_load_dwordx4 v[26:29], v[44:45], off offset:32
	global_load_dwordx4 v[30:33], v[44:45], off offset:48
	s_waitcnt vmcnt(1)
	v_fma_f64 v[34:35], v[11:12], v[26:27], v[46:47]
	v_fma_f64 v[36:37], v[13:14], v[26:27], v[48:49]
	v_fma_f64 v[44:45], -v[13:14], v[28:29], v[34:35]
	v_fma_f64 v[46:47], v[11:12], v[28:29], v[36:37]
	global_load_dwordx4 v[11:14], v[42:43], off offset:96
	global_load_dwordx4 v[34:37], v[42:43], off offset:112
	s_waitcnt vmcnt(1)
	v_fma_f64 v[38:39], v[11:12], v[26:27], v[38:39]
	v_fma_f64 v[26:27], v[13:14], v[26:27], v[40:41]
	v_fma_f64 v[13:14], -v[13:14], v[28:29], v[38:39]
	v_fma_f64 v[11:12], v[11:12], v[28:29], v[26:27]
	v_fma_f64 v[26:27], v[15:16], v[30:31], v[44:45]
	v_fma_f64 v[28:29], v[17:18], v[30:31], v[46:47]
	s_waitcnt vmcnt(0)
	v_fma_f64 v[13:14], v[34:35], v[30:31], v[13:14]
	v_fma_f64 v[30:31], v[36:37], v[30:31], v[11:12]
	v_fma_f64 v[18:19], -v[17:18], v[32:33], v[26:27]
	v_fma_f64 v[16:17], v[15:16], v[32:33], v[28:29]
	v_fma_f64 v[12:13], -v[36:37], v[32:33], v[13:14]
	v_fma_f64 v[14:15], v[34:35], v[32:33], v[30:31]
	s_andn2_b64 exec, exec, s[0:1]
	s_cbranch_execnz .LBB240_13
; %bb.14:
	s_or_b64 exec, exec, s[0:1]
.LBB240_15:
	s_or_b64 exec, exec, s[6:7]
.LBB240_16:
	v_mov_b32_dpp v10, v18 row_shr:1 row_mask:0xf bank_mask:0xf
	v_mov_b32_dpp v11, v19 row_shr:1 row_mask:0xf bank_mask:0xf
	v_add_f64 v[10:11], v[18:19], v[10:11]
	v_mov_b32_dpp v18, v16 row_shr:1 row_mask:0xf bank_mask:0xf
	v_mov_b32_dpp v19, v17 row_shr:1 row_mask:0xf bank_mask:0xf
	;; [unrolled: 1-line block ×3, first 2 shown]
	v_add_f64 v[16:17], v[16:17], v[18:19]
	v_mov_b32_dpp v21, v13 row_shr:1 row_mask:0xf bank_mask:0xf
	v_add_f64 v[12:13], v[12:13], v[20:21]
	v_cmp_eq_u32_e32 vcc, 15, v0
	v_mov_b32_dpp v18, v10 row_shr:2 row_mask:0xf bank_mask:0xf
	v_mov_b32_dpp v19, v11 row_shr:2 row_mask:0xf bank_mask:0xf
	v_add_f64 v[10:11], v[10:11], v[18:19]
	v_mov_b32_dpp v18, v14 row_shr:1 row_mask:0xf bank_mask:0xf
	v_mov_b32_dpp v19, v15 row_shr:1 row_mask:0xf bank_mask:0xf
	v_add_f64 v[14:15], v[14:15], v[18:19]
	;; [unrolled: 3-line block ×4, first 2 shown]
	v_mov_b32_dpp v20, v10 row_shr:4 row_mask:0xf bank_mask:0xe
	v_mov_b32_dpp v12, v14 row_shr:2 row_mask:0xf bank_mask:0xf
	;; [unrolled: 1-line block ×3, first 2 shown]
	v_add_f64 v[14:15], v[14:15], v[12:13]
	v_mov_b32_dpp v12, v16 row_shr:4 row_mask:0xf bank_mask:0xe
	v_mov_b32_dpp v13, v17 row_shr:4 row_mask:0xf bank_mask:0xe
	v_add_f64 v[12:13], v[16:17], v[12:13]
	v_mov_b32_dpp v16, v18 row_shr:4 row_mask:0xf bank_mask:0xe
	v_mov_b32_dpp v17, v19 row_shr:4 row_mask:0xf bank_mask:0xe
	;; [unrolled: 1-line block ×3, first 2 shown]
	v_add_f64 v[18:19], v[18:19], v[16:17]
	v_mov_b32_dpp v16, v14 row_shr:4 row_mask:0xf bank_mask:0xe
	v_mov_b32_dpp v17, v15 row_shr:4 row_mask:0xf bank_mask:0xe
	v_add_f64 v[10:11], v[10:11], v[20:21]
	v_add_f64 v[14:15], v[14:15], v[16:17]
	v_mov_b32_dpp v16, v12 row_shr:8 row_mask:0xf bank_mask:0xc
	v_mov_b32_dpp v17, v13 row_shr:8 row_mask:0xf bank_mask:0xc
	;; [unrolled: 1-line block ×8, first 2 shown]
	s_and_b64 exec, exec, vcc
	s_cbranch_execz .LBB240_21
; %bb.17:
	v_cmp_eq_f64_e32 vcc, 0, v[5:6]
	v_cmp_eq_f64_e64 s[0:1], 0, v[7:8]
	v_add_f64 v[10:11], v[10:11], v[24:25]
	v_add_f64 v[16:17], v[12:13], v[16:17]
	;; [unrolled: 1-line block ×4, first 2 shown]
	s_load_dwordx2 s[2:3], s[4:5], 0x48
	s_and_b64 s[0:1], vcc, s[0:1]
	s_and_saveexec_b64 s[4:5], s[0:1]
	s_xor_b64 s[0:1], exec, s[4:5]
	s_cbranch_execz .LBB240_19
; %bb.18:
	v_mul_f64 v[5:6], v[16:17], -v[3:4]
	v_mul_f64 v[7:8], v[1:2], v[16:17]
	v_mul_f64 v[16:17], v[14:15], -v[3:4]
	v_mul_f64 v[14:15], v[1:2], v[14:15]
	v_lshlrev_b32_e32 v9, 1, v9
	s_waitcnt lgkmcnt(0)
	v_mov_b32_e32 v18, s3
	v_fma_f64 v[5:6], v[1:2], v[10:11], v[5:6]
	v_fma_f64 v[7:8], v[3:4], v[10:11], v[7:8]
	;; [unrolled: 1-line block ×4, first 2 shown]
	v_ashrrev_i32_e32 v10, 31, v9
	v_lshlrev_b64 v[9:10], 4, v[9:10]
                                        ; implicit-def: $vgpr16_vgpr17
                                        ; implicit-def: $vgpr12_vgpr13
                                        ; implicit-def: $vgpr14_vgpr15
	v_add_co_u32_e32 v9, vcc, s2, v9
	v_addc_co_u32_e32 v10, vcc, v18, v10, vcc
	global_store_dwordx4 v[9:10], v[5:8], off
	global_store_dwordx4 v[9:10], v[0:3], off offset:16
                                        ; implicit-def: $vgpr9
                                        ; implicit-def: $vgpr10_vgpr11
                                        ; implicit-def: $vgpr7_vgpr8
                                        ; implicit-def: $vgpr3_vgpr4
.LBB240_19:
	s_andn2_saveexec_b64 s[0:1], s[0:1]
	s_cbranch_execz .LBB240_21
; %bb.20:
	v_lshlrev_b32_e32 v18, 1, v9
	v_ashrrev_i32_e32 v19, 31, v18
	v_lshlrev_b64 v[18:19], 4, v[18:19]
	s_waitcnt lgkmcnt(0)
	v_mov_b32_e32 v0, s3
	v_add_co_u32_e32 v26, vcc, s2, v18
	v_addc_co_u32_e32 v27, vcc, v0, v19, vcc
	global_load_dwordx4 v[18:21], v[26:27], off
	global_load_dwordx4 v[22:25], v[26:27], off offset:16
	v_mul_f64 v[28:29], v[16:17], -v[3:4]
	v_mul_f64 v[16:17], v[1:2], v[16:17]
	v_mul_f64 v[30:31], v[14:15], -v[3:4]
	v_mul_f64 v[14:15], v[1:2], v[14:15]
	v_fma_f64 v[28:29], v[1:2], v[10:11], v[28:29]
	v_fma_f64 v[9:10], v[3:4], v[10:11], v[16:17]
	;; [unrolled: 1-line block ×4, first 2 shown]
	s_waitcnt vmcnt(1)
	v_fma_f64 v[11:12], v[5:6], v[18:19], v[28:29]
	v_fma_f64 v[9:10], v[7:8], v[18:19], v[9:10]
	s_waitcnt vmcnt(0)
	v_fma_f64 v[13:14], v[5:6], v[22:23], v[0:1]
	v_fma_f64 v[15:16], v[7:8], v[22:23], v[2:3]
	v_fma_f64 v[0:1], -v[7:8], v[20:21], v[11:12]
	v_fma_f64 v[2:3], v[5:6], v[20:21], v[9:10]
	v_fma_f64 v[7:8], -v[7:8], v[24:25], v[13:14]
	v_fma_f64 v[9:10], v[5:6], v[24:25], v[15:16]
	global_store_dwordx4 v[26:27], v[0:3], off
	global_store_dwordx4 v[26:27], v[7:10], off offset:16
.LBB240_21:
	s_endpgm
	.section	.rodata,"a",@progbits
	.p2align	6, 0x0
	.amdhsa_kernel _ZN9rocsparseL19gebsrmvn_2xn_kernelILj128ELj4ELj16E21rocsparse_complex_numIdEEEvi20rocsparse_direction_NS_24const_host_device_scalarIT2_EEPKiS8_PKS5_SA_S6_PS5_21rocsparse_index_base_b
		.amdhsa_group_segment_fixed_size 0
		.amdhsa_private_segment_fixed_size 0
		.amdhsa_kernarg_size 88
		.amdhsa_user_sgpr_count 6
		.amdhsa_user_sgpr_private_segment_buffer 1
		.amdhsa_user_sgpr_dispatch_ptr 0
		.amdhsa_user_sgpr_queue_ptr 0
		.amdhsa_user_sgpr_kernarg_segment_ptr 1
		.amdhsa_user_sgpr_dispatch_id 0
		.amdhsa_user_sgpr_flat_scratch_init 0
		.amdhsa_user_sgpr_private_segment_size 0
		.amdhsa_uses_dynamic_stack 0
		.amdhsa_system_sgpr_private_segment_wavefront_offset 0
		.amdhsa_system_sgpr_workgroup_id_x 1
		.amdhsa_system_sgpr_workgroup_id_y 0
		.amdhsa_system_sgpr_workgroup_id_z 0
		.amdhsa_system_sgpr_workgroup_info 0
		.amdhsa_system_vgpr_workitem_id 0
		.amdhsa_next_free_vgpr 50
		.amdhsa_next_free_sgpr 16
		.amdhsa_reserve_vcc 1
		.amdhsa_reserve_flat_scratch 0
		.amdhsa_float_round_mode_32 0
		.amdhsa_float_round_mode_16_64 0
		.amdhsa_float_denorm_mode_32 3
		.amdhsa_float_denorm_mode_16_64 3
		.amdhsa_dx10_clamp 1
		.amdhsa_ieee_mode 1
		.amdhsa_fp16_overflow 0
		.amdhsa_exception_fp_ieee_invalid_op 0
		.amdhsa_exception_fp_denorm_src 0
		.amdhsa_exception_fp_ieee_div_zero 0
		.amdhsa_exception_fp_ieee_overflow 0
		.amdhsa_exception_fp_ieee_underflow 0
		.amdhsa_exception_fp_ieee_inexact 0
		.amdhsa_exception_int_div_zero 0
	.end_amdhsa_kernel
	.section	.text._ZN9rocsparseL19gebsrmvn_2xn_kernelILj128ELj4ELj16E21rocsparse_complex_numIdEEEvi20rocsparse_direction_NS_24const_host_device_scalarIT2_EEPKiS8_PKS5_SA_S6_PS5_21rocsparse_index_base_b,"axG",@progbits,_ZN9rocsparseL19gebsrmvn_2xn_kernelILj128ELj4ELj16E21rocsparse_complex_numIdEEEvi20rocsparse_direction_NS_24const_host_device_scalarIT2_EEPKiS8_PKS5_SA_S6_PS5_21rocsparse_index_base_b,comdat
.Lfunc_end240:
	.size	_ZN9rocsparseL19gebsrmvn_2xn_kernelILj128ELj4ELj16E21rocsparse_complex_numIdEEEvi20rocsparse_direction_NS_24const_host_device_scalarIT2_EEPKiS8_PKS5_SA_S6_PS5_21rocsparse_index_base_b, .Lfunc_end240-_ZN9rocsparseL19gebsrmvn_2xn_kernelILj128ELj4ELj16E21rocsparse_complex_numIdEEEvi20rocsparse_direction_NS_24const_host_device_scalarIT2_EEPKiS8_PKS5_SA_S6_PS5_21rocsparse_index_base_b
                                        ; -- End function
	.set _ZN9rocsparseL19gebsrmvn_2xn_kernelILj128ELj4ELj16E21rocsparse_complex_numIdEEEvi20rocsparse_direction_NS_24const_host_device_scalarIT2_EEPKiS8_PKS5_SA_S6_PS5_21rocsparse_index_base_b.num_vgpr, 50
	.set _ZN9rocsparseL19gebsrmvn_2xn_kernelILj128ELj4ELj16E21rocsparse_complex_numIdEEEvi20rocsparse_direction_NS_24const_host_device_scalarIT2_EEPKiS8_PKS5_SA_S6_PS5_21rocsparse_index_base_b.num_agpr, 0
	.set _ZN9rocsparseL19gebsrmvn_2xn_kernelILj128ELj4ELj16E21rocsparse_complex_numIdEEEvi20rocsparse_direction_NS_24const_host_device_scalarIT2_EEPKiS8_PKS5_SA_S6_PS5_21rocsparse_index_base_b.numbered_sgpr, 16
	.set _ZN9rocsparseL19gebsrmvn_2xn_kernelILj128ELj4ELj16E21rocsparse_complex_numIdEEEvi20rocsparse_direction_NS_24const_host_device_scalarIT2_EEPKiS8_PKS5_SA_S6_PS5_21rocsparse_index_base_b.num_named_barrier, 0
	.set _ZN9rocsparseL19gebsrmvn_2xn_kernelILj128ELj4ELj16E21rocsparse_complex_numIdEEEvi20rocsparse_direction_NS_24const_host_device_scalarIT2_EEPKiS8_PKS5_SA_S6_PS5_21rocsparse_index_base_b.private_seg_size, 0
	.set _ZN9rocsparseL19gebsrmvn_2xn_kernelILj128ELj4ELj16E21rocsparse_complex_numIdEEEvi20rocsparse_direction_NS_24const_host_device_scalarIT2_EEPKiS8_PKS5_SA_S6_PS5_21rocsparse_index_base_b.uses_vcc, 1
	.set _ZN9rocsparseL19gebsrmvn_2xn_kernelILj128ELj4ELj16E21rocsparse_complex_numIdEEEvi20rocsparse_direction_NS_24const_host_device_scalarIT2_EEPKiS8_PKS5_SA_S6_PS5_21rocsparse_index_base_b.uses_flat_scratch, 0
	.set _ZN9rocsparseL19gebsrmvn_2xn_kernelILj128ELj4ELj16E21rocsparse_complex_numIdEEEvi20rocsparse_direction_NS_24const_host_device_scalarIT2_EEPKiS8_PKS5_SA_S6_PS5_21rocsparse_index_base_b.has_dyn_sized_stack, 0
	.set _ZN9rocsparseL19gebsrmvn_2xn_kernelILj128ELj4ELj16E21rocsparse_complex_numIdEEEvi20rocsparse_direction_NS_24const_host_device_scalarIT2_EEPKiS8_PKS5_SA_S6_PS5_21rocsparse_index_base_b.has_recursion, 0
	.set _ZN9rocsparseL19gebsrmvn_2xn_kernelILj128ELj4ELj16E21rocsparse_complex_numIdEEEvi20rocsparse_direction_NS_24const_host_device_scalarIT2_EEPKiS8_PKS5_SA_S6_PS5_21rocsparse_index_base_b.has_indirect_call, 0
	.section	.AMDGPU.csdata,"",@progbits
; Kernel info:
; codeLenInByte = 2216
; TotalNumSgprs: 20
; NumVgprs: 50
; ScratchSize: 0
; MemoryBound: 1
; FloatMode: 240
; IeeeMode: 1
; LDSByteSize: 0 bytes/workgroup (compile time only)
; SGPRBlocks: 2
; VGPRBlocks: 12
; NumSGPRsForWavesPerEU: 20
; NumVGPRsForWavesPerEU: 50
; Occupancy: 4
; WaveLimiterHint : 1
; COMPUTE_PGM_RSRC2:SCRATCH_EN: 0
; COMPUTE_PGM_RSRC2:USER_SGPR: 6
; COMPUTE_PGM_RSRC2:TRAP_HANDLER: 0
; COMPUTE_PGM_RSRC2:TGID_X_EN: 1
; COMPUTE_PGM_RSRC2:TGID_Y_EN: 0
; COMPUTE_PGM_RSRC2:TGID_Z_EN: 0
; COMPUTE_PGM_RSRC2:TIDIG_COMP_CNT: 0
	.section	.text._ZN9rocsparseL19gebsrmvn_2xn_kernelILj128ELj4ELj32E21rocsparse_complex_numIdEEEvi20rocsparse_direction_NS_24const_host_device_scalarIT2_EEPKiS8_PKS5_SA_S6_PS5_21rocsparse_index_base_b,"axG",@progbits,_ZN9rocsparseL19gebsrmvn_2xn_kernelILj128ELj4ELj32E21rocsparse_complex_numIdEEEvi20rocsparse_direction_NS_24const_host_device_scalarIT2_EEPKiS8_PKS5_SA_S6_PS5_21rocsparse_index_base_b,comdat
	.globl	_ZN9rocsparseL19gebsrmvn_2xn_kernelILj128ELj4ELj32E21rocsparse_complex_numIdEEEvi20rocsparse_direction_NS_24const_host_device_scalarIT2_EEPKiS8_PKS5_SA_S6_PS5_21rocsparse_index_base_b ; -- Begin function _ZN9rocsparseL19gebsrmvn_2xn_kernelILj128ELj4ELj32E21rocsparse_complex_numIdEEEvi20rocsparse_direction_NS_24const_host_device_scalarIT2_EEPKiS8_PKS5_SA_S6_PS5_21rocsparse_index_base_b
	.p2align	8
	.type	_ZN9rocsparseL19gebsrmvn_2xn_kernelILj128ELj4ELj32E21rocsparse_complex_numIdEEEvi20rocsparse_direction_NS_24const_host_device_scalarIT2_EEPKiS8_PKS5_SA_S6_PS5_21rocsparse_index_base_b,@function
_ZN9rocsparseL19gebsrmvn_2xn_kernelILj128ELj4ELj32E21rocsparse_complex_numIdEEEvi20rocsparse_direction_NS_24const_host_device_scalarIT2_EEPKiS8_PKS5_SA_S6_PS5_21rocsparse_index_base_b: ; @_ZN9rocsparseL19gebsrmvn_2xn_kernelILj128ELj4ELj32E21rocsparse_complex_numIdEEEvi20rocsparse_direction_NS_24const_host_device_scalarIT2_EEPKiS8_PKS5_SA_S6_PS5_21rocsparse_index_base_b
; %bb.0:
	s_load_dwordx2 s[0:1], s[4:5], 0x8
	s_load_dwordx2 s[8:9], s[4:5], 0x38
	;; [unrolled: 1-line block ×3, first 2 shown]
	s_add_u32 s7, s4, 8
	s_addc_u32 s10, s5, 0
	s_add_u32 s11, s4, 56
	s_addc_u32 s12, s5, 0
	s_waitcnt lgkmcnt(0)
	s_bitcmp1_b32 s3, 0
	s_cselect_b32 s1, s10, s1
	s_cselect_b32 s0, s7, s0
	v_mov_b32_e32 v1, s0
	v_mov_b32_e32 v2, s1
	flat_load_dwordx4 v[1:4], v[1:2]
	s_cselect_b32 s0, s12, s9
	s_cselect_b32 s1, s11, s8
	v_mov_b32_e32 v5, s1
	v_mov_b32_e32 v6, s0
	flat_load_dwordx4 v[5:8], v[5:6]
	s_waitcnt vmcnt(0) lgkmcnt(0)
	v_cmp_eq_f64_e32 vcc, 0, v[1:2]
	v_cmp_eq_f64_e64 s[0:1], 0, v[3:4]
	s_and_b64 s[10:11], vcc, s[0:1]
	s_mov_b64 s[0:1], -1
	s_and_saveexec_b64 s[8:9], s[10:11]
	s_cbranch_execz .LBB241_2
; %bb.1:
	v_cmp_neq_f64_e32 vcc, 1.0, v[5:6]
	v_cmp_neq_f64_e64 s[0:1], 0, v[7:8]
	s_or_b64 s[0:1], vcc, s[0:1]
	s_orn2_b64 s[0:1], s[0:1], exec
.LBB241_2:
	s_or_b64 exec, exec, s[8:9]
	s_and_saveexec_b64 s[8:9], s[0:1]
	s_cbranch_execz .LBB241_21
; %bb.3:
	s_load_dwordx2 s[0:1], s[4:5], 0x0
	v_lshrrev_b32_e32 v9, 5, v0
	v_lshl_or_b32 v9, s6, 2, v9
	s_waitcnt lgkmcnt(0)
	v_cmp_gt_i32_e32 vcc, s0, v9
	s_and_b64 exec, exec, vcc
	s_cbranch_execz .LBB241_21
; %bb.4:
	s_load_dwordx8 s[8:15], s[4:5], 0x18
	v_ashrrev_i32_e32 v10, 31, v9
	v_lshlrev_b64 v[10:11], 2, v[9:10]
	v_and_b32_e32 v0, 31, v0
	s_cmp_lg_u32 s1, 0
	s_waitcnt lgkmcnt(0)
	v_mov_b32_e32 v12, s9
	v_add_co_u32_e32 v10, vcc, s8, v10
	v_addc_co_u32_e32 v11, vcc, v12, v11, vcc
	global_load_dwordx2 v[10:11], v[10:11], off
	s_waitcnt vmcnt(0)
	v_subrev_u32_e32 v10, s2, v10
	v_subrev_u32_e32 v24, s2, v11
	v_add_u32_e32 v10, v10, v0
	v_cmp_lt_i32_e64 s[0:1], v10, v24
	s_cbranch_scc0 .LBB241_10
; %bb.5:
	v_mov_b32_e32 v16, 0
	v_mov_b32_e32 v18, 0
	;; [unrolled: 1-line block ×8, first 2 shown]
	s_and_saveexec_b64 s[6:7], s[0:1]
	s_cbranch_execz .LBB241_9
; %bb.6:
	v_mov_b32_e32 v16, 0
	v_mov_b32_e32 v18, 0
	;; [unrolled: 1-line block ×4, first 2 shown]
	v_lshlrev_b32_e32 v20, 3, v10
	v_mov_b32_e32 v17, 0
	s_mov_b64 s[8:9], 0
	v_mov_b32_e32 v11, s11
	v_mov_b32_e32 v21, 0
	;; [unrolled: 1-line block ×8, first 2 shown]
.LBB241_7:                              ; =>This Inner Loop Header: Depth=1
	v_lshlrev_b64 v[27:28], 4, v[20:21]
	v_ashrrev_i32_e32 v23, 31, v22
	v_lshlrev_b64 v[29:30], 2, v[22:23]
	v_add_co_u32_e32 v35, vcc, s12, v27
	v_addc_co_u32_e32 v36, vcc, v25, v28, vcc
	v_add_co_u32_e32 v33, vcc, s10, v29
	v_addc_co_u32_e32 v34, vcc, v11, v30, vcc
	global_load_dwordx4 v[27:30], v[35:36], off
	global_load_dword v23, v[33:34], off
	v_mov_b32_e32 v32, v21
	v_add_u32_e32 v22, 32, v22
	v_add_u32_e32 v20, 0x100, v20
	s_waitcnt vmcnt(0)
	v_subrev_u32_e32 v23, s2, v23
	v_lshlrev_b32_e32 v31, 2, v23
	v_lshlrev_b64 v[31:32], 4, v[31:32]
	v_add_co_u32_e32 v37, vcc, s14, v31
	v_addc_co_u32_e32 v38, vcc, v26, v32, vcc
	global_load_dwordx4 v[31:34], v[37:38], off
	v_cmp_ge_i32_e32 vcc, v22, v24
	s_or_b64 s[8:9], vcc, s[8:9]
	s_waitcnt vmcnt(0)
	v_fma_f64 v[18:19], v[27:28], v[31:32], v[18:19]
	v_fma_f64 v[16:17], v[29:30], v[31:32], v[16:17]
	v_fma_f64 v[29:30], -v[29:30], v[33:34], v[18:19]
	v_fma_f64 v[27:28], v[27:28], v[33:34], v[16:17]
	global_load_dwordx4 v[16:19], v[35:36], off offset:16
	s_waitcnt vmcnt(0)
	v_fma_f64 v[12:13], v[16:17], v[31:32], v[12:13]
	v_fma_f64 v[14:15], v[18:19], v[31:32], v[14:15]
	v_fma_f64 v[31:32], -v[18:19], v[33:34], v[12:13]
	v_fma_f64 v[33:34], v[16:17], v[33:34], v[14:15]
	global_load_dwordx4 v[12:15], v[35:36], off offset:32
	global_load_dwordx4 v[16:19], v[37:38], off offset:16
	s_waitcnt vmcnt(0)
	v_fma_f64 v[29:30], v[12:13], v[16:17], v[29:30]
	v_fma_f64 v[27:28], v[14:15], v[16:17], v[27:28]
	v_fma_f64 v[29:30], -v[14:15], v[18:19], v[29:30]
	v_fma_f64 v[27:28], v[12:13], v[18:19], v[27:28]
	global_load_dwordx4 v[12:15], v[35:36], off offset:48
	s_waitcnt vmcnt(0)
	v_fma_f64 v[31:32], v[12:13], v[16:17], v[31:32]
	v_fma_f64 v[16:17], v[14:15], v[16:17], v[33:34]
	v_fma_f64 v[31:32], -v[14:15], v[18:19], v[31:32]
	v_fma_f64 v[33:34], v[12:13], v[18:19], v[16:17]
	global_load_dwordx4 v[12:15], v[35:36], off offset:64
	global_load_dwordx4 v[16:19], v[37:38], off offset:32
	;; [unrolled: 13-line block ×3, first 2 shown]
	global_load_dwordx4 v[31:34], v[37:38], off offset:48
	s_waitcnt vmcnt(0)
	v_fma_f64 v[18:19], v[12:13], v[31:32], v[39:40]
	v_fma_f64 v[35:36], v[14:15], v[31:32], v[41:42]
	;; [unrolled: 1-line block ×4, first 2 shown]
	v_fma_f64 v[18:19], -v[14:15], v[33:34], v[18:19]
	v_fma_f64 v[16:17], v[12:13], v[33:34], v[35:36]
	v_fma_f64 v[12:13], -v[29:30], v[33:34], v[37:38]
	v_fma_f64 v[14:15], v[27:28], v[33:34], v[31:32]
	s_andn2_b64 exec, exec, s[8:9]
	s_cbranch_execnz .LBB241_7
; %bb.8:
	s_or_b64 exec, exec, s[8:9]
.LBB241_9:
	s_or_b64 exec, exec, s[6:7]
	s_cbranch_execz .LBB241_11
	s_branch .LBB241_16
.LBB241_10:
                                        ; implicit-def: $vgpr16_vgpr17
                                        ; implicit-def: $vgpr18_vgpr19
                                        ; implicit-def: $vgpr12_vgpr13
                                        ; implicit-def: $vgpr14_vgpr15
.LBB241_11:
	v_mov_b32_e32 v16, 0
	v_mov_b32_e32 v18, 0
	;; [unrolled: 1-line block ×8, first 2 shown]
	s_and_saveexec_b64 s[6:7], s[0:1]
	s_cbranch_execz .LBB241_15
; %bb.12:
	v_mov_b32_e32 v16, 0
	v_mov_b32_e32 v18, 0
	;; [unrolled: 1-line block ×4, first 2 shown]
	v_lshlrev_b32_e32 v20, 3, v10
	v_mov_b32_e32 v17, 0
	s_mov_b64 s[0:1], 0
	v_mov_b32_e32 v22, s11
	v_mov_b32_e32 v21, 0
	;; [unrolled: 1-line block ×7, first 2 shown]
.LBB241_13:                             ; =>This Inner Loop Header: Depth=1
	v_lshlrev_b64 v[26:27], 4, v[20:21]
	v_ashrrev_i32_e32 v11, 31, v10
	v_lshlrev_b64 v[28:29], 2, v[10:11]
	v_add_co_u32_e32 v42, vcc, s12, v26
	v_addc_co_u32_e32 v43, vcc, v23, v27, vcc
	v_add_co_u32_e32 v36, vcc, s10, v28
	v_addc_co_u32_e32 v37, vcc, v22, v29, vcc
	global_load_dwordx4 v[26:29], v[42:43], off
	global_load_dwordx4 v[30:33], v[42:43], off offset:16
	global_load_dword v11, v[36:37], off
	v_mov_b32_e32 v35, v21
	v_add_u32_e32 v10, 32, v10
	v_add_u32_e32 v20, 0x100, v20
	s_waitcnt vmcnt(0)
	v_subrev_u32_e32 v11, s2, v11
	v_lshlrev_b32_e32 v34, 2, v11
	v_lshlrev_b64 v[34:35], 4, v[34:35]
	v_add_co_u32_e32 v44, vcc, s14, v34
	v_addc_co_u32_e32 v45, vcc, v25, v35, vcc
	global_load_dwordx4 v[34:37], v[44:45], off
	global_load_dwordx4 v[38:41], v[44:45], off offset:16
	v_cmp_ge_i32_e32 vcc, v10, v24
	s_or_b64 s[0:1], vcc, s[0:1]
	s_waitcnt vmcnt(1)
	v_fma_f64 v[18:19], v[26:27], v[34:35], v[18:19]
	v_fma_f64 v[16:17], v[28:29], v[34:35], v[16:17]
	v_fma_f64 v[46:47], -v[28:29], v[36:37], v[18:19]
	v_fma_f64 v[48:49], v[26:27], v[36:37], v[16:17]
	global_load_dwordx4 v[16:19], v[42:43], off offset:64
	global_load_dwordx4 v[26:29], v[42:43], off offset:80
	s_waitcnt vmcnt(1)
	v_fma_f64 v[11:12], v[16:17], v[34:35], v[12:13]
	v_fma_f64 v[13:14], v[18:19], v[34:35], v[14:15]
	v_fma_f64 v[34:35], -v[18:19], v[36:37], v[11:12]
	v_fma_f64 v[36:37], v[16:17], v[36:37], v[13:14]
	v_fma_f64 v[15:16], v[30:31], v[38:39], v[46:47]
	;; [unrolled: 1-line block ×3, first 2 shown]
	global_load_dwordx4 v[11:14], v[42:43], off offset:32
	v_fma_f64 v[46:47], -v[32:33], v[40:41], v[15:16]
	v_fma_f64 v[48:49], v[30:31], v[40:41], v[17:18]
	s_waitcnt vmcnt(1)
	v_fma_f64 v[30:31], v[26:27], v[38:39], v[34:35]
	v_fma_f64 v[32:33], v[28:29], v[38:39], v[36:37]
	global_load_dwordx4 v[15:18], v[42:43], off offset:48
	v_fma_f64 v[38:39], -v[28:29], v[40:41], v[30:31]
	v_fma_f64 v[40:41], v[26:27], v[40:41], v[32:33]
	global_load_dwordx4 v[26:29], v[44:45], off offset:32
	global_load_dwordx4 v[30:33], v[44:45], off offset:48
	s_waitcnt vmcnt(1)
	v_fma_f64 v[34:35], v[11:12], v[26:27], v[46:47]
	v_fma_f64 v[36:37], v[13:14], v[26:27], v[48:49]
	v_fma_f64 v[44:45], -v[13:14], v[28:29], v[34:35]
	v_fma_f64 v[46:47], v[11:12], v[28:29], v[36:37]
	global_load_dwordx4 v[11:14], v[42:43], off offset:96
	global_load_dwordx4 v[34:37], v[42:43], off offset:112
	s_waitcnt vmcnt(1)
	v_fma_f64 v[38:39], v[11:12], v[26:27], v[38:39]
	v_fma_f64 v[26:27], v[13:14], v[26:27], v[40:41]
	v_fma_f64 v[13:14], -v[13:14], v[28:29], v[38:39]
	v_fma_f64 v[11:12], v[11:12], v[28:29], v[26:27]
	v_fma_f64 v[26:27], v[15:16], v[30:31], v[44:45]
	;; [unrolled: 1-line block ×3, first 2 shown]
	s_waitcnt vmcnt(0)
	v_fma_f64 v[13:14], v[34:35], v[30:31], v[13:14]
	v_fma_f64 v[30:31], v[36:37], v[30:31], v[11:12]
	v_fma_f64 v[18:19], -v[17:18], v[32:33], v[26:27]
	v_fma_f64 v[16:17], v[15:16], v[32:33], v[28:29]
	v_fma_f64 v[12:13], -v[36:37], v[32:33], v[13:14]
	v_fma_f64 v[14:15], v[34:35], v[32:33], v[30:31]
	s_andn2_b64 exec, exec, s[0:1]
	s_cbranch_execnz .LBB241_13
; %bb.14:
	s_or_b64 exec, exec, s[0:1]
.LBB241_15:
	s_or_b64 exec, exec, s[6:7]
.LBB241_16:
	v_mov_b32_dpp v10, v18 row_shr:1 row_mask:0xf bank_mask:0xf
	v_mov_b32_dpp v11, v19 row_shr:1 row_mask:0xf bank_mask:0xf
	v_add_f64 v[10:11], v[18:19], v[10:11]
	v_mov_b32_dpp v18, v16 row_shr:1 row_mask:0xf bank_mask:0xf
	v_mov_b32_dpp v19, v17 row_shr:1 row_mask:0xf bank_mask:0xf
	v_add_f64 v[16:17], v[16:17], v[18:19]
	;; [unrolled: 3-line block ×3, first 2 shown]
	v_cmp_eq_u32_e32 vcc, 31, v0
	v_mov_b32_dpp v18, v10 row_shr:2 row_mask:0xf bank_mask:0xf
	v_mov_b32_dpp v19, v11 row_shr:2 row_mask:0xf bank_mask:0xf
	v_add_f64 v[10:11], v[10:11], v[18:19]
	v_mov_b32_dpp v18, v14 row_shr:1 row_mask:0xf bank_mask:0xf
	v_mov_b32_dpp v19, v15 row_shr:1 row_mask:0xf bank_mask:0xf
	v_add_f64 v[14:15], v[14:15], v[18:19]
	;; [unrolled: 3-line block ×4, first 2 shown]
	v_mov_b32_dpp v20, v12 row_shr:2 row_mask:0xf bank_mask:0xf
	v_mov_b32_dpp v21, v13 row_shr:2 row_mask:0xf bank_mask:0xf
	;; [unrolled: 1-line block ×3, first 2 shown]
	v_add_f64 v[12:13], v[12:13], v[20:21]
	v_mov_b32_dpp v19, v15 row_shr:2 row_mask:0xf bank_mask:0xf
	v_add_f64 v[14:15], v[14:15], v[18:19]
	v_mov_b32_dpp v20, v16 row_shr:4 row_mask:0xf bank_mask:0xe
	v_mov_b32_dpp v21, v17 row_shr:4 row_mask:0xf bank_mask:0xe
	v_add_f64 v[16:17], v[16:17], v[20:21]
	v_mov_b32_dpp v18, v10 row_shr:8 row_mask:0xf bank_mask:0xc
	v_mov_b32_dpp v19, v11 row_shr:8 row_mask:0xf bank_mask:0xc
	;; [unrolled: 1-line block ×4, first 2 shown]
	v_add_f64 v[20:21], v[12:13], v[20:21]
	v_mov_b32_dpp v12, v14 row_shr:4 row_mask:0xf bank_mask:0xe
	v_mov_b32_dpp v13, v15 row_shr:4 row_mask:0xf bank_mask:0xe
	v_add_f64 v[14:15], v[14:15], v[12:13]
	v_mov_b32_dpp v12, v16 row_shr:8 row_mask:0xf bank_mask:0xc
	v_mov_b32_dpp v13, v17 row_shr:8 row_mask:0xf bank_mask:0xc
	v_add_f64 v[12:13], v[16:17], v[12:13]
	v_add_f64 v[10:11], v[10:11], v[18:19]
	v_mov_b32_dpp v16, v20 row_shr:8 row_mask:0xf bank_mask:0xc
	v_mov_b32_dpp v17, v21 row_shr:8 row_mask:0xf bank_mask:0xc
	v_add_f64 v[18:19], v[20:21], v[16:17]
	v_mov_b32_dpp v16, v14 row_shr:8 row_mask:0xf bank_mask:0xc
	v_mov_b32_dpp v17, v15 row_shr:8 row_mask:0xf bank_mask:0xc
	v_add_f64 v[14:15], v[14:15], v[16:17]
	v_mov_b32_dpp v16, v12 row_bcast:15 row_mask:0xa bank_mask:0xf
	v_mov_b32_dpp v24, v10 row_bcast:15 row_mask:0xa bank_mask:0xf
	;; [unrolled: 1-line block ×8, first 2 shown]
	s_and_b64 exec, exec, vcc
	s_cbranch_execz .LBB241_21
; %bb.17:
	v_cmp_eq_f64_e32 vcc, 0, v[5:6]
	v_cmp_eq_f64_e64 s[0:1], 0, v[7:8]
	v_add_f64 v[10:11], v[10:11], v[24:25]
	v_add_f64 v[16:17], v[12:13], v[16:17]
	;; [unrolled: 1-line block ×4, first 2 shown]
	s_load_dwordx2 s[2:3], s[4:5], 0x48
	s_and_b64 s[0:1], vcc, s[0:1]
	s_and_saveexec_b64 s[4:5], s[0:1]
	s_xor_b64 s[0:1], exec, s[4:5]
	s_cbranch_execz .LBB241_19
; %bb.18:
	v_mul_f64 v[5:6], v[16:17], -v[3:4]
	v_mul_f64 v[7:8], v[1:2], v[16:17]
	v_mul_f64 v[16:17], v[14:15], -v[3:4]
	v_mul_f64 v[14:15], v[1:2], v[14:15]
	v_lshlrev_b32_e32 v9, 1, v9
	s_waitcnt lgkmcnt(0)
	v_mov_b32_e32 v18, s3
	v_fma_f64 v[5:6], v[1:2], v[10:11], v[5:6]
	v_fma_f64 v[7:8], v[3:4], v[10:11], v[7:8]
	;; [unrolled: 1-line block ×4, first 2 shown]
	v_ashrrev_i32_e32 v10, 31, v9
	v_lshlrev_b64 v[9:10], 4, v[9:10]
                                        ; implicit-def: $vgpr16_vgpr17
                                        ; implicit-def: $vgpr12_vgpr13
                                        ; implicit-def: $vgpr14_vgpr15
	v_add_co_u32_e32 v9, vcc, s2, v9
	v_addc_co_u32_e32 v10, vcc, v18, v10, vcc
	global_store_dwordx4 v[9:10], v[5:8], off
	global_store_dwordx4 v[9:10], v[0:3], off offset:16
                                        ; implicit-def: $vgpr9
                                        ; implicit-def: $vgpr10_vgpr11
                                        ; implicit-def: $vgpr7_vgpr8
                                        ; implicit-def: $vgpr3_vgpr4
.LBB241_19:
	s_andn2_saveexec_b64 s[0:1], s[0:1]
	s_cbranch_execz .LBB241_21
; %bb.20:
	v_lshlrev_b32_e32 v18, 1, v9
	v_ashrrev_i32_e32 v19, 31, v18
	v_lshlrev_b64 v[18:19], 4, v[18:19]
	s_waitcnt lgkmcnt(0)
	v_mov_b32_e32 v0, s3
	v_add_co_u32_e32 v26, vcc, s2, v18
	v_addc_co_u32_e32 v27, vcc, v0, v19, vcc
	global_load_dwordx4 v[18:21], v[26:27], off
	global_load_dwordx4 v[22:25], v[26:27], off offset:16
	v_mul_f64 v[28:29], v[16:17], -v[3:4]
	v_mul_f64 v[16:17], v[1:2], v[16:17]
	v_mul_f64 v[30:31], v[14:15], -v[3:4]
	v_mul_f64 v[14:15], v[1:2], v[14:15]
	v_fma_f64 v[28:29], v[1:2], v[10:11], v[28:29]
	v_fma_f64 v[9:10], v[3:4], v[10:11], v[16:17]
	;; [unrolled: 1-line block ×4, first 2 shown]
	s_waitcnt vmcnt(1)
	v_fma_f64 v[11:12], v[5:6], v[18:19], v[28:29]
	v_fma_f64 v[9:10], v[7:8], v[18:19], v[9:10]
	s_waitcnt vmcnt(0)
	v_fma_f64 v[13:14], v[5:6], v[22:23], v[0:1]
	v_fma_f64 v[15:16], v[7:8], v[22:23], v[2:3]
	v_fma_f64 v[0:1], -v[7:8], v[20:21], v[11:12]
	v_fma_f64 v[2:3], v[5:6], v[20:21], v[9:10]
	v_fma_f64 v[7:8], -v[7:8], v[24:25], v[13:14]
	v_fma_f64 v[9:10], v[5:6], v[24:25], v[15:16]
	global_store_dwordx4 v[26:27], v[0:3], off
	global_store_dwordx4 v[26:27], v[7:10], off offset:16
.LBB241_21:
	s_endpgm
	.section	.rodata,"a",@progbits
	.p2align	6, 0x0
	.amdhsa_kernel _ZN9rocsparseL19gebsrmvn_2xn_kernelILj128ELj4ELj32E21rocsparse_complex_numIdEEEvi20rocsparse_direction_NS_24const_host_device_scalarIT2_EEPKiS8_PKS5_SA_S6_PS5_21rocsparse_index_base_b
		.amdhsa_group_segment_fixed_size 0
		.amdhsa_private_segment_fixed_size 0
		.amdhsa_kernarg_size 88
		.amdhsa_user_sgpr_count 6
		.amdhsa_user_sgpr_private_segment_buffer 1
		.amdhsa_user_sgpr_dispatch_ptr 0
		.amdhsa_user_sgpr_queue_ptr 0
		.amdhsa_user_sgpr_kernarg_segment_ptr 1
		.amdhsa_user_sgpr_dispatch_id 0
		.amdhsa_user_sgpr_flat_scratch_init 0
		.amdhsa_user_sgpr_private_segment_size 0
		.amdhsa_uses_dynamic_stack 0
		.amdhsa_system_sgpr_private_segment_wavefront_offset 0
		.amdhsa_system_sgpr_workgroup_id_x 1
		.amdhsa_system_sgpr_workgroup_id_y 0
		.amdhsa_system_sgpr_workgroup_id_z 0
		.amdhsa_system_sgpr_workgroup_info 0
		.amdhsa_system_vgpr_workitem_id 0
		.amdhsa_next_free_vgpr 50
		.amdhsa_next_free_sgpr 16
		.amdhsa_reserve_vcc 1
		.amdhsa_reserve_flat_scratch 0
		.amdhsa_float_round_mode_32 0
		.amdhsa_float_round_mode_16_64 0
		.amdhsa_float_denorm_mode_32 3
		.amdhsa_float_denorm_mode_16_64 3
		.amdhsa_dx10_clamp 1
		.amdhsa_ieee_mode 1
		.amdhsa_fp16_overflow 0
		.amdhsa_exception_fp_ieee_invalid_op 0
		.amdhsa_exception_fp_denorm_src 0
		.amdhsa_exception_fp_ieee_div_zero 0
		.amdhsa_exception_fp_ieee_overflow 0
		.amdhsa_exception_fp_ieee_underflow 0
		.amdhsa_exception_fp_ieee_inexact 0
		.amdhsa_exception_int_div_zero 0
	.end_amdhsa_kernel
	.section	.text._ZN9rocsparseL19gebsrmvn_2xn_kernelILj128ELj4ELj32E21rocsparse_complex_numIdEEEvi20rocsparse_direction_NS_24const_host_device_scalarIT2_EEPKiS8_PKS5_SA_S6_PS5_21rocsparse_index_base_b,"axG",@progbits,_ZN9rocsparseL19gebsrmvn_2xn_kernelILj128ELj4ELj32E21rocsparse_complex_numIdEEEvi20rocsparse_direction_NS_24const_host_device_scalarIT2_EEPKiS8_PKS5_SA_S6_PS5_21rocsparse_index_base_b,comdat
.Lfunc_end241:
	.size	_ZN9rocsparseL19gebsrmvn_2xn_kernelILj128ELj4ELj32E21rocsparse_complex_numIdEEEvi20rocsparse_direction_NS_24const_host_device_scalarIT2_EEPKiS8_PKS5_SA_S6_PS5_21rocsparse_index_base_b, .Lfunc_end241-_ZN9rocsparseL19gebsrmvn_2xn_kernelILj128ELj4ELj32E21rocsparse_complex_numIdEEEvi20rocsparse_direction_NS_24const_host_device_scalarIT2_EEPKiS8_PKS5_SA_S6_PS5_21rocsparse_index_base_b
                                        ; -- End function
	.set _ZN9rocsparseL19gebsrmvn_2xn_kernelILj128ELj4ELj32E21rocsparse_complex_numIdEEEvi20rocsparse_direction_NS_24const_host_device_scalarIT2_EEPKiS8_PKS5_SA_S6_PS5_21rocsparse_index_base_b.num_vgpr, 50
	.set _ZN9rocsparseL19gebsrmvn_2xn_kernelILj128ELj4ELj32E21rocsparse_complex_numIdEEEvi20rocsparse_direction_NS_24const_host_device_scalarIT2_EEPKiS8_PKS5_SA_S6_PS5_21rocsparse_index_base_b.num_agpr, 0
	.set _ZN9rocsparseL19gebsrmvn_2xn_kernelILj128ELj4ELj32E21rocsparse_complex_numIdEEEvi20rocsparse_direction_NS_24const_host_device_scalarIT2_EEPKiS8_PKS5_SA_S6_PS5_21rocsparse_index_base_b.numbered_sgpr, 16
	.set _ZN9rocsparseL19gebsrmvn_2xn_kernelILj128ELj4ELj32E21rocsparse_complex_numIdEEEvi20rocsparse_direction_NS_24const_host_device_scalarIT2_EEPKiS8_PKS5_SA_S6_PS5_21rocsparse_index_base_b.num_named_barrier, 0
	.set _ZN9rocsparseL19gebsrmvn_2xn_kernelILj128ELj4ELj32E21rocsparse_complex_numIdEEEvi20rocsparse_direction_NS_24const_host_device_scalarIT2_EEPKiS8_PKS5_SA_S6_PS5_21rocsparse_index_base_b.private_seg_size, 0
	.set _ZN9rocsparseL19gebsrmvn_2xn_kernelILj128ELj4ELj32E21rocsparse_complex_numIdEEEvi20rocsparse_direction_NS_24const_host_device_scalarIT2_EEPKiS8_PKS5_SA_S6_PS5_21rocsparse_index_base_b.uses_vcc, 1
	.set _ZN9rocsparseL19gebsrmvn_2xn_kernelILj128ELj4ELj32E21rocsparse_complex_numIdEEEvi20rocsparse_direction_NS_24const_host_device_scalarIT2_EEPKiS8_PKS5_SA_S6_PS5_21rocsparse_index_base_b.uses_flat_scratch, 0
	.set _ZN9rocsparseL19gebsrmvn_2xn_kernelILj128ELj4ELj32E21rocsparse_complex_numIdEEEvi20rocsparse_direction_NS_24const_host_device_scalarIT2_EEPKiS8_PKS5_SA_S6_PS5_21rocsparse_index_base_b.has_dyn_sized_stack, 0
	.set _ZN9rocsparseL19gebsrmvn_2xn_kernelILj128ELj4ELj32E21rocsparse_complex_numIdEEEvi20rocsparse_direction_NS_24const_host_device_scalarIT2_EEPKiS8_PKS5_SA_S6_PS5_21rocsparse_index_base_b.has_recursion, 0
	.set _ZN9rocsparseL19gebsrmvn_2xn_kernelILj128ELj4ELj32E21rocsparse_complex_numIdEEEvi20rocsparse_direction_NS_24const_host_device_scalarIT2_EEPKiS8_PKS5_SA_S6_PS5_21rocsparse_index_base_b.has_indirect_call, 0
	.section	.AMDGPU.csdata,"",@progbits
; Kernel info:
; codeLenInByte = 2312
; TotalNumSgprs: 20
; NumVgprs: 50
; ScratchSize: 0
; MemoryBound: 1
; FloatMode: 240
; IeeeMode: 1
; LDSByteSize: 0 bytes/workgroup (compile time only)
; SGPRBlocks: 2
; VGPRBlocks: 12
; NumSGPRsForWavesPerEU: 20
; NumVGPRsForWavesPerEU: 50
; Occupancy: 4
; WaveLimiterHint : 1
; COMPUTE_PGM_RSRC2:SCRATCH_EN: 0
; COMPUTE_PGM_RSRC2:USER_SGPR: 6
; COMPUTE_PGM_RSRC2:TRAP_HANDLER: 0
; COMPUTE_PGM_RSRC2:TGID_X_EN: 1
; COMPUTE_PGM_RSRC2:TGID_Y_EN: 0
; COMPUTE_PGM_RSRC2:TGID_Z_EN: 0
; COMPUTE_PGM_RSRC2:TIDIG_COMP_CNT: 0
	.section	.text._ZN9rocsparseL19gebsrmvn_2xn_kernelILj128ELj4ELj64E21rocsparse_complex_numIdEEEvi20rocsparse_direction_NS_24const_host_device_scalarIT2_EEPKiS8_PKS5_SA_S6_PS5_21rocsparse_index_base_b,"axG",@progbits,_ZN9rocsparseL19gebsrmvn_2xn_kernelILj128ELj4ELj64E21rocsparse_complex_numIdEEEvi20rocsparse_direction_NS_24const_host_device_scalarIT2_EEPKiS8_PKS5_SA_S6_PS5_21rocsparse_index_base_b,comdat
	.globl	_ZN9rocsparseL19gebsrmvn_2xn_kernelILj128ELj4ELj64E21rocsparse_complex_numIdEEEvi20rocsparse_direction_NS_24const_host_device_scalarIT2_EEPKiS8_PKS5_SA_S6_PS5_21rocsparse_index_base_b ; -- Begin function _ZN9rocsparseL19gebsrmvn_2xn_kernelILj128ELj4ELj64E21rocsparse_complex_numIdEEEvi20rocsparse_direction_NS_24const_host_device_scalarIT2_EEPKiS8_PKS5_SA_S6_PS5_21rocsparse_index_base_b
	.p2align	8
	.type	_ZN9rocsparseL19gebsrmvn_2xn_kernelILj128ELj4ELj64E21rocsparse_complex_numIdEEEvi20rocsparse_direction_NS_24const_host_device_scalarIT2_EEPKiS8_PKS5_SA_S6_PS5_21rocsparse_index_base_b,@function
_ZN9rocsparseL19gebsrmvn_2xn_kernelILj128ELj4ELj64E21rocsparse_complex_numIdEEEvi20rocsparse_direction_NS_24const_host_device_scalarIT2_EEPKiS8_PKS5_SA_S6_PS5_21rocsparse_index_base_b: ; @_ZN9rocsparseL19gebsrmvn_2xn_kernelILj128ELj4ELj64E21rocsparse_complex_numIdEEEvi20rocsparse_direction_NS_24const_host_device_scalarIT2_EEPKiS8_PKS5_SA_S6_PS5_21rocsparse_index_base_b
; %bb.0:
	s_load_dwordx2 s[0:1], s[4:5], 0x8
	s_load_dwordx2 s[8:9], s[4:5], 0x38
	;; [unrolled: 1-line block ×3, first 2 shown]
	s_add_u32 s7, s4, 8
	s_addc_u32 s10, s5, 0
	s_add_u32 s11, s4, 56
	s_addc_u32 s12, s5, 0
	s_waitcnt lgkmcnt(0)
	s_bitcmp1_b32 s3, 0
	s_cselect_b32 s1, s10, s1
	s_cselect_b32 s0, s7, s0
	v_mov_b32_e32 v1, s0
	v_mov_b32_e32 v2, s1
	flat_load_dwordx4 v[1:4], v[1:2]
	s_cselect_b32 s0, s12, s9
	s_cselect_b32 s1, s11, s8
	v_mov_b32_e32 v5, s1
	v_mov_b32_e32 v6, s0
	flat_load_dwordx4 v[5:8], v[5:6]
	s_waitcnt vmcnt(0) lgkmcnt(0)
	v_cmp_eq_f64_e32 vcc, 0, v[1:2]
	v_cmp_eq_f64_e64 s[0:1], 0, v[3:4]
	s_and_b64 s[10:11], vcc, s[0:1]
	s_mov_b64 s[0:1], -1
	s_and_saveexec_b64 s[8:9], s[10:11]
	s_cbranch_execz .LBB242_2
; %bb.1:
	v_cmp_neq_f64_e32 vcc, 1.0, v[5:6]
	v_cmp_neq_f64_e64 s[0:1], 0, v[7:8]
	s_or_b64 s[0:1], vcc, s[0:1]
	s_orn2_b64 s[0:1], s[0:1], exec
.LBB242_2:
	s_or_b64 exec, exec, s[8:9]
	s_and_saveexec_b64 s[8:9], s[0:1]
	s_cbranch_execz .LBB242_21
; %bb.3:
	s_load_dwordx2 s[0:1], s[4:5], 0x0
	v_lshrrev_b32_e32 v9, 6, v0
	v_lshl_or_b32 v9, s6, 1, v9
	s_waitcnt lgkmcnt(0)
	v_cmp_gt_i32_e32 vcc, s0, v9
	s_and_b64 exec, exec, vcc
	s_cbranch_execz .LBB242_21
; %bb.4:
	s_load_dwordx8 s[8:15], s[4:5], 0x18
	v_ashrrev_i32_e32 v10, 31, v9
	v_lshlrev_b64 v[10:11], 2, v[9:10]
	v_and_b32_e32 v0, 63, v0
	s_cmp_lg_u32 s1, 0
	s_waitcnt lgkmcnt(0)
	v_mov_b32_e32 v12, s9
	v_add_co_u32_e32 v10, vcc, s8, v10
	v_addc_co_u32_e32 v11, vcc, v12, v11, vcc
	global_load_dwordx2 v[10:11], v[10:11], off
	s_waitcnt vmcnt(0)
	v_subrev_u32_e32 v10, s2, v10
	v_subrev_u32_e32 v24, s2, v11
	v_add_u32_e32 v10, v10, v0
	v_cmp_lt_i32_e64 s[0:1], v10, v24
	s_cbranch_scc0 .LBB242_10
; %bb.5:
	v_mov_b32_e32 v16, 0
	v_mov_b32_e32 v18, 0
	;; [unrolled: 1-line block ×8, first 2 shown]
	s_and_saveexec_b64 s[6:7], s[0:1]
	s_cbranch_execz .LBB242_9
; %bb.6:
	v_mov_b32_e32 v16, 0
	v_mov_b32_e32 v18, 0
	;; [unrolled: 1-line block ×4, first 2 shown]
	v_lshlrev_b32_e32 v20, 3, v10
	v_mov_b32_e32 v17, 0
	s_mov_b64 s[8:9], 0
	v_mov_b32_e32 v11, s11
	v_mov_b32_e32 v21, 0
	;; [unrolled: 1-line block ×8, first 2 shown]
.LBB242_7:                              ; =>This Inner Loop Header: Depth=1
	v_lshlrev_b64 v[27:28], 4, v[20:21]
	v_ashrrev_i32_e32 v23, 31, v22
	v_lshlrev_b64 v[29:30], 2, v[22:23]
	v_add_co_u32_e32 v35, vcc, s12, v27
	v_addc_co_u32_e32 v36, vcc, v25, v28, vcc
	v_add_co_u32_e32 v33, vcc, s10, v29
	v_addc_co_u32_e32 v34, vcc, v11, v30, vcc
	global_load_dwordx4 v[27:30], v[35:36], off
	global_load_dword v23, v[33:34], off
	v_mov_b32_e32 v32, v21
	v_add_u32_e32 v22, 64, v22
	v_add_u32_e32 v20, 0x200, v20
	s_waitcnt vmcnt(0)
	v_subrev_u32_e32 v23, s2, v23
	v_lshlrev_b32_e32 v31, 2, v23
	v_lshlrev_b64 v[31:32], 4, v[31:32]
	v_add_co_u32_e32 v37, vcc, s14, v31
	v_addc_co_u32_e32 v38, vcc, v26, v32, vcc
	global_load_dwordx4 v[31:34], v[37:38], off
	v_cmp_ge_i32_e32 vcc, v22, v24
	s_or_b64 s[8:9], vcc, s[8:9]
	s_waitcnt vmcnt(0)
	v_fma_f64 v[18:19], v[27:28], v[31:32], v[18:19]
	v_fma_f64 v[16:17], v[29:30], v[31:32], v[16:17]
	v_fma_f64 v[29:30], -v[29:30], v[33:34], v[18:19]
	v_fma_f64 v[27:28], v[27:28], v[33:34], v[16:17]
	global_load_dwordx4 v[16:19], v[35:36], off offset:16
	s_waitcnt vmcnt(0)
	v_fma_f64 v[12:13], v[16:17], v[31:32], v[12:13]
	v_fma_f64 v[14:15], v[18:19], v[31:32], v[14:15]
	v_fma_f64 v[31:32], -v[18:19], v[33:34], v[12:13]
	v_fma_f64 v[33:34], v[16:17], v[33:34], v[14:15]
	global_load_dwordx4 v[12:15], v[35:36], off offset:32
	global_load_dwordx4 v[16:19], v[37:38], off offset:16
	s_waitcnt vmcnt(0)
	v_fma_f64 v[29:30], v[12:13], v[16:17], v[29:30]
	v_fma_f64 v[27:28], v[14:15], v[16:17], v[27:28]
	v_fma_f64 v[29:30], -v[14:15], v[18:19], v[29:30]
	v_fma_f64 v[27:28], v[12:13], v[18:19], v[27:28]
	global_load_dwordx4 v[12:15], v[35:36], off offset:48
	s_waitcnt vmcnt(0)
	v_fma_f64 v[31:32], v[12:13], v[16:17], v[31:32]
	v_fma_f64 v[16:17], v[14:15], v[16:17], v[33:34]
	v_fma_f64 v[31:32], -v[14:15], v[18:19], v[31:32]
	v_fma_f64 v[33:34], v[12:13], v[18:19], v[16:17]
	global_load_dwordx4 v[12:15], v[35:36], off offset:64
	global_load_dwordx4 v[16:19], v[37:38], off offset:32
	;; [unrolled: 13-line block ×3, first 2 shown]
	global_load_dwordx4 v[31:34], v[37:38], off offset:48
	s_waitcnt vmcnt(0)
	v_fma_f64 v[18:19], v[12:13], v[31:32], v[39:40]
	v_fma_f64 v[35:36], v[14:15], v[31:32], v[41:42]
	;; [unrolled: 1-line block ×4, first 2 shown]
	v_fma_f64 v[18:19], -v[14:15], v[33:34], v[18:19]
	v_fma_f64 v[16:17], v[12:13], v[33:34], v[35:36]
	v_fma_f64 v[12:13], -v[29:30], v[33:34], v[37:38]
	v_fma_f64 v[14:15], v[27:28], v[33:34], v[31:32]
	s_andn2_b64 exec, exec, s[8:9]
	s_cbranch_execnz .LBB242_7
; %bb.8:
	s_or_b64 exec, exec, s[8:9]
.LBB242_9:
	s_or_b64 exec, exec, s[6:7]
	s_cbranch_execz .LBB242_11
	s_branch .LBB242_16
.LBB242_10:
                                        ; implicit-def: $vgpr16_vgpr17
                                        ; implicit-def: $vgpr18_vgpr19
                                        ; implicit-def: $vgpr12_vgpr13
                                        ; implicit-def: $vgpr14_vgpr15
.LBB242_11:
	v_mov_b32_e32 v16, 0
	v_mov_b32_e32 v18, 0
	;; [unrolled: 1-line block ×8, first 2 shown]
	s_and_saveexec_b64 s[6:7], s[0:1]
	s_cbranch_execz .LBB242_15
; %bb.12:
	v_mov_b32_e32 v16, 0
	v_mov_b32_e32 v18, 0
	;; [unrolled: 1-line block ×4, first 2 shown]
	v_lshlrev_b32_e32 v20, 3, v10
	v_mov_b32_e32 v17, 0
	s_mov_b64 s[0:1], 0
	v_mov_b32_e32 v22, s11
	v_mov_b32_e32 v21, 0
	;; [unrolled: 1-line block ×7, first 2 shown]
.LBB242_13:                             ; =>This Inner Loop Header: Depth=1
	v_lshlrev_b64 v[26:27], 4, v[20:21]
	v_ashrrev_i32_e32 v11, 31, v10
	v_lshlrev_b64 v[28:29], 2, v[10:11]
	v_add_co_u32_e32 v42, vcc, s12, v26
	v_addc_co_u32_e32 v43, vcc, v23, v27, vcc
	v_add_co_u32_e32 v36, vcc, s10, v28
	v_addc_co_u32_e32 v37, vcc, v22, v29, vcc
	global_load_dwordx4 v[26:29], v[42:43], off
	global_load_dwordx4 v[30:33], v[42:43], off offset:16
	global_load_dword v11, v[36:37], off
	v_mov_b32_e32 v35, v21
	v_add_u32_e32 v10, 64, v10
	v_add_u32_e32 v20, 0x200, v20
	s_waitcnt vmcnt(0)
	v_subrev_u32_e32 v11, s2, v11
	v_lshlrev_b32_e32 v34, 2, v11
	v_lshlrev_b64 v[34:35], 4, v[34:35]
	v_add_co_u32_e32 v44, vcc, s14, v34
	v_addc_co_u32_e32 v45, vcc, v25, v35, vcc
	global_load_dwordx4 v[34:37], v[44:45], off
	global_load_dwordx4 v[38:41], v[44:45], off offset:16
	v_cmp_ge_i32_e32 vcc, v10, v24
	s_or_b64 s[0:1], vcc, s[0:1]
	s_waitcnt vmcnt(1)
	v_fma_f64 v[18:19], v[26:27], v[34:35], v[18:19]
	v_fma_f64 v[16:17], v[28:29], v[34:35], v[16:17]
	v_fma_f64 v[46:47], -v[28:29], v[36:37], v[18:19]
	v_fma_f64 v[48:49], v[26:27], v[36:37], v[16:17]
	global_load_dwordx4 v[16:19], v[42:43], off offset:64
	global_load_dwordx4 v[26:29], v[42:43], off offset:80
	s_waitcnt vmcnt(1)
	v_fma_f64 v[11:12], v[16:17], v[34:35], v[12:13]
	v_fma_f64 v[13:14], v[18:19], v[34:35], v[14:15]
	v_fma_f64 v[34:35], -v[18:19], v[36:37], v[11:12]
	v_fma_f64 v[36:37], v[16:17], v[36:37], v[13:14]
	v_fma_f64 v[15:16], v[30:31], v[38:39], v[46:47]
	;; [unrolled: 1-line block ×3, first 2 shown]
	global_load_dwordx4 v[11:14], v[42:43], off offset:32
	v_fma_f64 v[46:47], -v[32:33], v[40:41], v[15:16]
	v_fma_f64 v[48:49], v[30:31], v[40:41], v[17:18]
	s_waitcnt vmcnt(1)
	v_fma_f64 v[30:31], v[26:27], v[38:39], v[34:35]
	v_fma_f64 v[32:33], v[28:29], v[38:39], v[36:37]
	global_load_dwordx4 v[15:18], v[42:43], off offset:48
	v_fma_f64 v[38:39], -v[28:29], v[40:41], v[30:31]
	v_fma_f64 v[40:41], v[26:27], v[40:41], v[32:33]
	global_load_dwordx4 v[26:29], v[44:45], off offset:32
	global_load_dwordx4 v[30:33], v[44:45], off offset:48
	s_waitcnt vmcnt(1)
	v_fma_f64 v[34:35], v[11:12], v[26:27], v[46:47]
	v_fma_f64 v[36:37], v[13:14], v[26:27], v[48:49]
	v_fma_f64 v[44:45], -v[13:14], v[28:29], v[34:35]
	v_fma_f64 v[46:47], v[11:12], v[28:29], v[36:37]
	global_load_dwordx4 v[11:14], v[42:43], off offset:96
	global_load_dwordx4 v[34:37], v[42:43], off offset:112
	s_waitcnt vmcnt(1)
	v_fma_f64 v[38:39], v[11:12], v[26:27], v[38:39]
	v_fma_f64 v[26:27], v[13:14], v[26:27], v[40:41]
	v_fma_f64 v[13:14], -v[13:14], v[28:29], v[38:39]
	v_fma_f64 v[11:12], v[11:12], v[28:29], v[26:27]
	v_fma_f64 v[26:27], v[15:16], v[30:31], v[44:45]
	;; [unrolled: 1-line block ×3, first 2 shown]
	s_waitcnt vmcnt(0)
	v_fma_f64 v[13:14], v[34:35], v[30:31], v[13:14]
	v_fma_f64 v[30:31], v[36:37], v[30:31], v[11:12]
	v_fma_f64 v[18:19], -v[17:18], v[32:33], v[26:27]
	v_fma_f64 v[16:17], v[15:16], v[32:33], v[28:29]
	v_fma_f64 v[12:13], -v[36:37], v[32:33], v[13:14]
	v_fma_f64 v[14:15], v[34:35], v[32:33], v[30:31]
	s_andn2_b64 exec, exec, s[0:1]
	s_cbranch_execnz .LBB242_13
; %bb.14:
	s_or_b64 exec, exec, s[0:1]
.LBB242_15:
	s_or_b64 exec, exec, s[6:7]
.LBB242_16:
	v_mov_b32_dpp v10, v18 row_shr:1 row_mask:0xf bank_mask:0xf
	v_mov_b32_dpp v11, v19 row_shr:1 row_mask:0xf bank_mask:0xf
	v_add_f64 v[10:11], v[18:19], v[10:11]
	v_mov_b32_dpp v18, v16 row_shr:1 row_mask:0xf bank_mask:0xf
	v_mov_b32_dpp v19, v17 row_shr:1 row_mask:0xf bank_mask:0xf
	v_add_f64 v[16:17], v[16:17], v[18:19]
	;; [unrolled: 3-line block ×3, first 2 shown]
	v_cmp_eq_u32_e32 vcc, 63, v0
	v_mov_b32_dpp v18, v10 row_shr:2 row_mask:0xf bank_mask:0xf
	v_mov_b32_dpp v19, v11 row_shr:2 row_mask:0xf bank_mask:0xf
	v_add_f64 v[10:11], v[10:11], v[18:19]
	v_mov_b32_dpp v18, v12 row_shr:1 row_mask:0xf bank_mask:0xf
	v_mov_b32_dpp v19, v13 row_shr:1 row_mask:0xf bank_mask:0xf
	v_add_f64 v[12:13], v[12:13], v[18:19]
	v_mov_b32_dpp v18, v16 row_shr:2 row_mask:0xf bank_mask:0xf
	v_mov_b32_dpp v19, v10 row_shr:4 row_mask:0xf bank_mask:0xe
	v_mov_b32_dpp v20, v11 row_shr:4 row_mask:0xf bank_mask:0xe
	v_add_f64 v[10:11], v[10:11], v[19:20]
	v_mov_b32_dpp v19, v17 row_shr:2 row_mask:0xf bank_mask:0xf
	;; [unrolled: 4-line block ×3, first 2 shown]
	v_add_f64 v[12:13], v[12:13], v[20:21]
	v_mov_b32_dpp v19, v15 row_shr:2 row_mask:0xf bank_mask:0xf
	v_add_f64 v[14:15], v[14:15], v[18:19]
	v_mov_b32_dpp v20, v10 row_shr:8 row_mask:0xf bank_mask:0xc
	v_mov_b32_dpp v21, v11 row_shr:8 row_mask:0xf bank_mask:0xc
	v_add_f64 v[10:11], v[10:11], v[20:21]
	v_mov_b32_dpp v18, v16 row_shr:4 row_mask:0xf bank_mask:0xe
	v_mov_b32_dpp v19, v17 row_shr:4 row_mask:0xf bank_mask:0xe
	;; [unrolled: 1-line block ×3, first 2 shown]
	v_add_f64 v[16:17], v[16:17], v[18:19]
	v_mov_b32_dpp v21, v13 row_shr:4 row_mask:0xf bank_mask:0xe
	v_add_f64 v[12:13], v[12:13], v[20:21]
	v_mov_b32_dpp v19, v14 row_shr:4 row_mask:0xf bank_mask:0xe
	v_mov_b32_dpp v20, v15 row_shr:4 row_mask:0xf bank_mask:0xe
	v_add_f64 v[14:15], v[14:15], v[19:20]
	v_mov_b32_dpp v18, v10 row_bcast:15 row_mask:0xa bank_mask:0xf
	v_mov_b32_dpp v19, v11 row_bcast:15 row_mask:0xa bank_mask:0xf
	v_mov_b32_dpp v20, v16 row_shr:8 row_mask:0xf bank_mask:0xc
	v_mov_b32_dpp v21, v17 row_shr:8 row_mask:0xf bank_mask:0xc
	v_add_f64 v[16:17], v[16:17], v[20:21]
	v_mov_b32_dpp v20, v12 row_shr:8 row_mask:0xf bank_mask:0xc
	v_mov_b32_dpp v21, v13 row_shr:8 row_mask:0xf bank_mask:0xc
	v_add_f64 v[20:21], v[12:13], v[20:21]
	;; [unrolled: 3-line block ×3, first 2 shown]
	v_add_f64 v[10:11], v[10:11], v[18:19]
	v_mov_b32_dpp v12, v16 row_bcast:15 row_mask:0xa bank_mask:0xf
	v_mov_b32_dpp v13, v17 row_bcast:15 row_mask:0xa bank_mask:0xf
	v_add_f64 v[12:13], v[16:17], v[12:13]
	v_mov_b32_dpp v16, v20 row_bcast:15 row_mask:0xa bank_mask:0xf
	v_mov_b32_dpp v17, v21 row_bcast:15 row_mask:0xa bank_mask:0xf
	;; [unrolled: 3-line block ×4, first 2 shown]
	v_mov_b32_dpp v16, v12 row_bcast:31 row_mask:0xc bank_mask:0xf
	v_mov_b32_dpp v17, v13 row_bcast:31 row_mask:0xc bank_mask:0xf
	;; [unrolled: 1-line block ×6, first 2 shown]
	s_and_b64 exec, exec, vcc
	s_cbranch_execz .LBB242_21
; %bb.17:
	v_cmp_eq_f64_e32 vcc, 0, v[5:6]
	v_cmp_eq_f64_e64 s[0:1], 0, v[7:8]
	v_add_f64 v[10:11], v[10:11], v[24:25]
	v_add_f64 v[16:17], v[12:13], v[16:17]
	;; [unrolled: 1-line block ×4, first 2 shown]
	s_load_dwordx2 s[2:3], s[4:5], 0x48
	s_and_b64 s[0:1], vcc, s[0:1]
	s_and_saveexec_b64 s[4:5], s[0:1]
	s_xor_b64 s[0:1], exec, s[4:5]
	s_cbranch_execz .LBB242_19
; %bb.18:
	v_mul_f64 v[5:6], v[16:17], -v[3:4]
	v_mul_f64 v[7:8], v[1:2], v[16:17]
	v_mul_f64 v[16:17], v[14:15], -v[3:4]
	v_mul_f64 v[14:15], v[1:2], v[14:15]
	v_lshlrev_b32_e32 v9, 1, v9
	s_waitcnt lgkmcnt(0)
	v_mov_b32_e32 v18, s3
	v_fma_f64 v[5:6], v[1:2], v[10:11], v[5:6]
	v_fma_f64 v[7:8], v[3:4], v[10:11], v[7:8]
	;; [unrolled: 1-line block ×4, first 2 shown]
	v_ashrrev_i32_e32 v10, 31, v9
	v_lshlrev_b64 v[9:10], 4, v[9:10]
                                        ; implicit-def: $vgpr16_vgpr17
                                        ; implicit-def: $vgpr12_vgpr13
                                        ; implicit-def: $vgpr14_vgpr15
	v_add_co_u32_e32 v9, vcc, s2, v9
	v_addc_co_u32_e32 v10, vcc, v18, v10, vcc
	global_store_dwordx4 v[9:10], v[5:8], off
	global_store_dwordx4 v[9:10], v[0:3], off offset:16
                                        ; implicit-def: $vgpr9
                                        ; implicit-def: $vgpr10_vgpr11
                                        ; implicit-def: $vgpr7_vgpr8
                                        ; implicit-def: $vgpr3_vgpr4
.LBB242_19:
	s_andn2_saveexec_b64 s[0:1], s[0:1]
	s_cbranch_execz .LBB242_21
; %bb.20:
	v_lshlrev_b32_e32 v18, 1, v9
	v_ashrrev_i32_e32 v19, 31, v18
	v_lshlrev_b64 v[18:19], 4, v[18:19]
	s_waitcnt lgkmcnt(0)
	v_mov_b32_e32 v0, s3
	v_add_co_u32_e32 v26, vcc, s2, v18
	v_addc_co_u32_e32 v27, vcc, v0, v19, vcc
	global_load_dwordx4 v[18:21], v[26:27], off
	global_load_dwordx4 v[22:25], v[26:27], off offset:16
	v_mul_f64 v[28:29], v[16:17], -v[3:4]
	v_mul_f64 v[16:17], v[1:2], v[16:17]
	v_mul_f64 v[30:31], v[14:15], -v[3:4]
	v_mul_f64 v[14:15], v[1:2], v[14:15]
	v_fma_f64 v[28:29], v[1:2], v[10:11], v[28:29]
	v_fma_f64 v[9:10], v[3:4], v[10:11], v[16:17]
	;; [unrolled: 1-line block ×4, first 2 shown]
	s_waitcnt vmcnt(1)
	v_fma_f64 v[11:12], v[5:6], v[18:19], v[28:29]
	v_fma_f64 v[9:10], v[7:8], v[18:19], v[9:10]
	s_waitcnt vmcnt(0)
	v_fma_f64 v[13:14], v[5:6], v[22:23], v[0:1]
	v_fma_f64 v[15:16], v[7:8], v[22:23], v[2:3]
	v_fma_f64 v[0:1], -v[7:8], v[20:21], v[11:12]
	v_fma_f64 v[2:3], v[5:6], v[20:21], v[9:10]
	v_fma_f64 v[7:8], -v[7:8], v[24:25], v[13:14]
	v_fma_f64 v[9:10], v[5:6], v[24:25], v[15:16]
	global_store_dwordx4 v[26:27], v[0:3], off
	global_store_dwordx4 v[26:27], v[7:10], off offset:16
.LBB242_21:
	s_endpgm
	.section	.rodata,"a",@progbits
	.p2align	6, 0x0
	.amdhsa_kernel _ZN9rocsparseL19gebsrmvn_2xn_kernelILj128ELj4ELj64E21rocsparse_complex_numIdEEEvi20rocsparse_direction_NS_24const_host_device_scalarIT2_EEPKiS8_PKS5_SA_S6_PS5_21rocsparse_index_base_b
		.amdhsa_group_segment_fixed_size 0
		.amdhsa_private_segment_fixed_size 0
		.amdhsa_kernarg_size 88
		.amdhsa_user_sgpr_count 6
		.amdhsa_user_sgpr_private_segment_buffer 1
		.amdhsa_user_sgpr_dispatch_ptr 0
		.amdhsa_user_sgpr_queue_ptr 0
		.amdhsa_user_sgpr_kernarg_segment_ptr 1
		.amdhsa_user_sgpr_dispatch_id 0
		.amdhsa_user_sgpr_flat_scratch_init 0
		.amdhsa_user_sgpr_private_segment_size 0
		.amdhsa_uses_dynamic_stack 0
		.amdhsa_system_sgpr_private_segment_wavefront_offset 0
		.amdhsa_system_sgpr_workgroup_id_x 1
		.amdhsa_system_sgpr_workgroup_id_y 0
		.amdhsa_system_sgpr_workgroup_id_z 0
		.amdhsa_system_sgpr_workgroup_info 0
		.amdhsa_system_vgpr_workitem_id 0
		.amdhsa_next_free_vgpr 50
		.amdhsa_next_free_sgpr 16
		.amdhsa_reserve_vcc 1
		.amdhsa_reserve_flat_scratch 0
		.amdhsa_float_round_mode_32 0
		.amdhsa_float_round_mode_16_64 0
		.amdhsa_float_denorm_mode_32 3
		.amdhsa_float_denorm_mode_16_64 3
		.amdhsa_dx10_clamp 1
		.amdhsa_ieee_mode 1
		.amdhsa_fp16_overflow 0
		.amdhsa_exception_fp_ieee_invalid_op 0
		.amdhsa_exception_fp_denorm_src 0
		.amdhsa_exception_fp_ieee_div_zero 0
		.amdhsa_exception_fp_ieee_overflow 0
		.amdhsa_exception_fp_ieee_underflow 0
		.amdhsa_exception_fp_ieee_inexact 0
		.amdhsa_exception_int_div_zero 0
	.end_amdhsa_kernel
	.section	.text._ZN9rocsparseL19gebsrmvn_2xn_kernelILj128ELj4ELj64E21rocsparse_complex_numIdEEEvi20rocsparse_direction_NS_24const_host_device_scalarIT2_EEPKiS8_PKS5_SA_S6_PS5_21rocsparse_index_base_b,"axG",@progbits,_ZN9rocsparseL19gebsrmvn_2xn_kernelILj128ELj4ELj64E21rocsparse_complex_numIdEEEvi20rocsparse_direction_NS_24const_host_device_scalarIT2_EEPKiS8_PKS5_SA_S6_PS5_21rocsparse_index_base_b,comdat
.Lfunc_end242:
	.size	_ZN9rocsparseL19gebsrmvn_2xn_kernelILj128ELj4ELj64E21rocsparse_complex_numIdEEEvi20rocsparse_direction_NS_24const_host_device_scalarIT2_EEPKiS8_PKS5_SA_S6_PS5_21rocsparse_index_base_b, .Lfunc_end242-_ZN9rocsparseL19gebsrmvn_2xn_kernelILj128ELj4ELj64E21rocsparse_complex_numIdEEEvi20rocsparse_direction_NS_24const_host_device_scalarIT2_EEPKiS8_PKS5_SA_S6_PS5_21rocsparse_index_base_b
                                        ; -- End function
	.set _ZN9rocsparseL19gebsrmvn_2xn_kernelILj128ELj4ELj64E21rocsparse_complex_numIdEEEvi20rocsparse_direction_NS_24const_host_device_scalarIT2_EEPKiS8_PKS5_SA_S6_PS5_21rocsparse_index_base_b.num_vgpr, 50
	.set _ZN9rocsparseL19gebsrmvn_2xn_kernelILj128ELj4ELj64E21rocsparse_complex_numIdEEEvi20rocsparse_direction_NS_24const_host_device_scalarIT2_EEPKiS8_PKS5_SA_S6_PS5_21rocsparse_index_base_b.num_agpr, 0
	.set _ZN9rocsparseL19gebsrmvn_2xn_kernelILj128ELj4ELj64E21rocsparse_complex_numIdEEEvi20rocsparse_direction_NS_24const_host_device_scalarIT2_EEPKiS8_PKS5_SA_S6_PS5_21rocsparse_index_base_b.numbered_sgpr, 16
	.set _ZN9rocsparseL19gebsrmvn_2xn_kernelILj128ELj4ELj64E21rocsparse_complex_numIdEEEvi20rocsparse_direction_NS_24const_host_device_scalarIT2_EEPKiS8_PKS5_SA_S6_PS5_21rocsparse_index_base_b.num_named_barrier, 0
	.set _ZN9rocsparseL19gebsrmvn_2xn_kernelILj128ELj4ELj64E21rocsparse_complex_numIdEEEvi20rocsparse_direction_NS_24const_host_device_scalarIT2_EEPKiS8_PKS5_SA_S6_PS5_21rocsparse_index_base_b.private_seg_size, 0
	.set _ZN9rocsparseL19gebsrmvn_2xn_kernelILj128ELj4ELj64E21rocsparse_complex_numIdEEEvi20rocsparse_direction_NS_24const_host_device_scalarIT2_EEPKiS8_PKS5_SA_S6_PS5_21rocsparse_index_base_b.uses_vcc, 1
	.set _ZN9rocsparseL19gebsrmvn_2xn_kernelILj128ELj4ELj64E21rocsparse_complex_numIdEEEvi20rocsparse_direction_NS_24const_host_device_scalarIT2_EEPKiS8_PKS5_SA_S6_PS5_21rocsparse_index_base_b.uses_flat_scratch, 0
	.set _ZN9rocsparseL19gebsrmvn_2xn_kernelILj128ELj4ELj64E21rocsparse_complex_numIdEEEvi20rocsparse_direction_NS_24const_host_device_scalarIT2_EEPKiS8_PKS5_SA_S6_PS5_21rocsparse_index_base_b.has_dyn_sized_stack, 0
	.set _ZN9rocsparseL19gebsrmvn_2xn_kernelILj128ELj4ELj64E21rocsparse_complex_numIdEEEvi20rocsparse_direction_NS_24const_host_device_scalarIT2_EEPKiS8_PKS5_SA_S6_PS5_21rocsparse_index_base_b.has_recursion, 0
	.set _ZN9rocsparseL19gebsrmvn_2xn_kernelILj128ELj4ELj64E21rocsparse_complex_numIdEEEvi20rocsparse_direction_NS_24const_host_device_scalarIT2_EEPKiS8_PKS5_SA_S6_PS5_21rocsparse_index_base_b.has_indirect_call, 0
	.section	.AMDGPU.csdata,"",@progbits
; Kernel info:
; codeLenInByte = 2408
; TotalNumSgprs: 20
; NumVgprs: 50
; ScratchSize: 0
; MemoryBound: 1
; FloatMode: 240
; IeeeMode: 1
; LDSByteSize: 0 bytes/workgroup (compile time only)
; SGPRBlocks: 2
; VGPRBlocks: 12
; NumSGPRsForWavesPerEU: 20
; NumVGPRsForWavesPerEU: 50
; Occupancy: 4
; WaveLimiterHint : 1
; COMPUTE_PGM_RSRC2:SCRATCH_EN: 0
; COMPUTE_PGM_RSRC2:USER_SGPR: 6
; COMPUTE_PGM_RSRC2:TRAP_HANDLER: 0
; COMPUTE_PGM_RSRC2:TGID_X_EN: 1
; COMPUTE_PGM_RSRC2:TGID_Y_EN: 0
; COMPUTE_PGM_RSRC2:TGID_Z_EN: 0
; COMPUTE_PGM_RSRC2:TIDIG_COMP_CNT: 0
	.section	.text._ZN9rocsparseL19gebsrmvn_2xn_kernelILj128ELj5ELj4E21rocsparse_complex_numIdEEEvi20rocsparse_direction_NS_24const_host_device_scalarIT2_EEPKiS8_PKS5_SA_S6_PS5_21rocsparse_index_base_b,"axG",@progbits,_ZN9rocsparseL19gebsrmvn_2xn_kernelILj128ELj5ELj4E21rocsparse_complex_numIdEEEvi20rocsparse_direction_NS_24const_host_device_scalarIT2_EEPKiS8_PKS5_SA_S6_PS5_21rocsparse_index_base_b,comdat
	.globl	_ZN9rocsparseL19gebsrmvn_2xn_kernelILj128ELj5ELj4E21rocsparse_complex_numIdEEEvi20rocsparse_direction_NS_24const_host_device_scalarIT2_EEPKiS8_PKS5_SA_S6_PS5_21rocsparse_index_base_b ; -- Begin function _ZN9rocsparseL19gebsrmvn_2xn_kernelILj128ELj5ELj4E21rocsparse_complex_numIdEEEvi20rocsparse_direction_NS_24const_host_device_scalarIT2_EEPKiS8_PKS5_SA_S6_PS5_21rocsparse_index_base_b
	.p2align	8
	.type	_ZN9rocsparseL19gebsrmvn_2xn_kernelILj128ELj5ELj4E21rocsparse_complex_numIdEEEvi20rocsparse_direction_NS_24const_host_device_scalarIT2_EEPKiS8_PKS5_SA_S6_PS5_21rocsparse_index_base_b,@function
_ZN9rocsparseL19gebsrmvn_2xn_kernelILj128ELj5ELj4E21rocsparse_complex_numIdEEEvi20rocsparse_direction_NS_24const_host_device_scalarIT2_EEPKiS8_PKS5_SA_S6_PS5_21rocsparse_index_base_b: ; @_ZN9rocsparseL19gebsrmvn_2xn_kernelILj128ELj5ELj4E21rocsparse_complex_numIdEEEvi20rocsparse_direction_NS_24const_host_device_scalarIT2_EEPKiS8_PKS5_SA_S6_PS5_21rocsparse_index_base_b
; %bb.0:
	s_load_dwordx2 s[0:1], s[4:5], 0x8
	s_load_dwordx2 s[8:9], s[4:5], 0x38
	;; [unrolled: 1-line block ×3, first 2 shown]
	s_add_u32 s7, s4, 8
	s_addc_u32 s10, s5, 0
	s_add_u32 s11, s4, 56
	s_addc_u32 s12, s5, 0
	s_waitcnt lgkmcnt(0)
	s_bitcmp1_b32 s3, 0
	s_cselect_b32 s1, s10, s1
	s_cselect_b32 s0, s7, s0
	v_mov_b32_e32 v1, s0
	v_mov_b32_e32 v2, s1
	flat_load_dwordx4 v[1:4], v[1:2]
	s_cselect_b32 s0, s12, s9
	s_cselect_b32 s1, s11, s8
	v_mov_b32_e32 v5, s1
	v_mov_b32_e32 v6, s0
	flat_load_dwordx4 v[5:8], v[5:6]
	s_waitcnt vmcnt(0) lgkmcnt(0)
	v_cmp_eq_f64_e32 vcc, 0, v[1:2]
	v_cmp_eq_f64_e64 s[0:1], 0, v[3:4]
	s_and_b64 s[10:11], vcc, s[0:1]
	s_mov_b64 s[0:1], -1
	s_and_saveexec_b64 s[8:9], s[10:11]
	s_cbranch_execz .LBB243_2
; %bb.1:
	v_cmp_neq_f64_e32 vcc, 1.0, v[5:6]
	v_cmp_neq_f64_e64 s[0:1], 0, v[7:8]
	s_or_b64 s[0:1], vcc, s[0:1]
	s_orn2_b64 s[0:1], s[0:1], exec
.LBB243_2:
	s_or_b64 exec, exec, s[8:9]
	s_and_saveexec_b64 s[8:9], s[0:1]
	s_cbranch_execz .LBB243_21
; %bb.3:
	s_load_dwordx2 s[0:1], s[4:5], 0x0
	v_lshrrev_b32_e32 v9, 2, v0
	v_lshl_or_b32 v9, s6, 5, v9
	s_waitcnt lgkmcnt(0)
	v_cmp_gt_i32_e32 vcc, s0, v9
	s_and_b64 exec, exec, vcc
	s_cbranch_execz .LBB243_21
; %bb.4:
	s_load_dwordx8 s[8:15], s[4:5], 0x18
	v_ashrrev_i32_e32 v10, 31, v9
	v_lshlrev_b64 v[10:11], 2, v[9:10]
	v_and_b32_e32 v0, 3, v0
	s_cmp_lg_u32 s1, 0
	s_waitcnt lgkmcnt(0)
	v_mov_b32_e32 v12, s9
	v_add_co_u32_e32 v10, vcc, s8, v10
	v_addc_co_u32_e32 v11, vcc, v12, v11, vcc
	global_load_dwordx2 v[10:11], v[10:11], off
	s_waitcnt vmcnt(0)
	v_subrev_u32_e32 v10, s2, v10
	v_subrev_u32_e32 v26, s2, v11
	v_add_u32_e32 v10, v10, v0
	v_cmp_lt_i32_e64 s[0:1], v10, v26
	s_cbranch_scc0 .LBB243_10
; %bb.5:
	v_mov_b32_e32 v12, 0
	v_mov_b32_e32 v18, 0
	;; [unrolled: 1-line block ×8, first 2 shown]
	s_and_saveexec_b64 s[6:7], s[0:1]
	s_cbranch_execz .LBB243_9
; %bb.6:
	v_mad_u64_u32 v[20:21], s[8:9], v10, 10, 8
	v_mov_b32_e32 v12, 0
	v_mov_b32_e32 v18, 0
	v_mov_b32_e32 v16, 0
	v_mov_b32_e32 v14, 0
	v_mov_b32_e32 v13, 0
	s_mov_b64 s[8:9], 0
	v_mov_b32_e32 v11, s11
	v_mov_b32_e32 v23, 0
	;; [unrolled: 1-line block ×8, first 2 shown]
.LBB243_7:                              ; =>This Inner Loop Header: Depth=1
	v_ashrrev_i32_e32 v25, 31, v24
	v_lshlrev_b64 v[29:30], 2, v[24:25]
	v_add_u32_e32 v22, -8, v20
	v_lshlrev_b64 v[31:32], 4, v[22:23]
	v_add_co_u32_e32 v37, vcc, s10, v29
	v_mov_b32_e32 v21, v23
	v_addc_co_u32_e32 v38, vcc, v11, v30, vcc
	v_lshlrev_b64 v[33:34], 4, v[20:21]
	v_add_co_u32_e32 v39, vcc, s12, v31
	v_addc_co_u32_e32 v40, vcc, v27, v32, vcc
	v_add_co_u32_e32 v51, vcc, s12, v33
	v_addc_co_u32_e32 v52, vcc, v27, v34, vcc
	global_load_dword v25, v[37:38], off
	global_load_dwordx4 v[29:32], v[39:40], off
	global_load_dwordx4 v[33:36], v[39:40], off offset:16
	v_add_u32_e32 v22, -6, v20
	v_lshlrev_b64 v[21:22], 4, v[22:23]
	v_mov_b32_e32 v50, v23
	v_add_co_u32_e32 v21, vcc, s12, v21
	v_addc_co_u32_e32 v22, vcc, v27, v22, vcc
	global_load_dwordx4 v[37:40], v[21:22], off
	global_load_dwordx4 v[41:44], v[21:22], off offset:16
	v_add_u32_e32 v24, 4, v24
	s_waitcnt vmcnt(4)
	v_subrev_u32_e32 v21, s2, v25
	v_lshl_add_u32 v49, v21, 2, v21
	v_lshlrev_b64 v[45:46], 4, v[49:50]
	v_add_u32_e32 v22, 1, v49
	v_add_co_u32_e32 v45, vcc, s14, v45
	v_addc_co_u32_e32 v46, vcc, v28, v46, vcc
	global_load_dwordx4 v[45:48], v[45:46], off
	v_lshlrev_b64 v[53:54], 4, v[22:23]
	v_add_u32_e32 v22, -4, v20
	s_waitcnt vmcnt(0)
	v_fma_f64 v[12:13], v[31:32], v[45:46], v[12:13]
	v_fma_f64 v[14:15], v[35:36], v[45:46], v[14:15]
	;; [unrolled: 1-line block ×5, first 2 shown]
	v_add_co_u32_e32 v12, vcc, s14, v53
	v_addc_co_u32_e32 v13, vcc, v28, v54, vcc
	v_fma_f64 v[33:34], v[33:34], v[47:48], v[14:15]
	global_load_dwordx4 v[12:15], v[12:13], off
	v_fma_f64 v[31:32], -v[31:32], v[47:48], v[18:19]
	v_fma_f64 v[35:36], -v[35:36], v[47:48], v[16:17]
	v_lshlrev_b64 v[18:19], 4, v[22:23]
	v_add_u32_e32 v22, 2, v49
	v_lshlrev_b64 v[53:54], 4, v[22:23]
	v_add_co_u32_e32 v45, vcc, s12, v18
	v_addc_co_u32_e32 v46, vcc, v27, v19, vcc
	v_add_co_u32_e32 v53, vcc, s14, v53
	v_addc_co_u32_e32 v54, vcc, v28, v54, vcc
	global_load_dwordx4 v[16:19], v[45:46], off
	v_add_u32_e32 v22, -2, v20
	v_lshlrev_b64 v[47:48], 4, v[22:23]
	v_add_u32_e32 v22, 3, v49
	v_lshlrev_b64 v[21:22], 4, v[22:23]
	v_add_u32_e32 v20, 40, v20
	s_waitcnt vmcnt(1)
	v_fma_f64 v[31:32], v[37:38], v[12:13], v[31:32]
	v_fma_f64 v[29:30], v[39:40], v[12:13], v[29:30]
	;; [unrolled: 1-line block ×4, first 2 shown]
	v_fma_f64 v[55:56], -v[39:40], v[14:15], v[31:32]
	v_fma_f64 v[57:58], v[37:38], v[14:15], v[29:30]
	v_fma_f64 v[43:44], -v[43:44], v[14:15], v[35:36]
	v_fma_f64 v[41:42], v[41:42], v[14:15], v[12:13]
	global_load_dwordx4 v[12:15], v[53:54], off
	global_load_dwordx4 v[29:32], v[45:46], off offset:16
	v_add_co_u32_e32 v45, vcc, s12, v47
	v_addc_co_u32_e32 v46, vcc, v27, v48, vcc
	global_load_dwordx4 v[33:36], v[45:46], off
	global_load_dwordx4 v[37:40], v[45:46], off offset:16
	v_add_co_u32_e32 v21, vcc, s14, v21
	v_addc_co_u32_e32 v22, vcc, v28, v22, vcc
	s_waitcnt vmcnt(3)
	v_fma_f64 v[45:46], v[16:17], v[12:13], v[55:56]
	v_fma_f64 v[47:48], v[18:19], v[12:13], v[57:58]
	v_fma_f64 v[45:46], -v[18:19], v[14:15], v[45:46]
	v_fma_f64 v[47:48], v[16:17], v[14:15], v[47:48]
	global_load_dwordx4 v[16:19], v[21:22], off
	s_waitcnt vmcnt(3)
	v_fma_f64 v[21:22], v[29:30], v[12:13], v[43:44]
	v_fma_f64 v[12:13], v[31:32], v[12:13], v[41:42]
	v_fma_f64 v[53:54], -v[31:32], v[14:15], v[21:22]
	v_add_u32_e32 v22, 4, v49
	v_lshlrev_b64 v[21:22], 4, v[22:23]
	v_fma_f64 v[55:56], v[29:30], v[14:15], v[12:13]
	v_add_co_u32_e32 v21, vcc, s14, v21
	v_addc_co_u32_e32 v22, vcc, v28, v22, vcc
	global_load_dwordx4 v[12:15], v[51:52], off
	global_load_dwordx4 v[29:32], v[51:52], off offset:16
	global_load_dwordx4 v[41:44], v[21:22], off
	v_cmp_ge_i32_e32 vcc, v24, v26
	s_or_b64 s[8:9], vcc, s[8:9]
	s_waitcnt vmcnt(3)
	v_fma_f64 v[21:22], v[33:34], v[16:17], v[45:46]
	v_fma_f64 v[45:46], v[35:36], v[16:17], v[47:48]
	;; [unrolled: 1-line block ×4, first 2 shown]
	v_fma_f64 v[21:22], -v[35:36], v[18:19], v[21:22]
	v_fma_f64 v[33:34], v[33:34], v[18:19], v[45:46]
	v_fma_f64 v[35:36], -v[39:40], v[18:19], v[47:48]
	v_fma_f64 v[16:17], v[37:38], v[18:19], v[16:17]
	s_waitcnt vmcnt(0)
	v_fma_f64 v[18:19], v[12:13], v[41:42], v[21:22]
	v_fma_f64 v[21:22], v[14:15], v[41:42], v[33:34]
	;; [unrolled: 1-line block ×4, first 2 shown]
	v_fma_f64 v[18:19], -v[14:15], v[43:44], v[18:19]
	v_fma_f64 v[12:13], v[12:13], v[43:44], v[21:22]
	v_fma_f64 v[16:17], -v[31:32], v[43:44], v[33:34]
	v_fma_f64 v[14:15], v[29:30], v[43:44], v[35:36]
	s_andn2_b64 exec, exec, s[8:9]
	s_cbranch_execnz .LBB243_7
; %bb.8:
	s_or_b64 exec, exec, s[8:9]
.LBB243_9:
	s_or_b64 exec, exec, s[6:7]
	s_cbranch_execz .LBB243_11
	s_branch .LBB243_16
.LBB243_10:
                                        ; implicit-def: $vgpr12_vgpr13
                                        ; implicit-def: $vgpr18_vgpr19
                                        ; implicit-def: $vgpr16_vgpr17
                                        ; implicit-def: $vgpr14_vgpr15
.LBB243_11:
	v_mov_b32_e32 v12, 0
	v_mov_b32_e32 v18, 0
	;; [unrolled: 1-line block ×8, first 2 shown]
	s_and_saveexec_b64 s[6:7], s[0:1]
	s_cbranch_execz .LBB243_15
; %bb.12:
	v_mad_u64_u32 v[20:21], s[0:1], v10, 10, 9
	v_mov_b32_e32 v12, 0
	v_mov_b32_e32 v18, 0
	;; [unrolled: 1-line block ×5, first 2 shown]
	s_mov_b64 s[0:1], 0
	v_mov_b32_e32 v24, s11
	v_mov_b32_e32 v23, 0
	v_mov_b32_e32 v25, s13
	v_mov_b32_e32 v19, 0
	v_mov_b32_e32 v17, 0
	v_mov_b32_e32 v15, 0
	v_mov_b32_e32 v27, s15
.LBB243_13:                             ; =>This Inner Loop Header: Depth=1
	v_ashrrev_i32_e32 v11, 31, v10
	v_lshlrev_b64 v[30:31], 2, v[10:11]
	v_add_u32_e32 v22, -9, v20
	v_lshlrev_b64 v[32:33], 4, v[22:23]
	v_add_co_u32_e32 v36, vcc, s10, v30
	v_add_u32_e32 v28, -4, v20
	v_mov_b32_e32 v29, v23
	v_addc_co_u32_e32 v37, vcc, v24, v31, vcc
	v_lshlrev_b64 v[28:29], 4, v[28:29]
	v_add_co_u32_e32 v38, vcc, s12, v32
	v_addc_co_u32_e32 v39, vcc, v25, v33, vcc
	v_add_co_u32_e32 v46, vcc, s12, v28
	v_addc_co_u32_e32 v47, vcc, v25, v29, vcc
	global_load_dword v11, v[36:37], off
	global_load_dwordx4 v[28:31], v[38:39], off
	global_load_dwordx4 v[32:35], v[38:39], off offset:16
	v_mov_b32_e32 v21, v23
	v_lshlrev_b64 v[21:22], 4, v[20:21]
	v_mov_b32_e32 v45, v23
	v_add_co_u32_e32 v21, vcc, s12, v21
	v_addc_co_u32_e32 v22, vcc, v25, v22, vcc
	v_add_u32_e32 v10, 4, v10
	s_waitcnt vmcnt(2)
	v_subrev_u32_e32 v11, s2, v11
	v_lshl_add_u32 v44, v11, 2, v11
	v_lshlrev_b64 v[36:37], 4, v[44:45]
	v_add_co_u32_e32 v36, vcc, s14, v36
	v_addc_co_u32_e32 v37, vcc, v27, v37, vcc
	global_load_dwordx4 v[36:39], v[36:37], off
	s_waitcnt vmcnt(0)
	v_fma_f64 v[18:19], v[28:29], v[36:37], v[18:19]
	v_fma_f64 v[11:12], v[30:31], v[36:37], v[12:13]
	v_fma_f64 v[18:19], -v[30:31], v[38:39], v[18:19]
	v_fma_f64 v[48:49], v[28:29], v[38:39], v[11:12]
	global_load_dwordx4 v[28:31], v[46:47], off
	global_load_dwordx4 v[40:43], v[21:22], off
	v_add_u32_e32 v22, 1, v44
	s_waitcnt vmcnt(1)
	v_fma_f64 v[11:12], v[28:29], v[36:37], v[16:17]
	v_fma_f64 v[13:14], v[30:31], v[36:37], v[14:15]
	v_fma_f64 v[36:37], -v[30:31], v[38:39], v[11:12]
	v_lshlrev_b64 v[11:12], 4, v[22:23]
	v_add_u32_e32 v22, -3, v20
	v_fma_f64 v[38:39], v[28:29], v[38:39], v[13:14]
	v_lshlrev_b64 v[13:14], 4, v[22:23]
	v_add_co_u32_e32 v11, vcc, s14, v11
	v_addc_co_u32_e32 v12, vcc, v27, v12, vcc
	v_add_co_u32_e32 v15, vcc, s12, v13
	v_addc_co_u32_e32 v16, vcc, v25, v14, vcc
	global_load_dwordx4 v[11:14], v[11:12], off
	v_add_u32_e32 v22, -7, v20
	v_lshlrev_b64 v[28:29], 4, v[22:23]
	v_add_u32_e32 v22, 2, v44
	v_add_co_u32_e32 v28, vcc, s12, v28
	v_addc_co_u32_e32 v29, vcc, v25, v29, vcc
	s_waitcnt vmcnt(0)
	v_fma_f64 v[17:18], v[32:33], v[11:12], v[18:19]
	v_fma_f64 v[30:31], v[34:35], v[11:12], v[48:49]
	v_fma_f64 v[34:35], -v[34:35], v[13:14], v[17:18]
	global_load_dwordx4 v[15:18], v[15:16], off
	v_fma_f64 v[32:33], v[32:33], v[13:14], v[30:31]
	global_load_dwordx4 v[28:31], v[28:29], off
	s_waitcnt vmcnt(1)
	v_fma_f64 v[36:37], v[15:16], v[11:12], v[36:37]
	v_fma_f64 v[11:12], v[17:18], v[11:12], v[38:39]
	v_fma_f64 v[36:37], -v[17:18], v[13:14], v[36:37]
	v_fma_f64 v[38:39], v[15:16], v[13:14], v[11:12]
	v_lshlrev_b64 v[11:12], 4, v[22:23]
	v_add_u32_e32 v22, -2, v20
	v_lshlrev_b64 v[13:14], 4, v[22:23]
	v_add_co_u32_e32 v11, vcc, s14, v11
	v_addc_co_u32_e32 v12, vcc, v27, v12, vcc
	v_add_co_u32_e32 v15, vcc, s12, v13
	v_addc_co_u32_e32 v16, vcc, v25, v14, vcc
	global_load_dwordx4 v[11:14], v[11:12], off
	v_add_u32_e32 v22, -6, v20
	v_lshlrev_b64 v[45:46], 4, v[22:23]
	v_add_u32_e32 v22, 3, v44
	s_waitcnt vmcnt(0)
	v_fma_f64 v[17:18], v[28:29], v[11:12], v[34:35]
	v_fma_f64 v[32:33], v[30:31], v[11:12], v[32:33]
	v_fma_f64 v[34:35], -v[30:31], v[13:14], v[17:18]
	global_load_dwordx4 v[15:18], v[15:16], off
	v_fma_f64 v[32:33], v[28:29], v[13:14], v[32:33]
	v_add_co_u32_e32 v28, vcc, s12, v45
	v_addc_co_u32_e32 v29, vcc, v25, v46, vcc
	global_load_dwordx4 v[28:31], v[28:29], off
	s_waitcnt vmcnt(1)
	v_fma_f64 v[36:37], v[15:16], v[11:12], v[36:37]
	v_fma_f64 v[11:12], v[17:18], v[11:12], v[38:39]
	v_fma_f64 v[36:37], -v[17:18], v[13:14], v[36:37]
	v_fma_f64 v[38:39], v[15:16], v[13:14], v[11:12]
	v_lshlrev_b64 v[11:12], 4, v[22:23]
	v_add_u32_e32 v22, -1, v20
	v_add_co_u32_e32 v11, vcc, s14, v11
	v_addc_co_u32_e32 v12, vcc, v27, v12, vcc
	global_load_dwordx4 v[11:14], v[11:12], off
	v_lshlrev_b64 v[15:16], 4, v[22:23]
	v_add_u32_e32 v22, -5, v20
	v_add_co_u32_e32 v15, vcc, s12, v15
	v_addc_co_u32_e32 v16, vcc, v25, v16, vcc
	v_lshlrev_b64 v[45:46], 4, v[22:23]
	v_add_u32_e32 v22, 4, v44
	v_lshlrev_b64 v[21:22], 4, v[22:23]
	v_add_u32_e32 v20, 40, v20
	s_waitcnt vmcnt(0)
	v_fma_f64 v[17:18], v[28:29], v[11:12], v[34:35]
	v_fma_f64 v[32:33], v[30:31], v[11:12], v[32:33]
	v_fma_f64 v[34:35], -v[30:31], v[13:14], v[17:18]
	global_load_dwordx4 v[15:18], v[15:16], off
	v_fma_f64 v[32:33], v[28:29], v[13:14], v[32:33]
	v_add_co_u32_e32 v28, vcc, s12, v45
	v_addc_co_u32_e32 v29, vcc, v25, v46, vcc
	global_load_dwordx4 v[28:31], v[28:29], off
	v_add_co_u32_e32 v21, vcc, s14, v21
	v_addc_co_u32_e32 v22, vcc, v27, v22, vcc
	v_cmp_ge_i32_e32 vcc, v10, v26
	s_or_b64 s[0:1], vcc, s[0:1]
	s_waitcnt vmcnt(1)
	v_fma_f64 v[36:37], v[15:16], v[11:12], v[36:37]
	v_fma_f64 v[11:12], v[17:18], v[11:12], v[38:39]
	v_fma_f64 v[17:18], -v[17:18], v[13:14], v[36:37]
	v_fma_f64 v[36:37], v[15:16], v[13:14], v[11:12]
	global_load_dwordx4 v[12:15], v[21:22], off
	s_waitcnt vmcnt(0)
	v_fma_f64 v[21:22], v[28:29], v[12:13], v[34:35]
	v_fma_f64 v[32:33], v[30:31], v[12:13], v[32:33]
	;; [unrolled: 1-line block ×4, first 2 shown]
	v_fma_f64 v[18:19], -v[30:31], v[14:15], v[21:22]
	v_fma_f64 v[12:13], v[28:29], v[14:15], v[32:33]
	v_fma_f64 v[16:17], -v[42:43], v[14:15], v[16:17]
	v_fma_f64 v[14:15], v[40:41], v[14:15], v[34:35]
	s_andn2_b64 exec, exec, s[0:1]
	s_cbranch_execnz .LBB243_13
; %bb.14:
	s_or_b64 exec, exec, s[0:1]
.LBB243_15:
	s_or_b64 exec, exec, s[6:7]
.LBB243_16:
	v_mov_b32_dpp v10, v18 row_shr:1 row_mask:0xf bank_mask:0xf
	v_mov_b32_dpp v11, v19 row_shr:1 row_mask:0xf bank_mask:0xf
	v_add_f64 v[10:11], v[18:19], v[10:11]
	v_mov_b32_dpp v18, v12 row_shr:1 row_mask:0xf bank_mask:0xf
	v_mov_b32_dpp v19, v13 row_shr:1 row_mask:0xf bank_mask:0xf
	v_add_f64 v[12:13], v[12:13], v[18:19]
	;; [unrolled: 3-line block ×4, first 2 shown]
	v_mov_b32_dpp v24, v10 row_shr:2 row_mask:0xf bank_mask:0xf
	v_mov_b32_dpp v25, v11 row_shr:2 row_mask:0xf bank_mask:0xf
	;; [unrolled: 1-line block ×6, first 2 shown]
	v_cmp_eq_u32_e32 vcc, 3, v0
	v_mov_b32_dpp v20, v14 row_shr:2 row_mask:0xf bank_mask:0xf
	v_mov_b32_dpp v21, v15 row_shr:2 row_mask:0xf bank_mask:0xf
	s_and_b64 exec, exec, vcc
	s_cbranch_execz .LBB243_21
; %bb.17:
	v_cmp_eq_f64_e32 vcc, 0, v[5:6]
	v_cmp_eq_f64_e64 s[0:1], 0, v[7:8]
	v_add_f64 v[10:11], v[10:11], v[24:25]
	v_add_f64 v[16:17], v[12:13], v[16:17]
	;; [unrolled: 1-line block ×4, first 2 shown]
	s_load_dwordx2 s[2:3], s[4:5], 0x48
	s_and_b64 s[0:1], vcc, s[0:1]
	s_and_saveexec_b64 s[4:5], s[0:1]
	s_xor_b64 s[0:1], exec, s[4:5]
	s_cbranch_execz .LBB243_19
; %bb.18:
	v_mul_f64 v[5:6], v[16:17], -v[3:4]
	v_mul_f64 v[7:8], v[1:2], v[16:17]
	v_mul_f64 v[16:17], v[14:15], -v[3:4]
	v_mul_f64 v[14:15], v[1:2], v[14:15]
	v_lshlrev_b32_e32 v9, 1, v9
	s_waitcnt lgkmcnt(0)
	v_mov_b32_e32 v18, s3
	v_fma_f64 v[5:6], v[1:2], v[10:11], v[5:6]
	v_fma_f64 v[7:8], v[3:4], v[10:11], v[7:8]
	;; [unrolled: 1-line block ×4, first 2 shown]
	v_ashrrev_i32_e32 v10, 31, v9
	v_lshlrev_b64 v[9:10], 4, v[9:10]
                                        ; implicit-def: $vgpr16_vgpr17
                                        ; implicit-def: $vgpr12_vgpr13
                                        ; implicit-def: $vgpr14_vgpr15
	v_add_co_u32_e32 v9, vcc, s2, v9
	v_addc_co_u32_e32 v10, vcc, v18, v10, vcc
	global_store_dwordx4 v[9:10], v[5:8], off
	global_store_dwordx4 v[9:10], v[0:3], off offset:16
                                        ; implicit-def: $vgpr9
                                        ; implicit-def: $vgpr10_vgpr11
                                        ; implicit-def: $vgpr7_vgpr8
                                        ; implicit-def: $vgpr3_vgpr4
.LBB243_19:
	s_andn2_saveexec_b64 s[0:1], s[0:1]
	s_cbranch_execz .LBB243_21
; %bb.20:
	v_lshlrev_b32_e32 v18, 1, v9
	v_ashrrev_i32_e32 v19, 31, v18
	v_lshlrev_b64 v[18:19], 4, v[18:19]
	s_waitcnt lgkmcnt(0)
	v_mov_b32_e32 v0, s3
	v_add_co_u32_e32 v26, vcc, s2, v18
	v_addc_co_u32_e32 v27, vcc, v0, v19, vcc
	global_load_dwordx4 v[18:21], v[26:27], off
	global_load_dwordx4 v[22:25], v[26:27], off offset:16
	v_mul_f64 v[28:29], v[16:17], -v[3:4]
	v_mul_f64 v[16:17], v[1:2], v[16:17]
	v_mul_f64 v[30:31], v[14:15], -v[3:4]
	v_mul_f64 v[14:15], v[1:2], v[14:15]
	v_fma_f64 v[28:29], v[1:2], v[10:11], v[28:29]
	v_fma_f64 v[9:10], v[3:4], v[10:11], v[16:17]
	;; [unrolled: 1-line block ×4, first 2 shown]
	s_waitcnt vmcnt(1)
	v_fma_f64 v[11:12], v[5:6], v[18:19], v[28:29]
	v_fma_f64 v[9:10], v[7:8], v[18:19], v[9:10]
	s_waitcnt vmcnt(0)
	v_fma_f64 v[13:14], v[5:6], v[22:23], v[0:1]
	v_fma_f64 v[15:16], v[7:8], v[22:23], v[2:3]
	v_fma_f64 v[0:1], -v[7:8], v[20:21], v[11:12]
	v_fma_f64 v[2:3], v[5:6], v[20:21], v[9:10]
	v_fma_f64 v[7:8], -v[7:8], v[24:25], v[13:14]
	v_fma_f64 v[9:10], v[5:6], v[24:25], v[15:16]
	global_store_dwordx4 v[26:27], v[0:3], off
	global_store_dwordx4 v[26:27], v[7:10], off offset:16
.LBB243_21:
	s_endpgm
	.section	.rodata,"a",@progbits
	.p2align	6, 0x0
	.amdhsa_kernel _ZN9rocsparseL19gebsrmvn_2xn_kernelILj128ELj5ELj4E21rocsparse_complex_numIdEEEvi20rocsparse_direction_NS_24const_host_device_scalarIT2_EEPKiS8_PKS5_SA_S6_PS5_21rocsparse_index_base_b
		.amdhsa_group_segment_fixed_size 0
		.amdhsa_private_segment_fixed_size 0
		.amdhsa_kernarg_size 88
		.amdhsa_user_sgpr_count 6
		.amdhsa_user_sgpr_private_segment_buffer 1
		.amdhsa_user_sgpr_dispatch_ptr 0
		.amdhsa_user_sgpr_queue_ptr 0
		.amdhsa_user_sgpr_kernarg_segment_ptr 1
		.amdhsa_user_sgpr_dispatch_id 0
		.amdhsa_user_sgpr_flat_scratch_init 0
		.amdhsa_user_sgpr_private_segment_size 0
		.amdhsa_uses_dynamic_stack 0
		.amdhsa_system_sgpr_private_segment_wavefront_offset 0
		.amdhsa_system_sgpr_workgroup_id_x 1
		.amdhsa_system_sgpr_workgroup_id_y 0
		.amdhsa_system_sgpr_workgroup_id_z 0
		.amdhsa_system_sgpr_workgroup_info 0
		.amdhsa_system_vgpr_workitem_id 0
		.amdhsa_next_free_vgpr 59
		.amdhsa_next_free_sgpr 16
		.amdhsa_reserve_vcc 1
		.amdhsa_reserve_flat_scratch 0
		.amdhsa_float_round_mode_32 0
		.amdhsa_float_round_mode_16_64 0
		.amdhsa_float_denorm_mode_32 3
		.amdhsa_float_denorm_mode_16_64 3
		.amdhsa_dx10_clamp 1
		.amdhsa_ieee_mode 1
		.amdhsa_fp16_overflow 0
		.amdhsa_exception_fp_ieee_invalid_op 0
		.amdhsa_exception_fp_denorm_src 0
		.amdhsa_exception_fp_ieee_div_zero 0
		.amdhsa_exception_fp_ieee_overflow 0
		.amdhsa_exception_fp_ieee_underflow 0
		.amdhsa_exception_fp_ieee_inexact 0
		.amdhsa_exception_int_div_zero 0
	.end_amdhsa_kernel
	.section	.text._ZN9rocsparseL19gebsrmvn_2xn_kernelILj128ELj5ELj4E21rocsparse_complex_numIdEEEvi20rocsparse_direction_NS_24const_host_device_scalarIT2_EEPKiS8_PKS5_SA_S6_PS5_21rocsparse_index_base_b,"axG",@progbits,_ZN9rocsparseL19gebsrmvn_2xn_kernelILj128ELj5ELj4E21rocsparse_complex_numIdEEEvi20rocsparse_direction_NS_24const_host_device_scalarIT2_EEPKiS8_PKS5_SA_S6_PS5_21rocsparse_index_base_b,comdat
.Lfunc_end243:
	.size	_ZN9rocsparseL19gebsrmvn_2xn_kernelILj128ELj5ELj4E21rocsparse_complex_numIdEEEvi20rocsparse_direction_NS_24const_host_device_scalarIT2_EEPKiS8_PKS5_SA_S6_PS5_21rocsparse_index_base_b, .Lfunc_end243-_ZN9rocsparseL19gebsrmvn_2xn_kernelILj128ELj5ELj4E21rocsparse_complex_numIdEEEvi20rocsparse_direction_NS_24const_host_device_scalarIT2_EEPKiS8_PKS5_SA_S6_PS5_21rocsparse_index_base_b
                                        ; -- End function
	.set _ZN9rocsparseL19gebsrmvn_2xn_kernelILj128ELj5ELj4E21rocsparse_complex_numIdEEEvi20rocsparse_direction_NS_24const_host_device_scalarIT2_EEPKiS8_PKS5_SA_S6_PS5_21rocsparse_index_base_b.num_vgpr, 59
	.set _ZN9rocsparseL19gebsrmvn_2xn_kernelILj128ELj5ELj4E21rocsparse_complex_numIdEEEvi20rocsparse_direction_NS_24const_host_device_scalarIT2_EEPKiS8_PKS5_SA_S6_PS5_21rocsparse_index_base_b.num_agpr, 0
	.set _ZN9rocsparseL19gebsrmvn_2xn_kernelILj128ELj5ELj4E21rocsparse_complex_numIdEEEvi20rocsparse_direction_NS_24const_host_device_scalarIT2_EEPKiS8_PKS5_SA_S6_PS5_21rocsparse_index_base_b.numbered_sgpr, 16
	.set _ZN9rocsparseL19gebsrmvn_2xn_kernelILj128ELj5ELj4E21rocsparse_complex_numIdEEEvi20rocsparse_direction_NS_24const_host_device_scalarIT2_EEPKiS8_PKS5_SA_S6_PS5_21rocsparse_index_base_b.num_named_barrier, 0
	.set _ZN9rocsparseL19gebsrmvn_2xn_kernelILj128ELj5ELj4E21rocsparse_complex_numIdEEEvi20rocsparse_direction_NS_24const_host_device_scalarIT2_EEPKiS8_PKS5_SA_S6_PS5_21rocsparse_index_base_b.private_seg_size, 0
	.set _ZN9rocsparseL19gebsrmvn_2xn_kernelILj128ELj5ELj4E21rocsparse_complex_numIdEEEvi20rocsparse_direction_NS_24const_host_device_scalarIT2_EEPKiS8_PKS5_SA_S6_PS5_21rocsparse_index_base_b.uses_vcc, 1
	.set _ZN9rocsparseL19gebsrmvn_2xn_kernelILj128ELj5ELj4E21rocsparse_complex_numIdEEEvi20rocsparse_direction_NS_24const_host_device_scalarIT2_EEPKiS8_PKS5_SA_S6_PS5_21rocsparse_index_base_b.uses_flat_scratch, 0
	.set _ZN9rocsparseL19gebsrmvn_2xn_kernelILj128ELj5ELj4E21rocsparse_complex_numIdEEEvi20rocsparse_direction_NS_24const_host_device_scalarIT2_EEPKiS8_PKS5_SA_S6_PS5_21rocsparse_index_base_b.has_dyn_sized_stack, 0
	.set _ZN9rocsparseL19gebsrmvn_2xn_kernelILj128ELj5ELj4E21rocsparse_complex_numIdEEEvi20rocsparse_direction_NS_24const_host_device_scalarIT2_EEPKiS8_PKS5_SA_S6_PS5_21rocsparse_index_base_b.has_recursion, 0
	.set _ZN9rocsparseL19gebsrmvn_2xn_kernelILj128ELj5ELj4E21rocsparse_complex_numIdEEEvi20rocsparse_direction_NS_24const_host_device_scalarIT2_EEPKiS8_PKS5_SA_S6_PS5_21rocsparse_index_base_b.has_indirect_call, 0
	.section	.AMDGPU.csdata,"",@progbits
; Kernel info:
; codeLenInByte = 2628
; TotalNumSgprs: 20
; NumVgprs: 59
; ScratchSize: 0
; MemoryBound: 0
; FloatMode: 240
; IeeeMode: 1
; LDSByteSize: 0 bytes/workgroup (compile time only)
; SGPRBlocks: 2
; VGPRBlocks: 14
; NumSGPRsForWavesPerEU: 20
; NumVGPRsForWavesPerEU: 59
; Occupancy: 4
; WaveLimiterHint : 1
; COMPUTE_PGM_RSRC2:SCRATCH_EN: 0
; COMPUTE_PGM_RSRC2:USER_SGPR: 6
; COMPUTE_PGM_RSRC2:TRAP_HANDLER: 0
; COMPUTE_PGM_RSRC2:TGID_X_EN: 1
; COMPUTE_PGM_RSRC2:TGID_Y_EN: 0
; COMPUTE_PGM_RSRC2:TGID_Z_EN: 0
; COMPUTE_PGM_RSRC2:TIDIG_COMP_CNT: 0
	.section	.text._ZN9rocsparseL19gebsrmvn_2xn_kernelILj128ELj5ELj8E21rocsparse_complex_numIdEEEvi20rocsparse_direction_NS_24const_host_device_scalarIT2_EEPKiS8_PKS5_SA_S6_PS5_21rocsparse_index_base_b,"axG",@progbits,_ZN9rocsparseL19gebsrmvn_2xn_kernelILj128ELj5ELj8E21rocsparse_complex_numIdEEEvi20rocsparse_direction_NS_24const_host_device_scalarIT2_EEPKiS8_PKS5_SA_S6_PS5_21rocsparse_index_base_b,comdat
	.globl	_ZN9rocsparseL19gebsrmvn_2xn_kernelILj128ELj5ELj8E21rocsparse_complex_numIdEEEvi20rocsparse_direction_NS_24const_host_device_scalarIT2_EEPKiS8_PKS5_SA_S6_PS5_21rocsparse_index_base_b ; -- Begin function _ZN9rocsparseL19gebsrmvn_2xn_kernelILj128ELj5ELj8E21rocsparse_complex_numIdEEEvi20rocsparse_direction_NS_24const_host_device_scalarIT2_EEPKiS8_PKS5_SA_S6_PS5_21rocsparse_index_base_b
	.p2align	8
	.type	_ZN9rocsparseL19gebsrmvn_2xn_kernelILj128ELj5ELj8E21rocsparse_complex_numIdEEEvi20rocsparse_direction_NS_24const_host_device_scalarIT2_EEPKiS8_PKS5_SA_S6_PS5_21rocsparse_index_base_b,@function
_ZN9rocsparseL19gebsrmvn_2xn_kernelILj128ELj5ELj8E21rocsparse_complex_numIdEEEvi20rocsparse_direction_NS_24const_host_device_scalarIT2_EEPKiS8_PKS5_SA_S6_PS5_21rocsparse_index_base_b: ; @_ZN9rocsparseL19gebsrmvn_2xn_kernelILj128ELj5ELj8E21rocsparse_complex_numIdEEEvi20rocsparse_direction_NS_24const_host_device_scalarIT2_EEPKiS8_PKS5_SA_S6_PS5_21rocsparse_index_base_b
; %bb.0:
	s_load_dwordx2 s[0:1], s[4:5], 0x8
	s_load_dwordx2 s[8:9], s[4:5], 0x38
	;; [unrolled: 1-line block ×3, first 2 shown]
	s_add_u32 s7, s4, 8
	s_addc_u32 s10, s5, 0
	s_add_u32 s11, s4, 56
	s_addc_u32 s12, s5, 0
	s_waitcnt lgkmcnt(0)
	s_bitcmp1_b32 s3, 0
	s_cselect_b32 s1, s10, s1
	s_cselect_b32 s0, s7, s0
	v_mov_b32_e32 v1, s0
	v_mov_b32_e32 v2, s1
	flat_load_dwordx4 v[1:4], v[1:2]
	s_cselect_b32 s0, s12, s9
	s_cselect_b32 s1, s11, s8
	v_mov_b32_e32 v5, s1
	v_mov_b32_e32 v6, s0
	flat_load_dwordx4 v[5:8], v[5:6]
	s_waitcnt vmcnt(0) lgkmcnt(0)
	v_cmp_eq_f64_e32 vcc, 0, v[1:2]
	v_cmp_eq_f64_e64 s[0:1], 0, v[3:4]
	s_and_b64 s[10:11], vcc, s[0:1]
	s_mov_b64 s[0:1], -1
	s_and_saveexec_b64 s[8:9], s[10:11]
	s_cbranch_execz .LBB244_2
; %bb.1:
	v_cmp_neq_f64_e32 vcc, 1.0, v[5:6]
	v_cmp_neq_f64_e64 s[0:1], 0, v[7:8]
	s_or_b64 s[0:1], vcc, s[0:1]
	s_orn2_b64 s[0:1], s[0:1], exec
.LBB244_2:
	s_or_b64 exec, exec, s[8:9]
	s_and_saveexec_b64 s[8:9], s[0:1]
	s_cbranch_execz .LBB244_21
; %bb.3:
	s_load_dwordx2 s[0:1], s[4:5], 0x0
	v_lshrrev_b32_e32 v9, 3, v0
	v_lshl_or_b32 v9, s6, 4, v9
	s_waitcnt lgkmcnt(0)
	v_cmp_gt_i32_e32 vcc, s0, v9
	s_and_b64 exec, exec, vcc
	s_cbranch_execz .LBB244_21
; %bb.4:
	s_load_dwordx8 s[8:15], s[4:5], 0x18
	v_ashrrev_i32_e32 v10, 31, v9
	v_lshlrev_b64 v[10:11], 2, v[9:10]
	v_and_b32_e32 v0, 7, v0
	s_cmp_lg_u32 s1, 0
	s_waitcnt lgkmcnt(0)
	v_mov_b32_e32 v12, s9
	v_add_co_u32_e32 v10, vcc, s8, v10
	v_addc_co_u32_e32 v11, vcc, v12, v11, vcc
	global_load_dwordx2 v[10:11], v[10:11], off
	s_waitcnt vmcnt(0)
	v_subrev_u32_e32 v10, s2, v10
	v_subrev_u32_e32 v26, s2, v11
	v_add_u32_e32 v10, v10, v0
	v_cmp_lt_i32_e64 s[0:1], v10, v26
	s_cbranch_scc0 .LBB244_10
; %bb.5:
	v_mov_b32_e32 v12, 0
	v_mov_b32_e32 v18, 0
	;; [unrolled: 1-line block ×8, first 2 shown]
	s_and_saveexec_b64 s[6:7], s[0:1]
	s_cbranch_execz .LBB244_9
; %bb.6:
	v_mad_u64_u32 v[20:21], s[8:9], v10, 10, 8
	v_mov_b32_e32 v12, 0
	v_mov_b32_e32 v18, 0
	;; [unrolled: 1-line block ×5, first 2 shown]
	s_mov_b64 s[8:9], 0
	v_mov_b32_e32 v11, s11
	v_mov_b32_e32 v23, 0
	;; [unrolled: 1-line block ×8, first 2 shown]
.LBB244_7:                              ; =>This Inner Loop Header: Depth=1
	v_ashrrev_i32_e32 v25, 31, v24
	v_lshlrev_b64 v[29:30], 2, v[24:25]
	v_add_u32_e32 v22, -8, v20
	v_lshlrev_b64 v[31:32], 4, v[22:23]
	v_add_co_u32_e32 v37, vcc, s10, v29
	v_mov_b32_e32 v21, v23
	v_addc_co_u32_e32 v38, vcc, v11, v30, vcc
	v_lshlrev_b64 v[33:34], 4, v[20:21]
	v_add_co_u32_e32 v39, vcc, s12, v31
	v_addc_co_u32_e32 v40, vcc, v27, v32, vcc
	v_add_co_u32_e32 v51, vcc, s12, v33
	v_addc_co_u32_e32 v52, vcc, v27, v34, vcc
	global_load_dword v25, v[37:38], off
	global_load_dwordx4 v[29:32], v[39:40], off
	global_load_dwordx4 v[33:36], v[39:40], off offset:16
	v_add_u32_e32 v22, -6, v20
	v_lshlrev_b64 v[21:22], 4, v[22:23]
	v_mov_b32_e32 v50, v23
	v_add_co_u32_e32 v21, vcc, s12, v21
	v_addc_co_u32_e32 v22, vcc, v27, v22, vcc
	global_load_dwordx4 v[37:40], v[21:22], off
	global_load_dwordx4 v[41:44], v[21:22], off offset:16
	v_add_u32_e32 v24, 8, v24
	s_waitcnt vmcnt(4)
	v_subrev_u32_e32 v21, s2, v25
	v_lshl_add_u32 v49, v21, 2, v21
	v_lshlrev_b64 v[45:46], 4, v[49:50]
	v_add_u32_e32 v22, 1, v49
	v_add_co_u32_e32 v45, vcc, s14, v45
	v_addc_co_u32_e32 v46, vcc, v28, v46, vcc
	global_load_dwordx4 v[45:48], v[45:46], off
	v_lshlrev_b64 v[53:54], 4, v[22:23]
	v_add_u32_e32 v22, -4, v20
	s_waitcnt vmcnt(0)
	v_fma_f64 v[12:13], v[31:32], v[45:46], v[12:13]
	v_fma_f64 v[14:15], v[35:36], v[45:46], v[14:15]
	;; [unrolled: 1-line block ×5, first 2 shown]
	v_add_co_u32_e32 v12, vcc, s14, v53
	v_addc_co_u32_e32 v13, vcc, v28, v54, vcc
	v_fma_f64 v[33:34], v[33:34], v[47:48], v[14:15]
	global_load_dwordx4 v[12:15], v[12:13], off
	v_fma_f64 v[31:32], -v[31:32], v[47:48], v[18:19]
	v_fma_f64 v[35:36], -v[35:36], v[47:48], v[16:17]
	v_lshlrev_b64 v[18:19], 4, v[22:23]
	v_add_u32_e32 v22, 2, v49
	v_lshlrev_b64 v[53:54], 4, v[22:23]
	v_add_co_u32_e32 v45, vcc, s12, v18
	v_addc_co_u32_e32 v46, vcc, v27, v19, vcc
	v_add_co_u32_e32 v53, vcc, s14, v53
	v_addc_co_u32_e32 v54, vcc, v28, v54, vcc
	global_load_dwordx4 v[16:19], v[45:46], off
	v_add_u32_e32 v22, -2, v20
	v_lshlrev_b64 v[47:48], 4, v[22:23]
	v_add_u32_e32 v22, 3, v49
	v_lshlrev_b64 v[21:22], 4, v[22:23]
	v_add_u32_e32 v20, 0x50, v20
	s_waitcnt vmcnt(1)
	v_fma_f64 v[31:32], v[37:38], v[12:13], v[31:32]
	v_fma_f64 v[29:30], v[39:40], v[12:13], v[29:30]
	;; [unrolled: 1-line block ×4, first 2 shown]
	v_fma_f64 v[55:56], -v[39:40], v[14:15], v[31:32]
	v_fma_f64 v[57:58], v[37:38], v[14:15], v[29:30]
	v_fma_f64 v[43:44], -v[43:44], v[14:15], v[35:36]
	v_fma_f64 v[41:42], v[41:42], v[14:15], v[12:13]
	global_load_dwordx4 v[12:15], v[53:54], off
	global_load_dwordx4 v[29:32], v[45:46], off offset:16
	v_add_co_u32_e32 v45, vcc, s12, v47
	v_addc_co_u32_e32 v46, vcc, v27, v48, vcc
	global_load_dwordx4 v[33:36], v[45:46], off
	global_load_dwordx4 v[37:40], v[45:46], off offset:16
	v_add_co_u32_e32 v21, vcc, s14, v21
	v_addc_co_u32_e32 v22, vcc, v28, v22, vcc
	s_waitcnt vmcnt(3)
	v_fma_f64 v[45:46], v[16:17], v[12:13], v[55:56]
	v_fma_f64 v[47:48], v[18:19], v[12:13], v[57:58]
	v_fma_f64 v[45:46], -v[18:19], v[14:15], v[45:46]
	v_fma_f64 v[47:48], v[16:17], v[14:15], v[47:48]
	global_load_dwordx4 v[16:19], v[21:22], off
	s_waitcnt vmcnt(3)
	v_fma_f64 v[21:22], v[29:30], v[12:13], v[43:44]
	v_fma_f64 v[12:13], v[31:32], v[12:13], v[41:42]
	v_fma_f64 v[53:54], -v[31:32], v[14:15], v[21:22]
	v_add_u32_e32 v22, 4, v49
	v_lshlrev_b64 v[21:22], 4, v[22:23]
	v_fma_f64 v[55:56], v[29:30], v[14:15], v[12:13]
	v_add_co_u32_e32 v21, vcc, s14, v21
	v_addc_co_u32_e32 v22, vcc, v28, v22, vcc
	global_load_dwordx4 v[12:15], v[51:52], off
	global_load_dwordx4 v[29:32], v[51:52], off offset:16
	global_load_dwordx4 v[41:44], v[21:22], off
	v_cmp_ge_i32_e32 vcc, v24, v26
	s_or_b64 s[8:9], vcc, s[8:9]
	s_waitcnt vmcnt(3)
	v_fma_f64 v[21:22], v[33:34], v[16:17], v[45:46]
	v_fma_f64 v[45:46], v[35:36], v[16:17], v[47:48]
	;; [unrolled: 1-line block ×4, first 2 shown]
	v_fma_f64 v[21:22], -v[35:36], v[18:19], v[21:22]
	v_fma_f64 v[33:34], v[33:34], v[18:19], v[45:46]
	v_fma_f64 v[35:36], -v[39:40], v[18:19], v[47:48]
	v_fma_f64 v[16:17], v[37:38], v[18:19], v[16:17]
	s_waitcnt vmcnt(0)
	v_fma_f64 v[18:19], v[12:13], v[41:42], v[21:22]
	v_fma_f64 v[21:22], v[14:15], v[41:42], v[33:34]
	;; [unrolled: 1-line block ×4, first 2 shown]
	v_fma_f64 v[18:19], -v[14:15], v[43:44], v[18:19]
	v_fma_f64 v[12:13], v[12:13], v[43:44], v[21:22]
	v_fma_f64 v[16:17], -v[31:32], v[43:44], v[33:34]
	v_fma_f64 v[14:15], v[29:30], v[43:44], v[35:36]
	s_andn2_b64 exec, exec, s[8:9]
	s_cbranch_execnz .LBB244_7
; %bb.8:
	s_or_b64 exec, exec, s[8:9]
.LBB244_9:
	s_or_b64 exec, exec, s[6:7]
	s_cbranch_execz .LBB244_11
	s_branch .LBB244_16
.LBB244_10:
                                        ; implicit-def: $vgpr12_vgpr13
                                        ; implicit-def: $vgpr18_vgpr19
                                        ; implicit-def: $vgpr16_vgpr17
                                        ; implicit-def: $vgpr14_vgpr15
.LBB244_11:
	v_mov_b32_e32 v12, 0
	v_mov_b32_e32 v18, 0
	;; [unrolled: 1-line block ×8, first 2 shown]
	s_and_saveexec_b64 s[6:7], s[0:1]
	s_cbranch_execz .LBB244_15
; %bb.12:
	v_mad_u64_u32 v[20:21], s[0:1], v10, 10, 9
	v_mov_b32_e32 v12, 0
	v_mov_b32_e32 v18, 0
	;; [unrolled: 1-line block ×5, first 2 shown]
	s_mov_b64 s[0:1], 0
	v_mov_b32_e32 v24, s11
	v_mov_b32_e32 v23, 0
	;; [unrolled: 1-line block ×7, first 2 shown]
.LBB244_13:                             ; =>This Inner Loop Header: Depth=1
	v_ashrrev_i32_e32 v11, 31, v10
	v_lshlrev_b64 v[30:31], 2, v[10:11]
	v_add_u32_e32 v22, -9, v20
	v_lshlrev_b64 v[32:33], 4, v[22:23]
	v_add_co_u32_e32 v36, vcc, s10, v30
	v_add_u32_e32 v28, -4, v20
	v_mov_b32_e32 v29, v23
	v_addc_co_u32_e32 v37, vcc, v24, v31, vcc
	v_lshlrev_b64 v[28:29], 4, v[28:29]
	v_add_co_u32_e32 v38, vcc, s12, v32
	v_addc_co_u32_e32 v39, vcc, v25, v33, vcc
	v_add_co_u32_e32 v46, vcc, s12, v28
	v_addc_co_u32_e32 v47, vcc, v25, v29, vcc
	global_load_dword v11, v[36:37], off
	global_load_dwordx4 v[28:31], v[38:39], off
	global_load_dwordx4 v[32:35], v[38:39], off offset:16
	v_mov_b32_e32 v21, v23
	v_lshlrev_b64 v[21:22], 4, v[20:21]
	v_mov_b32_e32 v45, v23
	v_add_co_u32_e32 v21, vcc, s12, v21
	v_addc_co_u32_e32 v22, vcc, v25, v22, vcc
	v_add_u32_e32 v10, 8, v10
	s_waitcnt vmcnt(2)
	v_subrev_u32_e32 v11, s2, v11
	v_lshl_add_u32 v44, v11, 2, v11
	v_lshlrev_b64 v[36:37], 4, v[44:45]
	v_add_co_u32_e32 v36, vcc, s14, v36
	v_addc_co_u32_e32 v37, vcc, v27, v37, vcc
	global_load_dwordx4 v[36:39], v[36:37], off
	s_waitcnt vmcnt(0)
	v_fma_f64 v[18:19], v[28:29], v[36:37], v[18:19]
	v_fma_f64 v[11:12], v[30:31], v[36:37], v[12:13]
	v_fma_f64 v[18:19], -v[30:31], v[38:39], v[18:19]
	v_fma_f64 v[48:49], v[28:29], v[38:39], v[11:12]
	global_load_dwordx4 v[28:31], v[46:47], off
	global_load_dwordx4 v[40:43], v[21:22], off
	v_add_u32_e32 v22, 1, v44
	s_waitcnt vmcnt(1)
	v_fma_f64 v[11:12], v[28:29], v[36:37], v[16:17]
	v_fma_f64 v[13:14], v[30:31], v[36:37], v[14:15]
	v_fma_f64 v[36:37], -v[30:31], v[38:39], v[11:12]
	v_lshlrev_b64 v[11:12], 4, v[22:23]
	v_add_u32_e32 v22, -3, v20
	v_fma_f64 v[38:39], v[28:29], v[38:39], v[13:14]
	v_lshlrev_b64 v[13:14], 4, v[22:23]
	v_add_co_u32_e32 v11, vcc, s14, v11
	v_addc_co_u32_e32 v12, vcc, v27, v12, vcc
	v_add_co_u32_e32 v15, vcc, s12, v13
	v_addc_co_u32_e32 v16, vcc, v25, v14, vcc
	global_load_dwordx4 v[11:14], v[11:12], off
	v_add_u32_e32 v22, -7, v20
	v_lshlrev_b64 v[28:29], 4, v[22:23]
	v_add_u32_e32 v22, 2, v44
	v_add_co_u32_e32 v28, vcc, s12, v28
	v_addc_co_u32_e32 v29, vcc, v25, v29, vcc
	s_waitcnt vmcnt(0)
	v_fma_f64 v[17:18], v[32:33], v[11:12], v[18:19]
	v_fma_f64 v[30:31], v[34:35], v[11:12], v[48:49]
	v_fma_f64 v[34:35], -v[34:35], v[13:14], v[17:18]
	global_load_dwordx4 v[15:18], v[15:16], off
	v_fma_f64 v[32:33], v[32:33], v[13:14], v[30:31]
	global_load_dwordx4 v[28:31], v[28:29], off
	s_waitcnt vmcnt(1)
	v_fma_f64 v[36:37], v[15:16], v[11:12], v[36:37]
	v_fma_f64 v[11:12], v[17:18], v[11:12], v[38:39]
	v_fma_f64 v[36:37], -v[17:18], v[13:14], v[36:37]
	v_fma_f64 v[38:39], v[15:16], v[13:14], v[11:12]
	v_lshlrev_b64 v[11:12], 4, v[22:23]
	v_add_u32_e32 v22, -2, v20
	v_lshlrev_b64 v[13:14], 4, v[22:23]
	v_add_co_u32_e32 v11, vcc, s14, v11
	v_addc_co_u32_e32 v12, vcc, v27, v12, vcc
	v_add_co_u32_e32 v15, vcc, s12, v13
	v_addc_co_u32_e32 v16, vcc, v25, v14, vcc
	global_load_dwordx4 v[11:14], v[11:12], off
	v_add_u32_e32 v22, -6, v20
	v_lshlrev_b64 v[45:46], 4, v[22:23]
	v_add_u32_e32 v22, 3, v44
	s_waitcnt vmcnt(0)
	v_fma_f64 v[17:18], v[28:29], v[11:12], v[34:35]
	v_fma_f64 v[32:33], v[30:31], v[11:12], v[32:33]
	v_fma_f64 v[34:35], -v[30:31], v[13:14], v[17:18]
	global_load_dwordx4 v[15:18], v[15:16], off
	v_fma_f64 v[32:33], v[28:29], v[13:14], v[32:33]
	v_add_co_u32_e32 v28, vcc, s12, v45
	v_addc_co_u32_e32 v29, vcc, v25, v46, vcc
	global_load_dwordx4 v[28:31], v[28:29], off
	s_waitcnt vmcnt(1)
	v_fma_f64 v[36:37], v[15:16], v[11:12], v[36:37]
	v_fma_f64 v[11:12], v[17:18], v[11:12], v[38:39]
	v_fma_f64 v[36:37], -v[17:18], v[13:14], v[36:37]
	v_fma_f64 v[38:39], v[15:16], v[13:14], v[11:12]
	v_lshlrev_b64 v[11:12], 4, v[22:23]
	v_add_u32_e32 v22, -1, v20
	v_add_co_u32_e32 v11, vcc, s14, v11
	v_addc_co_u32_e32 v12, vcc, v27, v12, vcc
	global_load_dwordx4 v[11:14], v[11:12], off
	v_lshlrev_b64 v[15:16], 4, v[22:23]
	v_add_u32_e32 v22, -5, v20
	v_add_co_u32_e32 v15, vcc, s12, v15
	v_addc_co_u32_e32 v16, vcc, v25, v16, vcc
	v_lshlrev_b64 v[45:46], 4, v[22:23]
	v_add_u32_e32 v22, 4, v44
	v_lshlrev_b64 v[21:22], 4, v[22:23]
	v_add_u32_e32 v20, 0x50, v20
	s_waitcnt vmcnt(0)
	v_fma_f64 v[17:18], v[28:29], v[11:12], v[34:35]
	v_fma_f64 v[32:33], v[30:31], v[11:12], v[32:33]
	v_fma_f64 v[34:35], -v[30:31], v[13:14], v[17:18]
	global_load_dwordx4 v[15:18], v[15:16], off
	v_fma_f64 v[32:33], v[28:29], v[13:14], v[32:33]
	v_add_co_u32_e32 v28, vcc, s12, v45
	v_addc_co_u32_e32 v29, vcc, v25, v46, vcc
	global_load_dwordx4 v[28:31], v[28:29], off
	v_add_co_u32_e32 v21, vcc, s14, v21
	v_addc_co_u32_e32 v22, vcc, v27, v22, vcc
	v_cmp_ge_i32_e32 vcc, v10, v26
	s_or_b64 s[0:1], vcc, s[0:1]
	s_waitcnt vmcnt(1)
	v_fma_f64 v[36:37], v[15:16], v[11:12], v[36:37]
	v_fma_f64 v[11:12], v[17:18], v[11:12], v[38:39]
	v_fma_f64 v[17:18], -v[17:18], v[13:14], v[36:37]
	v_fma_f64 v[36:37], v[15:16], v[13:14], v[11:12]
	global_load_dwordx4 v[12:15], v[21:22], off
	s_waitcnt vmcnt(0)
	v_fma_f64 v[21:22], v[28:29], v[12:13], v[34:35]
	v_fma_f64 v[32:33], v[30:31], v[12:13], v[32:33]
	;; [unrolled: 1-line block ×4, first 2 shown]
	v_fma_f64 v[18:19], -v[30:31], v[14:15], v[21:22]
	v_fma_f64 v[12:13], v[28:29], v[14:15], v[32:33]
	v_fma_f64 v[16:17], -v[42:43], v[14:15], v[16:17]
	v_fma_f64 v[14:15], v[40:41], v[14:15], v[34:35]
	s_andn2_b64 exec, exec, s[0:1]
	s_cbranch_execnz .LBB244_13
; %bb.14:
	s_or_b64 exec, exec, s[0:1]
.LBB244_15:
	s_or_b64 exec, exec, s[6:7]
.LBB244_16:
	v_mov_b32_dpp v10, v18 row_shr:1 row_mask:0xf bank_mask:0xf
	v_mov_b32_dpp v11, v19 row_shr:1 row_mask:0xf bank_mask:0xf
	v_add_f64 v[10:11], v[18:19], v[10:11]
	v_mov_b32_dpp v18, v12 row_shr:1 row_mask:0xf bank_mask:0xf
	v_mov_b32_dpp v19, v13 row_shr:1 row_mask:0xf bank_mask:0xf
	;; [unrolled: 1-line block ×4, first 2 shown]
	v_add_f64 v[12:13], v[12:13], v[18:19]
	v_add_f64 v[16:17], v[16:17], v[20:21]
	v_mov_b32_dpp v20, v14 row_shr:1 row_mask:0xf bank_mask:0xf
	v_mov_b32_dpp v21, v15 row_shr:1 row_mask:0xf bank_mask:0xf
	v_add_f64 v[14:15], v[14:15], v[20:21]
	v_mov_b32_dpp v18, v10 row_shr:2 row_mask:0xf bank_mask:0xf
	v_mov_b32_dpp v19, v11 row_shr:2 row_mask:0xf bank_mask:0xf
	;; [unrolled: 3-line block ×6, first 2 shown]
	v_mov_b32_dpp v16, v12 row_shr:4 row_mask:0xf bank_mask:0xe
	v_mov_b32_dpp v17, v13 row_shr:4 row_mask:0xf bank_mask:0xe
	;; [unrolled: 1-line block ×4, first 2 shown]
	v_cmp_eq_u32_e32 vcc, 7, v0
	v_mov_b32_dpp v20, v14 row_shr:4 row_mask:0xf bank_mask:0xe
	v_mov_b32_dpp v21, v15 row_shr:4 row_mask:0xf bank_mask:0xe
	s_and_b64 exec, exec, vcc
	s_cbranch_execz .LBB244_21
; %bb.17:
	v_cmp_eq_f64_e32 vcc, 0, v[5:6]
	v_cmp_eq_f64_e64 s[0:1], 0, v[7:8]
	v_add_f64 v[10:11], v[10:11], v[24:25]
	v_add_f64 v[16:17], v[12:13], v[16:17]
	v_add_f64 v[12:13], v[18:19], v[22:23]
	v_add_f64 v[14:15], v[14:15], v[20:21]
	s_load_dwordx2 s[2:3], s[4:5], 0x48
	s_and_b64 s[0:1], vcc, s[0:1]
	s_and_saveexec_b64 s[4:5], s[0:1]
	s_xor_b64 s[0:1], exec, s[4:5]
	s_cbranch_execz .LBB244_19
; %bb.18:
	v_mul_f64 v[5:6], v[16:17], -v[3:4]
	v_mul_f64 v[7:8], v[1:2], v[16:17]
	v_mul_f64 v[16:17], v[14:15], -v[3:4]
	v_mul_f64 v[14:15], v[1:2], v[14:15]
	v_lshlrev_b32_e32 v9, 1, v9
	s_waitcnt lgkmcnt(0)
	v_mov_b32_e32 v18, s3
	v_fma_f64 v[5:6], v[1:2], v[10:11], v[5:6]
	v_fma_f64 v[7:8], v[3:4], v[10:11], v[7:8]
	;; [unrolled: 1-line block ×4, first 2 shown]
	v_ashrrev_i32_e32 v10, 31, v9
	v_lshlrev_b64 v[9:10], 4, v[9:10]
                                        ; implicit-def: $vgpr16_vgpr17
                                        ; implicit-def: $vgpr12_vgpr13
                                        ; implicit-def: $vgpr14_vgpr15
	v_add_co_u32_e32 v9, vcc, s2, v9
	v_addc_co_u32_e32 v10, vcc, v18, v10, vcc
	global_store_dwordx4 v[9:10], v[5:8], off
	global_store_dwordx4 v[9:10], v[0:3], off offset:16
                                        ; implicit-def: $vgpr9
                                        ; implicit-def: $vgpr10_vgpr11
                                        ; implicit-def: $vgpr7_vgpr8
                                        ; implicit-def: $vgpr3_vgpr4
.LBB244_19:
	s_andn2_saveexec_b64 s[0:1], s[0:1]
	s_cbranch_execz .LBB244_21
; %bb.20:
	v_lshlrev_b32_e32 v18, 1, v9
	v_ashrrev_i32_e32 v19, 31, v18
	v_lshlrev_b64 v[18:19], 4, v[18:19]
	s_waitcnt lgkmcnt(0)
	v_mov_b32_e32 v0, s3
	v_add_co_u32_e32 v26, vcc, s2, v18
	v_addc_co_u32_e32 v27, vcc, v0, v19, vcc
	global_load_dwordx4 v[18:21], v[26:27], off
	global_load_dwordx4 v[22:25], v[26:27], off offset:16
	v_mul_f64 v[28:29], v[16:17], -v[3:4]
	v_mul_f64 v[16:17], v[1:2], v[16:17]
	v_mul_f64 v[30:31], v[14:15], -v[3:4]
	v_mul_f64 v[14:15], v[1:2], v[14:15]
	v_fma_f64 v[28:29], v[1:2], v[10:11], v[28:29]
	v_fma_f64 v[9:10], v[3:4], v[10:11], v[16:17]
	;; [unrolled: 1-line block ×4, first 2 shown]
	s_waitcnt vmcnt(1)
	v_fma_f64 v[11:12], v[5:6], v[18:19], v[28:29]
	v_fma_f64 v[9:10], v[7:8], v[18:19], v[9:10]
	s_waitcnt vmcnt(0)
	v_fma_f64 v[13:14], v[5:6], v[22:23], v[0:1]
	v_fma_f64 v[15:16], v[7:8], v[22:23], v[2:3]
	v_fma_f64 v[0:1], -v[7:8], v[20:21], v[11:12]
	v_fma_f64 v[2:3], v[5:6], v[20:21], v[9:10]
	v_fma_f64 v[7:8], -v[7:8], v[24:25], v[13:14]
	v_fma_f64 v[9:10], v[5:6], v[24:25], v[15:16]
	global_store_dwordx4 v[26:27], v[0:3], off
	global_store_dwordx4 v[26:27], v[7:10], off offset:16
.LBB244_21:
	s_endpgm
	.section	.rodata,"a",@progbits
	.p2align	6, 0x0
	.amdhsa_kernel _ZN9rocsparseL19gebsrmvn_2xn_kernelILj128ELj5ELj8E21rocsparse_complex_numIdEEEvi20rocsparse_direction_NS_24const_host_device_scalarIT2_EEPKiS8_PKS5_SA_S6_PS5_21rocsparse_index_base_b
		.amdhsa_group_segment_fixed_size 0
		.amdhsa_private_segment_fixed_size 0
		.amdhsa_kernarg_size 88
		.amdhsa_user_sgpr_count 6
		.amdhsa_user_sgpr_private_segment_buffer 1
		.amdhsa_user_sgpr_dispatch_ptr 0
		.amdhsa_user_sgpr_queue_ptr 0
		.amdhsa_user_sgpr_kernarg_segment_ptr 1
		.amdhsa_user_sgpr_dispatch_id 0
		.amdhsa_user_sgpr_flat_scratch_init 0
		.amdhsa_user_sgpr_private_segment_size 0
		.amdhsa_uses_dynamic_stack 0
		.amdhsa_system_sgpr_private_segment_wavefront_offset 0
		.amdhsa_system_sgpr_workgroup_id_x 1
		.amdhsa_system_sgpr_workgroup_id_y 0
		.amdhsa_system_sgpr_workgroup_id_z 0
		.amdhsa_system_sgpr_workgroup_info 0
		.amdhsa_system_vgpr_workitem_id 0
		.amdhsa_next_free_vgpr 59
		.amdhsa_next_free_sgpr 16
		.amdhsa_reserve_vcc 1
		.amdhsa_reserve_flat_scratch 0
		.amdhsa_float_round_mode_32 0
		.amdhsa_float_round_mode_16_64 0
		.amdhsa_float_denorm_mode_32 3
		.amdhsa_float_denorm_mode_16_64 3
		.amdhsa_dx10_clamp 1
		.amdhsa_ieee_mode 1
		.amdhsa_fp16_overflow 0
		.amdhsa_exception_fp_ieee_invalid_op 0
		.amdhsa_exception_fp_denorm_src 0
		.amdhsa_exception_fp_ieee_div_zero 0
		.amdhsa_exception_fp_ieee_overflow 0
		.amdhsa_exception_fp_ieee_underflow 0
		.amdhsa_exception_fp_ieee_inexact 0
		.amdhsa_exception_int_div_zero 0
	.end_amdhsa_kernel
	.section	.text._ZN9rocsparseL19gebsrmvn_2xn_kernelILj128ELj5ELj8E21rocsparse_complex_numIdEEEvi20rocsparse_direction_NS_24const_host_device_scalarIT2_EEPKiS8_PKS5_SA_S6_PS5_21rocsparse_index_base_b,"axG",@progbits,_ZN9rocsparseL19gebsrmvn_2xn_kernelILj128ELj5ELj8E21rocsparse_complex_numIdEEEvi20rocsparse_direction_NS_24const_host_device_scalarIT2_EEPKiS8_PKS5_SA_S6_PS5_21rocsparse_index_base_b,comdat
.Lfunc_end244:
	.size	_ZN9rocsparseL19gebsrmvn_2xn_kernelILj128ELj5ELj8E21rocsparse_complex_numIdEEEvi20rocsparse_direction_NS_24const_host_device_scalarIT2_EEPKiS8_PKS5_SA_S6_PS5_21rocsparse_index_base_b, .Lfunc_end244-_ZN9rocsparseL19gebsrmvn_2xn_kernelILj128ELj5ELj8E21rocsparse_complex_numIdEEEvi20rocsparse_direction_NS_24const_host_device_scalarIT2_EEPKiS8_PKS5_SA_S6_PS5_21rocsparse_index_base_b
                                        ; -- End function
	.set _ZN9rocsparseL19gebsrmvn_2xn_kernelILj128ELj5ELj8E21rocsparse_complex_numIdEEEvi20rocsparse_direction_NS_24const_host_device_scalarIT2_EEPKiS8_PKS5_SA_S6_PS5_21rocsparse_index_base_b.num_vgpr, 59
	.set _ZN9rocsparseL19gebsrmvn_2xn_kernelILj128ELj5ELj8E21rocsparse_complex_numIdEEEvi20rocsparse_direction_NS_24const_host_device_scalarIT2_EEPKiS8_PKS5_SA_S6_PS5_21rocsparse_index_base_b.num_agpr, 0
	.set _ZN9rocsparseL19gebsrmvn_2xn_kernelILj128ELj5ELj8E21rocsparse_complex_numIdEEEvi20rocsparse_direction_NS_24const_host_device_scalarIT2_EEPKiS8_PKS5_SA_S6_PS5_21rocsparse_index_base_b.numbered_sgpr, 16
	.set _ZN9rocsparseL19gebsrmvn_2xn_kernelILj128ELj5ELj8E21rocsparse_complex_numIdEEEvi20rocsparse_direction_NS_24const_host_device_scalarIT2_EEPKiS8_PKS5_SA_S6_PS5_21rocsparse_index_base_b.num_named_barrier, 0
	.set _ZN9rocsparseL19gebsrmvn_2xn_kernelILj128ELj5ELj8E21rocsparse_complex_numIdEEEvi20rocsparse_direction_NS_24const_host_device_scalarIT2_EEPKiS8_PKS5_SA_S6_PS5_21rocsparse_index_base_b.private_seg_size, 0
	.set _ZN9rocsparseL19gebsrmvn_2xn_kernelILj128ELj5ELj8E21rocsparse_complex_numIdEEEvi20rocsparse_direction_NS_24const_host_device_scalarIT2_EEPKiS8_PKS5_SA_S6_PS5_21rocsparse_index_base_b.uses_vcc, 1
	.set _ZN9rocsparseL19gebsrmvn_2xn_kernelILj128ELj5ELj8E21rocsparse_complex_numIdEEEvi20rocsparse_direction_NS_24const_host_device_scalarIT2_EEPKiS8_PKS5_SA_S6_PS5_21rocsparse_index_base_b.uses_flat_scratch, 0
	.set _ZN9rocsparseL19gebsrmvn_2xn_kernelILj128ELj5ELj8E21rocsparse_complex_numIdEEEvi20rocsparse_direction_NS_24const_host_device_scalarIT2_EEPKiS8_PKS5_SA_S6_PS5_21rocsparse_index_base_b.has_dyn_sized_stack, 0
	.set _ZN9rocsparseL19gebsrmvn_2xn_kernelILj128ELj5ELj8E21rocsparse_complex_numIdEEEvi20rocsparse_direction_NS_24const_host_device_scalarIT2_EEPKiS8_PKS5_SA_S6_PS5_21rocsparse_index_base_b.has_recursion, 0
	.set _ZN9rocsparseL19gebsrmvn_2xn_kernelILj128ELj5ELj8E21rocsparse_complex_numIdEEEvi20rocsparse_direction_NS_24const_host_device_scalarIT2_EEPKiS8_PKS5_SA_S6_PS5_21rocsparse_index_base_b.has_indirect_call, 0
	.section	.AMDGPU.csdata,"",@progbits
; Kernel info:
; codeLenInByte = 2732
; TotalNumSgprs: 20
; NumVgprs: 59
; ScratchSize: 0
; MemoryBound: 0
; FloatMode: 240
; IeeeMode: 1
; LDSByteSize: 0 bytes/workgroup (compile time only)
; SGPRBlocks: 2
; VGPRBlocks: 14
; NumSGPRsForWavesPerEU: 20
; NumVGPRsForWavesPerEU: 59
; Occupancy: 4
; WaveLimiterHint : 1
; COMPUTE_PGM_RSRC2:SCRATCH_EN: 0
; COMPUTE_PGM_RSRC2:USER_SGPR: 6
; COMPUTE_PGM_RSRC2:TRAP_HANDLER: 0
; COMPUTE_PGM_RSRC2:TGID_X_EN: 1
; COMPUTE_PGM_RSRC2:TGID_Y_EN: 0
; COMPUTE_PGM_RSRC2:TGID_Z_EN: 0
; COMPUTE_PGM_RSRC2:TIDIG_COMP_CNT: 0
	.section	.text._ZN9rocsparseL19gebsrmvn_2xn_kernelILj128ELj5ELj16E21rocsparse_complex_numIdEEEvi20rocsparse_direction_NS_24const_host_device_scalarIT2_EEPKiS8_PKS5_SA_S6_PS5_21rocsparse_index_base_b,"axG",@progbits,_ZN9rocsparseL19gebsrmvn_2xn_kernelILj128ELj5ELj16E21rocsparse_complex_numIdEEEvi20rocsparse_direction_NS_24const_host_device_scalarIT2_EEPKiS8_PKS5_SA_S6_PS5_21rocsparse_index_base_b,comdat
	.globl	_ZN9rocsparseL19gebsrmvn_2xn_kernelILj128ELj5ELj16E21rocsparse_complex_numIdEEEvi20rocsparse_direction_NS_24const_host_device_scalarIT2_EEPKiS8_PKS5_SA_S6_PS5_21rocsparse_index_base_b ; -- Begin function _ZN9rocsparseL19gebsrmvn_2xn_kernelILj128ELj5ELj16E21rocsparse_complex_numIdEEEvi20rocsparse_direction_NS_24const_host_device_scalarIT2_EEPKiS8_PKS5_SA_S6_PS5_21rocsparse_index_base_b
	.p2align	8
	.type	_ZN9rocsparseL19gebsrmvn_2xn_kernelILj128ELj5ELj16E21rocsparse_complex_numIdEEEvi20rocsparse_direction_NS_24const_host_device_scalarIT2_EEPKiS8_PKS5_SA_S6_PS5_21rocsparse_index_base_b,@function
_ZN9rocsparseL19gebsrmvn_2xn_kernelILj128ELj5ELj16E21rocsparse_complex_numIdEEEvi20rocsparse_direction_NS_24const_host_device_scalarIT2_EEPKiS8_PKS5_SA_S6_PS5_21rocsparse_index_base_b: ; @_ZN9rocsparseL19gebsrmvn_2xn_kernelILj128ELj5ELj16E21rocsparse_complex_numIdEEEvi20rocsparse_direction_NS_24const_host_device_scalarIT2_EEPKiS8_PKS5_SA_S6_PS5_21rocsparse_index_base_b
; %bb.0:
	s_load_dwordx2 s[0:1], s[4:5], 0x8
	s_load_dwordx2 s[8:9], s[4:5], 0x38
	;; [unrolled: 1-line block ×3, first 2 shown]
	s_add_u32 s7, s4, 8
	s_addc_u32 s10, s5, 0
	s_add_u32 s11, s4, 56
	s_addc_u32 s12, s5, 0
	s_waitcnt lgkmcnt(0)
	s_bitcmp1_b32 s3, 0
	s_cselect_b32 s1, s10, s1
	s_cselect_b32 s0, s7, s0
	v_mov_b32_e32 v1, s0
	v_mov_b32_e32 v2, s1
	flat_load_dwordx4 v[1:4], v[1:2]
	s_cselect_b32 s0, s12, s9
	s_cselect_b32 s1, s11, s8
	v_mov_b32_e32 v5, s1
	v_mov_b32_e32 v6, s0
	flat_load_dwordx4 v[5:8], v[5:6]
	s_waitcnt vmcnt(0) lgkmcnt(0)
	v_cmp_eq_f64_e32 vcc, 0, v[1:2]
	v_cmp_eq_f64_e64 s[0:1], 0, v[3:4]
	s_and_b64 s[10:11], vcc, s[0:1]
	s_mov_b64 s[0:1], -1
	s_and_saveexec_b64 s[8:9], s[10:11]
	s_cbranch_execz .LBB245_2
; %bb.1:
	v_cmp_neq_f64_e32 vcc, 1.0, v[5:6]
	v_cmp_neq_f64_e64 s[0:1], 0, v[7:8]
	s_or_b64 s[0:1], vcc, s[0:1]
	s_orn2_b64 s[0:1], s[0:1], exec
.LBB245_2:
	s_or_b64 exec, exec, s[8:9]
	s_and_saveexec_b64 s[8:9], s[0:1]
	s_cbranch_execz .LBB245_21
; %bb.3:
	s_load_dwordx2 s[0:1], s[4:5], 0x0
	v_lshrrev_b32_e32 v9, 4, v0
	v_lshl_or_b32 v9, s6, 3, v9
	s_waitcnt lgkmcnt(0)
	v_cmp_gt_i32_e32 vcc, s0, v9
	s_and_b64 exec, exec, vcc
	s_cbranch_execz .LBB245_21
; %bb.4:
	s_load_dwordx8 s[8:15], s[4:5], 0x18
	v_ashrrev_i32_e32 v10, 31, v9
	v_lshlrev_b64 v[10:11], 2, v[9:10]
	v_and_b32_e32 v0, 15, v0
	s_cmp_lg_u32 s1, 0
	s_waitcnt lgkmcnt(0)
	v_mov_b32_e32 v12, s9
	v_add_co_u32_e32 v10, vcc, s8, v10
	v_addc_co_u32_e32 v11, vcc, v12, v11, vcc
	global_load_dwordx2 v[10:11], v[10:11], off
	s_waitcnt vmcnt(0)
	v_subrev_u32_e32 v10, s2, v10
	v_subrev_u32_e32 v26, s2, v11
	v_add_u32_e32 v10, v10, v0
	v_cmp_lt_i32_e64 s[0:1], v10, v26
	s_cbranch_scc0 .LBB245_10
; %bb.5:
	v_mov_b32_e32 v16, 0
	v_mov_b32_e32 v18, 0
	;; [unrolled: 1-line block ×8, first 2 shown]
	s_and_saveexec_b64 s[6:7], s[0:1]
	s_cbranch_execz .LBB245_9
; %bb.6:
	v_mad_u64_u32 v[20:21], s[8:9], v10, 10, 8
	v_mov_b32_e32 v16, 0
	v_mov_b32_e32 v18, 0
	;; [unrolled: 1-line block ×5, first 2 shown]
	s_mov_b64 s[8:9], 0
	v_mov_b32_e32 v11, s11
	v_mov_b32_e32 v23, 0
	v_mov_b32_e32 v27, s13
	v_mov_b32_e32 v28, s15
	v_mov_b32_e32 v19, 0
	v_mov_b32_e32 v13, 0
	v_mov_b32_e32 v15, 0
	v_mov_b32_e32 v24, v10
.LBB245_7:                              ; =>This Inner Loop Header: Depth=1
	v_ashrrev_i32_e32 v25, 31, v24
	v_lshlrev_b64 v[29:30], 2, v[24:25]
	v_add_u32_e32 v22, -8, v20
	v_lshlrev_b64 v[31:32], 4, v[22:23]
	v_add_co_u32_e32 v37, vcc, s10, v29
	v_mov_b32_e32 v21, v23
	v_addc_co_u32_e32 v38, vcc, v11, v30, vcc
	v_lshlrev_b64 v[33:34], 4, v[20:21]
	v_add_co_u32_e32 v39, vcc, s12, v31
	v_addc_co_u32_e32 v40, vcc, v27, v32, vcc
	v_add_co_u32_e32 v51, vcc, s12, v33
	v_addc_co_u32_e32 v52, vcc, v27, v34, vcc
	global_load_dword v25, v[37:38], off
	global_load_dwordx4 v[29:32], v[39:40], off
	global_load_dwordx4 v[33:36], v[39:40], off offset:16
	v_add_u32_e32 v22, -6, v20
	v_lshlrev_b64 v[21:22], 4, v[22:23]
	v_mov_b32_e32 v50, v23
	v_add_co_u32_e32 v21, vcc, s12, v21
	v_addc_co_u32_e32 v22, vcc, v27, v22, vcc
	global_load_dwordx4 v[37:40], v[21:22], off
	global_load_dwordx4 v[41:44], v[21:22], off offset:16
	v_add_u32_e32 v24, 16, v24
	s_waitcnt vmcnt(4)
	v_subrev_u32_e32 v21, s2, v25
	v_lshl_add_u32 v49, v21, 2, v21
	v_lshlrev_b64 v[45:46], 4, v[49:50]
	v_add_u32_e32 v22, 1, v49
	v_add_co_u32_e32 v45, vcc, s14, v45
	v_addc_co_u32_e32 v46, vcc, v28, v46, vcc
	global_load_dwordx4 v[45:48], v[45:46], off
	v_lshlrev_b64 v[53:54], 4, v[22:23]
	v_add_u32_e32 v22, -4, v20
	s_waitcnt vmcnt(0)
	v_fma_f64 v[18:19], v[29:30], v[45:46], v[18:19]
	v_fma_f64 v[12:13], v[33:34], v[45:46], v[12:13]
	;; [unrolled: 1-line block ×4, first 2 shown]
	v_fma_f64 v[31:32], -v[31:32], v[47:48], v[18:19]
	v_add_co_u32_e32 v18, vcc, s14, v53
	v_addc_co_u32_e32 v19, vcc, v28, v54, vcc
	v_fma_f64 v[35:36], -v[35:36], v[47:48], v[12:13]
	v_fma_f64 v[33:34], v[33:34], v[47:48], v[14:15]
	global_load_dwordx4 v[12:15], v[18:19], off
	v_fma_f64 v[29:30], v[29:30], v[47:48], v[16:17]
	v_lshlrev_b64 v[16:17], 4, v[22:23]
	v_add_u32_e32 v22, 2, v49
	v_lshlrev_b64 v[53:54], 4, v[22:23]
	v_add_co_u32_e32 v45, vcc, s12, v16
	v_addc_co_u32_e32 v46, vcc, v27, v17, vcc
	v_add_co_u32_e32 v53, vcc, s14, v53
	v_addc_co_u32_e32 v54, vcc, v28, v54, vcc
	global_load_dwordx4 v[16:19], v[45:46], off
	v_add_u32_e32 v22, -2, v20
	v_lshlrev_b64 v[47:48], 4, v[22:23]
	v_add_u32_e32 v22, 3, v49
	v_lshlrev_b64 v[21:22], 4, v[22:23]
	v_add_u32_e32 v20, 0xa0, v20
	s_waitcnt vmcnt(1)
	v_fma_f64 v[31:32], v[37:38], v[12:13], v[31:32]
	v_fma_f64 v[29:30], v[39:40], v[12:13], v[29:30]
	;; [unrolled: 1-line block ×4, first 2 shown]
	v_fma_f64 v[55:56], -v[39:40], v[14:15], v[31:32]
	v_fma_f64 v[57:58], v[37:38], v[14:15], v[29:30]
	v_fma_f64 v[43:44], -v[43:44], v[14:15], v[35:36]
	v_fma_f64 v[41:42], v[41:42], v[14:15], v[12:13]
	global_load_dwordx4 v[12:15], v[53:54], off
	global_load_dwordx4 v[29:32], v[45:46], off offset:16
	v_add_co_u32_e32 v45, vcc, s12, v47
	v_addc_co_u32_e32 v46, vcc, v27, v48, vcc
	global_load_dwordx4 v[33:36], v[45:46], off
	global_load_dwordx4 v[37:40], v[45:46], off offset:16
	v_add_co_u32_e32 v21, vcc, s14, v21
	v_addc_co_u32_e32 v22, vcc, v28, v22, vcc
	s_waitcnt vmcnt(3)
	v_fma_f64 v[45:46], v[16:17], v[12:13], v[55:56]
	v_fma_f64 v[47:48], v[18:19], v[12:13], v[57:58]
	v_fma_f64 v[45:46], -v[18:19], v[14:15], v[45:46]
	v_fma_f64 v[47:48], v[16:17], v[14:15], v[47:48]
	global_load_dwordx4 v[16:19], v[21:22], off
	s_waitcnt vmcnt(3)
	v_fma_f64 v[21:22], v[29:30], v[12:13], v[43:44]
	v_fma_f64 v[12:13], v[31:32], v[12:13], v[41:42]
	v_fma_f64 v[53:54], -v[31:32], v[14:15], v[21:22]
	v_add_u32_e32 v22, 4, v49
	v_lshlrev_b64 v[21:22], 4, v[22:23]
	v_fma_f64 v[55:56], v[29:30], v[14:15], v[12:13]
	v_add_co_u32_e32 v21, vcc, s14, v21
	v_addc_co_u32_e32 v22, vcc, v28, v22, vcc
	global_load_dwordx4 v[12:15], v[51:52], off
	global_load_dwordx4 v[29:32], v[51:52], off offset:16
	global_load_dwordx4 v[41:44], v[21:22], off
	v_cmp_ge_i32_e32 vcc, v24, v26
	s_or_b64 s[8:9], vcc, s[8:9]
	s_waitcnt vmcnt(3)
	v_fma_f64 v[21:22], v[33:34], v[16:17], v[45:46]
	v_fma_f64 v[45:46], v[35:36], v[16:17], v[47:48]
	;; [unrolled: 1-line block ×4, first 2 shown]
	v_fma_f64 v[21:22], -v[35:36], v[18:19], v[21:22]
	v_fma_f64 v[33:34], v[33:34], v[18:19], v[45:46]
	v_fma_f64 v[35:36], -v[39:40], v[18:19], v[47:48]
	v_fma_f64 v[16:17], v[37:38], v[18:19], v[16:17]
	s_waitcnt vmcnt(0)
	v_fma_f64 v[18:19], v[12:13], v[41:42], v[21:22]
	v_fma_f64 v[21:22], v[14:15], v[41:42], v[33:34]
	;; [unrolled: 1-line block ×4, first 2 shown]
	v_fma_f64 v[18:19], -v[14:15], v[43:44], v[18:19]
	v_fma_f64 v[16:17], v[12:13], v[43:44], v[21:22]
	v_fma_f64 v[12:13], -v[31:32], v[43:44], v[33:34]
	v_fma_f64 v[14:15], v[29:30], v[43:44], v[35:36]
	s_andn2_b64 exec, exec, s[8:9]
	s_cbranch_execnz .LBB245_7
; %bb.8:
	s_or_b64 exec, exec, s[8:9]
.LBB245_9:
	s_or_b64 exec, exec, s[6:7]
	s_cbranch_execz .LBB245_11
	s_branch .LBB245_16
.LBB245_10:
                                        ; implicit-def: $vgpr16_vgpr17
                                        ; implicit-def: $vgpr18_vgpr19
                                        ; implicit-def: $vgpr12_vgpr13
                                        ; implicit-def: $vgpr14_vgpr15
.LBB245_11:
	v_mov_b32_e32 v16, 0
	v_mov_b32_e32 v18, 0
	;; [unrolled: 1-line block ×8, first 2 shown]
	s_and_saveexec_b64 s[6:7], s[0:1]
	s_cbranch_execz .LBB245_15
; %bb.12:
	v_mad_u64_u32 v[20:21], s[0:1], v10, 10, 9
	v_mov_b32_e32 v16, 0
	v_mov_b32_e32 v18, 0
	;; [unrolled: 1-line block ×5, first 2 shown]
	s_mov_b64 s[0:1], 0
	v_mov_b32_e32 v24, s11
	v_mov_b32_e32 v23, 0
	;; [unrolled: 1-line block ×7, first 2 shown]
.LBB245_13:                             ; =>This Inner Loop Header: Depth=1
	v_ashrrev_i32_e32 v11, 31, v10
	v_lshlrev_b64 v[30:31], 2, v[10:11]
	v_add_u32_e32 v22, -9, v20
	v_lshlrev_b64 v[32:33], 4, v[22:23]
	v_add_co_u32_e32 v36, vcc, s10, v30
	v_add_u32_e32 v28, -4, v20
	v_mov_b32_e32 v29, v23
	v_addc_co_u32_e32 v37, vcc, v24, v31, vcc
	v_lshlrev_b64 v[28:29], 4, v[28:29]
	v_add_co_u32_e32 v38, vcc, s12, v32
	v_addc_co_u32_e32 v39, vcc, v25, v33, vcc
	v_add_co_u32_e32 v42, vcc, s12, v28
	v_addc_co_u32_e32 v43, vcc, v25, v29, vcc
	global_load_dword v11, v[36:37], off
	global_load_dwordx4 v[28:31], v[38:39], off
	global_load_dwordx4 v[32:35], v[38:39], off offset:16
	v_mov_b32_e32 v21, v23
	v_lshlrev_b64 v[21:22], 4, v[20:21]
	v_mov_b32_e32 v41, v23
	v_add_co_u32_e32 v21, vcc, s12, v21
	v_addc_co_u32_e32 v22, vcc, v25, v22, vcc
	v_add_u32_e32 v10, 16, v10
	s_waitcnt vmcnt(2)
	v_subrev_u32_e32 v11, s2, v11
	v_lshl_add_u32 v40, v11, 2, v11
	v_lshlrev_b64 v[36:37], 4, v[40:41]
	v_add_co_u32_e32 v36, vcc, s14, v36
	v_addc_co_u32_e32 v37, vcc, v27, v37, vcc
	global_load_dwordx4 v[36:39], v[36:37], off
	s_waitcnt vmcnt(0)
	v_fma_f64 v[18:19], v[28:29], v[36:37], v[18:19]
	v_fma_f64 v[16:17], v[30:31], v[36:37], v[16:17]
	v_fma_f64 v[44:45], -v[30:31], v[38:39], v[18:19]
	v_fma_f64 v[46:47], v[28:29], v[38:39], v[16:17]
	global_load_dwordx4 v[16:19], v[42:43], off
	global_load_dwordx4 v[28:31], v[21:22], off
	v_add_u32_e32 v22, 1, v40
	s_waitcnt vmcnt(1)
	v_fma_f64 v[11:12], v[16:17], v[36:37], v[12:13]
	v_fma_f64 v[13:14], v[18:19], v[36:37], v[14:15]
	v_fma_f64 v[36:37], -v[18:19], v[38:39], v[11:12]
	v_lshlrev_b64 v[11:12], 4, v[22:23]
	v_add_u32_e32 v22, -3, v20
	v_fma_f64 v[38:39], v[16:17], v[38:39], v[13:14]
	v_lshlrev_b64 v[13:14], 4, v[22:23]
	v_add_co_u32_e32 v11, vcc, s14, v11
	v_addc_co_u32_e32 v12, vcc, v27, v12, vcc
	v_add_co_u32_e32 v15, vcc, s12, v13
	v_addc_co_u32_e32 v16, vcc, v25, v14, vcc
	global_load_dwordx4 v[11:14], v[11:12], off
	v_add_u32_e32 v22, -7, v20
	v_lshlrev_b64 v[41:42], 4, v[22:23]
	v_add_u32_e32 v22, 2, v40
	s_waitcnt vmcnt(0)
	v_fma_f64 v[17:18], v[32:33], v[11:12], v[44:45]
	v_fma_f64 v[43:44], v[34:35], v[11:12], v[46:47]
	v_fma_f64 v[45:46], -v[34:35], v[13:14], v[17:18]
	global_load_dwordx4 v[15:18], v[15:16], off
	v_fma_f64 v[43:44], v[32:33], v[13:14], v[43:44]
	v_add_co_u32_e32 v32, vcc, s12, v41
	v_addc_co_u32_e32 v33, vcc, v25, v42, vcc
	global_load_dwordx4 v[32:35], v[32:33], off
	s_waitcnt vmcnt(1)
	v_fma_f64 v[36:37], v[15:16], v[11:12], v[36:37]
	v_fma_f64 v[11:12], v[17:18], v[11:12], v[38:39]
	v_fma_f64 v[36:37], -v[17:18], v[13:14], v[36:37]
	v_fma_f64 v[38:39], v[15:16], v[13:14], v[11:12]
	v_lshlrev_b64 v[11:12], 4, v[22:23]
	v_add_u32_e32 v22, -2, v20
	v_lshlrev_b64 v[13:14], 4, v[22:23]
	v_add_co_u32_e32 v11, vcc, s14, v11
	v_addc_co_u32_e32 v12, vcc, v27, v12, vcc
	v_add_co_u32_e32 v15, vcc, s12, v13
	v_addc_co_u32_e32 v16, vcc, v25, v14, vcc
	global_load_dwordx4 v[11:14], v[11:12], off
	v_add_u32_e32 v22, -6, v20
	v_lshlrev_b64 v[41:42], 4, v[22:23]
	v_add_u32_e32 v22, 3, v40
	s_waitcnt vmcnt(0)
	v_fma_f64 v[17:18], v[32:33], v[11:12], v[45:46]
	v_fma_f64 v[43:44], v[34:35], v[11:12], v[43:44]
	v_fma_f64 v[45:46], -v[34:35], v[13:14], v[17:18]
	global_load_dwordx4 v[15:18], v[15:16], off
	v_fma_f64 v[43:44], v[32:33], v[13:14], v[43:44]
	v_add_co_u32_e32 v32, vcc, s12, v41
	v_addc_co_u32_e32 v33, vcc, v25, v42, vcc
	global_load_dwordx4 v[32:35], v[32:33], off
	s_waitcnt vmcnt(1)
	v_fma_f64 v[36:37], v[15:16], v[11:12], v[36:37]
	v_fma_f64 v[11:12], v[17:18], v[11:12], v[38:39]
	v_fma_f64 v[36:37], -v[17:18], v[13:14], v[36:37]
	v_fma_f64 v[38:39], v[15:16], v[13:14], v[11:12]
	v_lshlrev_b64 v[11:12], 4, v[22:23]
	v_add_u32_e32 v22, -1, v20
	v_add_co_u32_e32 v11, vcc, s14, v11
	v_addc_co_u32_e32 v12, vcc, v27, v12, vcc
	global_load_dwordx4 v[11:14], v[11:12], off
	v_lshlrev_b64 v[15:16], 4, v[22:23]
	v_add_u32_e32 v22, -5, v20
	v_add_co_u32_e32 v15, vcc, s12, v15
	v_addc_co_u32_e32 v16, vcc, v25, v16, vcc
	v_lshlrev_b64 v[41:42], 4, v[22:23]
	v_add_u32_e32 v22, 4, v40
	v_lshlrev_b64 v[21:22], 4, v[22:23]
	v_add_u32_e32 v20, 0xa0, v20
	s_waitcnt vmcnt(0)
	v_fma_f64 v[17:18], v[32:33], v[11:12], v[45:46]
	v_fma_f64 v[43:44], v[34:35], v[11:12], v[43:44]
	v_fma_f64 v[45:46], -v[34:35], v[13:14], v[17:18]
	global_load_dwordx4 v[15:18], v[15:16], off
	v_fma_f64 v[43:44], v[32:33], v[13:14], v[43:44]
	v_add_co_u32_e32 v32, vcc, s12, v41
	v_addc_co_u32_e32 v33, vcc, v25, v42, vcc
	global_load_dwordx4 v[32:35], v[32:33], off
	v_add_co_u32_e32 v21, vcc, s14, v21
	v_addc_co_u32_e32 v22, vcc, v27, v22, vcc
	v_cmp_ge_i32_e32 vcc, v10, v26
	s_or_b64 s[0:1], vcc, s[0:1]
	s_waitcnt vmcnt(1)
	v_fma_f64 v[36:37], v[15:16], v[11:12], v[36:37]
	v_fma_f64 v[11:12], v[17:18], v[11:12], v[38:39]
	v_fma_f64 v[17:18], -v[17:18], v[13:14], v[36:37]
	v_fma_f64 v[36:37], v[15:16], v[13:14], v[11:12]
	global_load_dwordx4 v[12:15], v[21:22], off
	s_waitcnt vmcnt(0)
	v_fma_f64 v[21:22], v[32:33], v[12:13], v[45:46]
	v_fma_f64 v[38:39], v[34:35], v[12:13], v[43:44]
	v_fma_f64 v[40:41], v[28:29], v[12:13], v[17:18]
	v_fma_f64 v[36:37], v[30:31], v[12:13], v[36:37]
	v_fma_f64 v[18:19], -v[34:35], v[14:15], v[21:22]
	v_fma_f64 v[16:17], v[32:33], v[14:15], v[38:39]
	v_fma_f64 v[12:13], -v[30:31], v[14:15], v[40:41]
	v_fma_f64 v[14:15], v[28:29], v[14:15], v[36:37]
	s_andn2_b64 exec, exec, s[0:1]
	s_cbranch_execnz .LBB245_13
; %bb.14:
	s_or_b64 exec, exec, s[0:1]
.LBB245_15:
	s_or_b64 exec, exec, s[6:7]
.LBB245_16:
	v_mov_b32_dpp v10, v18 row_shr:1 row_mask:0xf bank_mask:0xf
	v_mov_b32_dpp v11, v19 row_shr:1 row_mask:0xf bank_mask:0xf
	v_add_f64 v[10:11], v[18:19], v[10:11]
	v_mov_b32_dpp v18, v16 row_shr:1 row_mask:0xf bank_mask:0xf
	v_mov_b32_dpp v19, v17 row_shr:1 row_mask:0xf bank_mask:0xf
	;; [unrolled: 1-line block ×3, first 2 shown]
	v_add_f64 v[16:17], v[16:17], v[18:19]
	v_mov_b32_dpp v21, v13 row_shr:1 row_mask:0xf bank_mask:0xf
	v_add_f64 v[12:13], v[12:13], v[20:21]
	v_cmp_eq_u32_e32 vcc, 15, v0
	v_mov_b32_dpp v18, v10 row_shr:2 row_mask:0xf bank_mask:0xf
	v_mov_b32_dpp v19, v11 row_shr:2 row_mask:0xf bank_mask:0xf
	v_add_f64 v[10:11], v[10:11], v[18:19]
	v_mov_b32_dpp v18, v14 row_shr:1 row_mask:0xf bank_mask:0xf
	v_mov_b32_dpp v19, v15 row_shr:1 row_mask:0xf bank_mask:0xf
	v_add_f64 v[14:15], v[14:15], v[18:19]
	;; [unrolled: 3-line block ×4, first 2 shown]
	v_mov_b32_dpp v20, v10 row_shr:4 row_mask:0xf bank_mask:0xe
	v_mov_b32_dpp v12, v14 row_shr:2 row_mask:0xf bank_mask:0xf
	;; [unrolled: 1-line block ×3, first 2 shown]
	v_add_f64 v[14:15], v[14:15], v[12:13]
	v_mov_b32_dpp v12, v16 row_shr:4 row_mask:0xf bank_mask:0xe
	v_mov_b32_dpp v13, v17 row_shr:4 row_mask:0xf bank_mask:0xe
	v_add_f64 v[12:13], v[16:17], v[12:13]
	v_mov_b32_dpp v16, v18 row_shr:4 row_mask:0xf bank_mask:0xe
	v_mov_b32_dpp v17, v19 row_shr:4 row_mask:0xf bank_mask:0xe
	;; [unrolled: 1-line block ×3, first 2 shown]
	v_add_f64 v[18:19], v[18:19], v[16:17]
	v_mov_b32_dpp v16, v14 row_shr:4 row_mask:0xf bank_mask:0xe
	v_mov_b32_dpp v17, v15 row_shr:4 row_mask:0xf bank_mask:0xe
	v_add_f64 v[10:11], v[10:11], v[20:21]
	v_add_f64 v[14:15], v[14:15], v[16:17]
	v_mov_b32_dpp v16, v12 row_shr:8 row_mask:0xf bank_mask:0xc
	v_mov_b32_dpp v17, v13 row_shr:8 row_mask:0xf bank_mask:0xc
	v_mov_b32_dpp v22, v18 row_shr:8 row_mask:0xf bank_mask:0xc
	v_mov_b32_dpp v23, v19 row_shr:8 row_mask:0xf bank_mask:0xc
	v_mov_b32_dpp v24, v10 row_shr:8 row_mask:0xf bank_mask:0xc
	v_mov_b32_dpp v25, v11 row_shr:8 row_mask:0xf bank_mask:0xc
	v_mov_b32_dpp v20, v14 row_shr:8 row_mask:0xf bank_mask:0xc
	v_mov_b32_dpp v21, v15 row_shr:8 row_mask:0xf bank_mask:0xc
	s_and_b64 exec, exec, vcc
	s_cbranch_execz .LBB245_21
; %bb.17:
	v_cmp_eq_f64_e32 vcc, 0, v[5:6]
	v_cmp_eq_f64_e64 s[0:1], 0, v[7:8]
	v_add_f64 v[10:11], v[10:11], v[24:25]
	v_add_f64 v[16:17], v[12:13], v[16:17]
	;; [unrolled: 1-line block ×4, first 2 shown]
	s_load_dwordx2 s[2:3], s[4:5], 0x48
	s_and_b64 s[0:1], vcc, s[0:1]
	s_and_saveexec_b64 s[4:5], s[0:1]
	s_xor_b64 s[0:1], exec, s[4:5]
	s_cbranch_execz .LBB245_19
; %bb.18:
	v_mul_f64 v[5:6], v[16:17], -v[3:4]
	v_mul_f64 v[7:8], v[1:2], v[16:17]
	v_mul_f64 v[16:17], v[14:15], -v[3:4]
	v_mul_f64 v[14:15], v[1:2], v[14:15]
	v_lshlrev_b32_e32 v9, 1, v9
	s_waitcnt lgkmcnt(0)
	v_mov_b32_e32 v18, s3
	v_fma_f64 v[5:6], v[1:2], v[10:11], v[5:6]
	v_fma_f64 v[7:8], v[3:4], v[10:11], v[7:8]
	v_fma_f64 v[0:1], v[1:2], v[12:13], v[16:17]
	v_fma_f64 v[2:3], v[3:4], v[12:13], v[14:15]
	v_ashrrev_i32_e32 v10, 31, v9
	v_lshlrev_b64 v[9:10], 4, v[9:10]
                                        ; implicit-def: $vgpr16_vgpr17
                                        ; implicit-def: $vgpr12_vgpr13
                                        ; implicit-def: $vgpr14_vgpr15
	v_add_co_u32_e32 v9, vcc, s2, v9
	v_addc_co_u32_e32 v10, vcc, v18, v10, vcc
	global_store_dwordx4 v[9:10], v[5:8], off
	global_store_dwordx4 v[9:10], v[0:3], off offset:16
                                        ; implicit-def: $vgpr9
                                        ; implicit-def: $vgpr10_vgpr11
                                        ; implicit-def: $vgpr7_vgpr8
                                        ; implicit-def: $vgpr3_vgpr4
.LBB245_19:
	s_andn2_saveexec_b64 s[0:1], s[0:1]
	s_cbranch_execz .LBB245_21
; %bb.20:
	v_lshlrev_b32_e32 v18, 1, v9
	v_ashrrev_i32_e32 v19, 31, v18
	v_lshlrev_b64 v[18:19], 4, v[18:19]
	s_waitcnt lgkmcnt(0)
	v_mov_b32_e32 v0, s3
	v_add_co_u32_e32 v26, vcc, s2, v18
	v_addc_co_u32_e32 v27, vcc, v0, v19, vcc
	global_load_dwordx4 v[18:21], v[26:27], off
	global_load_dwordx4 v[22:25], v[26:27], off offset:16
	v_mul_f64 v[28:29], v[16:17], -v[3:4]
	v_mul_f64 v[16:17], v[1:2], v[16:17]
	v_mul_f64 v[30:31], v[14:15], -v[3:4]
	v_mul_f64 v[14:15], v[1:2], v[14:15]
	v_fma_f64 v[28:29], v[1:2], v[10:11], v[28:29]
	v_fma_f64 v[9:10], v[3:4], v[10:11], v[16:17]
	;; [unrolled: 1-line block ×4, first 2 shown]
	s_waitcnt vmcnt(1)
	v_fma_f64 v[11:12], v[5:6], v[18:19], v[28:29]
	v_fma_f64 v[9:10], v[7:8], v[18:19], v[9:10]
	s_waitcnt vmcnt(0)
	v_fma_f64 v[13:14], v[5:6], v[22:23], v[0:1]
	v_fma_f64 v[15:16], v[7:8], v[22:23], v[2:3]
	v_fma_f64 v[0:1], -v[7:8], v[20:21], v[11:12]
	v_fma_f64 v[2:3], v[5:6], v[20:21], v[9:10]
	v_fma_f64 v[7:8], -v[7:8], v[24:25], v[13:14]
	v_fma_f64 v[9:10], v[5:6], v[24:25], v[15:16]
	global_store_dwordx4 v[26:27], v[0:3], off
	global_store_dwordx4 v[26:27], v[7:10], off offset:16
.LBB245_21:
	s_endpgm
	.section	.rodata,"a",@progbits
	.p2align	6, 0x0
	.amdhsa_kernel _ZN9rocsparseL19gebsrmvn_2xn_kernelILj128ELj5ELj16E21rocsparse_complex_numIdEEEvi20rocsparse_direction_NS_24const_host_device_scalarIT2_EEPKiS8_PKS5_SA_S6_PS5_21rocsparse_index_base_b
		.amdhsa_group_segment_fixed_size 0
		.amdhsa_private_segment_fixed_size 0
		.amdhsa_kernarg_size 88
		.amdhsa_user_sgpr_count 6
		.amdhsa_user_sgpr_private_segment_buffer 1
		.amdhsa_user_sgpr_dispatch_ptr 0
		.amdhsa_user_sgpr_queue_ptr 0
		.amdhsa_user_sgpr_kernarg_segment_ptr 1
		.amdhsa_user_sgpr_dispatch_id 0
		.amdhsa_user_sgpr_flat_scratch_init 0
		.amdhsa_user_sgpr_private_segment_size 0
		.amdhsa_uses_dynamic_stack 0
		.amdhsa_system_sgpr_private_segment_wavefront_offset 0
		.amdhsa_system_sgpr_workgroup_id_x 1
		.amdhsa_system_sgpr_workgroup_id_y 0
		.amdhsa_system_sgpr_workgroup_id_z 0
		.amdhsa_system_sgpr_workgroup_info 0
		.amdhsa_system_vgpr_workitem_id 0
		.amdhsa_next_free_vgpr 59
		.amdhsa_next_free_sgpr 16
		.amdhsa_reserve_vcc 1
		.amdhsa_reserve_flat_scratch 0
		.amdhsa_float_round_mode_32 0
		.amdhsa_float_round_mode_16_64 0
		.amdhsa_float_denorm_mode_32 3
		.amdhsa_float_denorm_mode_16_64 3
		.amdhsa_dx10_clamp 1
		.amdhsa_ieee_mode 1
		.amdhsa_fp16_overflow 0
		.amdhsa_exception_fp_ieee_invalid_op 0
		.amdhsa_exception_fp_denorm_src 0
		.amdhsa_exception_fp_ieee_div_zero 0
		.amdhsa_exception_fp_ieee_overflow 0
		.amdhsa_exception_fp_ieee_underflow 0
		.amdhsa_exception_fp_ieee_inexact 0
		.amdhsa_exception_int_div_zero 0
	.end_amdhsa_kernel
	.section	.text._ZN9rocsparseL19gebsrmvn_2xn_kernelILj128ELj5ELj16E21rocsparse_complex_numIdEEEvi20rocsparse_direction_NS_24const_host_device_scalarIT2_EEPKiS8_PKS5_SA_S6_PS5_21rocsparse_index_base_b,"axG",@progbits,_ZN9rocsparseL19gebsrmvn_2xn_kernelILj128ELj5ELj16E21rocsparse_complex_numIdEEEvi20rocsparse_direction_NS_24const_host_device_scalarIT2_EEPKiS8_PKS5_SA_S6_PS5_21rocsparse_index_base_b,comdat
.Lfunc_end245:
	.size	_ZN9rocsparseL19gebsrmvn_2xn_kernelILj128ELj5ELj16E21rocsparse_complex_numIdEEEvi20rocsparse_direction_NS_24const_host_device_scalarIT2_EEPKiS8_PKS5_SA_S6_PS5_21rocsparse_index_base_b, .Lfunc_end245-_ZN9rocsparseL19gebsrmvn_2xn_kernelILj128ELj5ELj16E21rocsparse_complex_numIdEEEvi20rocsparse_direction_NS_24const_host_device_scalarIT2_EEPKiS8_PKS5_SA_S6_PS5_21rocsparse_index_base_b
                                        ; -- End function
	.set _ZN9rocsparseL19gebsrmvn_2xn_kernelILj128ELj5ELj16E21rocsparse_complex_numIdEEEvi20rocsparse_direction_NS_24const_host_device_scalarIT2_EEPKiS8_PKS5_SA_S6_PS5_21rocsparse_index_base_b.num_vgpr, 59
	.set _ZN9rocsparseL19gebsrmvn_2xn_kernelILj128ELj5ELj16E21rocsparse_complex_numIdEEEvi20rocsparse_direction_NS_24const_host_device_scalarIT2_EEPKiS8_PKS5_SA_S6_PS5_21rocsparse_index_base_b.num_agpr, 0
	.set _ZN9rocsparseL19gebsrmvn_2xn_kernelILj128ELj5ELj16E21rocsparse_complex_numIdEEEvi20rocsparse_direction_NS_24const_host_device_scalarIT2_EEPKiS8_PKS5_SA_S6_PS5_21rocsparse_index_base_b.numbered_sgpr, 16
	.set _ZN9rocsparseL19gebsrmvn_2xn_kernelILj128ELj5ELj16E21rocsparse_complex_numIdEEEvi20rocsparse_direction_NS_24const_host_device_scalarIT2_EEPKiS8_PKS5_SA_S6_PS5_21rocsparse_index_base_b.num_named_barrier, 0
	.set _ZN9rocsparseL19gebsrmvn_2xn_kernelILj128ELj5ELj16E21rocsparse_complex_numIdEEEvi20rocsparse_direction_NS_24const_host_device_scalarIT2_EEPKiS8_PKS5_SA_S6_PS5_21rocsparse_index_base_b.private_seg_size, 0
	.set _ZN9rocsparseL19gebsrmvn_2xn_kernelILj128ELj5ELj16E21rocsparse_complex_numIdEEEvi20rocsparse_direction_NS_24const_host_device_scalarIT2_EEPKiS8_PKS5_SA_S6_PS5_21rocsparse_index_base_b.uses_vcc, 1
	.set _ZN9rocsparseL19gebsrmvn_2xn_kernelILj128ELj5ELj16E21rocsparse_complex_numIdEEEvi20rocsparse_direction_NS_24const_host_device_scalarIT2_EEPKiS8_PKS5_SA_S6_PS5_21rocsparse_index_base_b.uses_flat_scratch, 0
	.set _ZN9rocsparseL19gebsrmvn_2xn_kernelILj128ELj5ELj16E21rocsparse_complex_numIdEEEvi20rocsparse_direction_NS_24const_host_device_scalarIT2_EEPKiS8_PKS5_SA_S6_PS5_21rocsparse_index_base_b.has_dyn_sized_stack, 0
	.set _ZN9rocsparseL19gebsrmvn_2xn_kernelILj128ELj5ELj16E21rocsparse_complex_numIdEEEvi20rocsparse_direction_NS_24const_host_device_scalarIT2_EEPKiS8_PKS5_SA_S6_PS5_21rocsparse_index_base_b.has_recursion, 0
	.set _ZN9rocsparseL19gebsrmvn_2xn_kernelILj128ELj5ELj16E21rocsparse_complex_numIdEEEvi20rocsparse_direction_NS_24const_host_device_scalarIT2_EEPKiS8_PKS5_SA_S6_PS5_21rocsparse_index_base_b.has_indirect_call, 0
	.section	.AMDGPU.csdata,"",@progbits
; Kernel info:
; codeLenInByte = 2828
; TotalNumSgprs: 20
; NumVgprs: 59
; ScratchSize: 0
; MemoryBound: 0
; FloatMode: 240
; IeeeMode: 1
; LDSByteSize: 0 bytes/workgroup (compile time only)
; SGPRBlocks: 2
; VGPRBlocks: 14
; NumSGPRsForWavesPerEU: 20
; NumVGPRsForWavesPerEU: 59
; Occupancy: 4
; WaveLimiterHint : 1
; COMPUTE_PGM_RSRC2:SCRATCH_EN: 0
; COMPUTE_PGM_RSRC2:USER_SGPR: 6
; COMPUTE_PGM_RSRC2:TRAP_HANDLER: 0
; COMPUTE_PGM_RSRC2:TGID_X_EN: 1
; COMPUTE_PGM_RSRC2:TGID_Y_EN: 0
; COMPUTE_PGM_RSRC2:TGID_Z_EN: 0
; COMPUTE_PGM_RSRC2:TIDIG_COMP_CNT: 0
	.section	.text._ZN9rocsparseL19gebsrmvn_2xn_kernelILj128ELj5ELj32E21rocsparse_complex_numIdEEEvi20rocsparse_direction_NS_24const_host_device_scalarIT2_EEPKiS8_PKS5_SA_S6_PS5_21rocsparse_index_base_b,"axG",@progbits,_ZN9rocsparseL19gebsrmvn_2xn_kernelILj128ELj5ELj32E21rocsparse_complex_numIdEEEvi20rocsparse_direction_NS_24const_host_device_scalarIT2_EEPKiS8_PKS5_SA_S6_PS5_21rocsparse_index_base_b,comdat
	.globl	_ZN9rocsparseL19gebsrmvn_2xn_kernelILj128ELj5ELj32E21rocsparse_complex_numIdEEEvi20rocsparse_direction_NS_24const_host_device_scalarIT2_EEPKiS8_PKS5_SA_S6_PS5_21rocsparse_index_base_b ; -- Begin function _ZN9rocsparseL19gebsrmvn_2xn_kernelILj128ELj5ELj32E21rocsparse_complex_numIdEEEvi20rocsparse_direction_NS_24const_host_device_scalarIT2_EEPKiS8_PKS5_SA_S6_PS5_21rocsparse_index_base_b
	.p2align	8
	.type	_ZN9rocsparseL19gebsrmvn_2xn_kernelILj128ELj5ELj32E21rocsparse_complex_numIdEEEvi20rocsparse_direction_NS_24const_host_device_scalarIT2_EEPKiS8_PKS5_SA_S6_PS5_21rocsparse_index_base_b,@function
_ZN9rocsparseL19gebsrmvn_2xn_kernelILj128ELj5ELj32E21rocsparse_complex_numIdEEEvi20rocsparse_direction_NS_24const_host_device_scalarIT2_EEPKiS8_PKS5_SA_S6_PS5_21rocsparse_index_base_b: ; @_ZN9rocsparseL19gebsrmvn_2xn_kernelILj128ELj5ELj32E21rocsparse_complex_numIdEEEvi20rocsparse_direction_NS_24const_host_device_scalarIT2_EEPKiS8_PKS5_SA_S6_PS5_21rocsparse_index_base_b
; %bb.0:
	s_load_dwordx2 s[0:1], s[4:5], 0x8
	s_load_dwordx2 s[8:9], s[4:5], 0x38
	s_load_dwordx2 s[2:3], s[4:5], 0x50
	s_add_u32 s7, s4, 8
	s_addc_u32 s10, s5, 0
	s_add_u32 s11, s4, 56
	s_addc_u32 s12, s5, 0
	s_waitcnt lgkmcnt(0)
	s_bitcmp1_b32 s3, 0
	s_cselect_b32 s1, s10, s1
	s_cselect_b32 s0, s7, s0
	v_mov_b32_e32 v1, s0
	v_mov_b32_e32 v2, s1
	flat_load_dwordx4 v[1:4], v[1:2]
	s_cselect_b32 s0, s12, s9
	s_cselect_b32 s1, s11, s8
	v_mov_b32_e32 v5, s1
	v_mov_b32_e32 v6, s0
	flat_load_dwordx4 v[5:8], v[5:6]
	s_waitcnt vmcnt(0) lgkmcnt(0)
	v_cmp_eq_f64_e32 vcc, 0, v[1:2]
	v_cmp_eq_f64_e64 s[0:1], 0, v[3:4]
	s_and_b64 s[10:11], vcc, s[0:1]
	s_mov_b64 s[0:1], -1
	s_and_saveexec_b64 s[8:9], s[10:11]
	s_cbranch_execz .LBB246_2
; %bb.1:
	v_cmp_neq_f64_e32 vcc, 1.0, v[5:6]
	v_cmp_neq_f64_e64 s[0:1], 0, v[7:8]
	s_or_b64 s[0:1], vcc, s[0:1]
	s_orn2_b64 s[0:1], s[0:1], exec
.LBB246_2:
	s_or_b64 exec, exec, s[8:9]
	s_and_saveexec_b64 s[8:9], s[0:1]
	s_cbranch_execz .LBB246_21
; %bb.3:
	s_load_dwordx2 s[0:1], s[4:5], 0x0
	v_lshrrev_b32_e32 v9, 5, v0
	v_lshl_or_b32 v9, s6, 2, v9
	s_waitcnt lgkmcnt(0)
	v_cmp_gt_i32_e32 vcc, s0, v9
	s_and_b64 exec, exec, vcc
	s_cbranch_execz .LBB246_21
; %bb.4:
	s_load_dwordx8 s[8:15], s[4:5], 0x18
	v_ashrrev_i32_e32 v10, 31, v9
	v_lshlrev_b64 v[10:11], 2, v[9:10]
	v_and_b32_e32 v0, 31, v0
	s_cmp_lg_u32 s1, 0
	s_waitcnt lgkmcnt(0)
	v_mov_b32_e32 v12, s9
	v_add_co_u32_e32 v10, vcc, s8, v10
	v_addc_co_u32_e32 v11, vcc, v12, v11, vcc
	global_load_dwordx2 v[10:11], v[10:11], off
	s_waitcnt vmcnt(0)
	v_subrev_u32_e32 v10, s2, v10
	v_subrev_u32_e32 v26, s2, v11
	v_add_u32_e32 v10, v10, v0
	v_cmp_lt_i32_e64 s[0:1], v10, v26
	s_cbranch_scc0 .LBB246_10
; %bb.5:
	v_mov_b32_e32 v16, 0
	v_mov_b32_e32 v18, 0
	;; [unrolled: 1-line block ×8, first 2 shown]
	s_and_saveexec_b64 s[6:7], s[0:1]
	s_cbranch_execz .LBB246_9
; %bb.6:
	v_mad_u64_u32 v[20:21], s[8:9], v10, 10, 8
	v_mov_b32_e32 v16, 0
	v_mov_b32_e32 v18, 0
	;; [unrolled: 1-line block ×5, first 2 shown]
	s_mov_b64 s[8:9], 0
	v_mov_b32_e32 v11, s11
	v_mov_b32_e32 v23, 0
	;; [unrolled: 1-line block ×8, first 2 shown]
.LBB246_7:                              ; =>This Inner Loop Header: Depth=1
	v_ashrrev_i32_e32 v25, 31, v24
	v_lshlrev_b64 v[29:30], 2, v[24:25]
	v_add_u32_e32 v22, -8, v20
	v_lshlrev_b64 v[31:32], 4, v[22:23]
	v_add_co_u32_e32 v37, vcc, s10, v29
	v_mov_b32_e32 v21, v23
	v_addc_co_u32_e32 v38, vcc, v11, v30, vcc
	v_lshlrev_b64 v[33:34], 4, v[20:21]
	v_add_co_u32_e32 v39, vcc, s12, v31
	v_addc_co_u32_e32 v40, vcc, v27, v32, vcc
	v_add_co_u32_e32 v51, vcc, s12, v33
	v_addc_co_u32_e32 v52, vcc, v27, v34, vcc
	global_load_dword v25, v[37:38], off
	global_load_dwordx4 v[29:32], v[39:40], off
	global_load_dwordx4 v[33:36], v[39:40], off offset:16
	v_add_u32_e32 v22, -6, v20
	v_lshlrev_b64 v[21:22], 4, v[22:23]
	v_mov_b32_e32 v50, v23
	v_add_co_u32_e32 v21, vcc, s12, v21
	v_addc_co_u32_e32 v22, vcc, v27, v22, vcc
	global_load_dwordx4 v[37:40], v[21:22], off
	global_load_dwordx4 v[41:44], v[21:22], off offset:16
	v_add_u32_e32 v24, 32, v24
	s_waitcnt vmcnt(4)
	v_subrev_u32_e32 v21, s2, v25
	v_lshl_add_u32 v49, v21, 2, v21
	v_lshlrev_b64 v[45:46], 4, v[49:50]
	v_add_u32_e32 v22, 1, v49
	v_add_co_u32_e32 v45, vcc, s14, v45
	v_addc_co_u32_e32 v46, vcc, v28, v46, vcc
	global_load_dwordx4 v[45:48], v[45:46], off
	v_lshlrev_b64 v[53:54], 4, v[22:23]
	v_add_u32_e32 v22, -4, v20
	s_waitcnt vmcnt(0)
	v_fma_f64 v[18:19], v[29:30], v[45:46], v[18:19]
	v_fma_f64 v[12:13], v[33:34], v[45:46], v[12:13]
	;; [unrolled: 1-line block ×4, first 2 shown]
	v_fma_f64 v[31:32], -v[31:32], v[47:48], v[18:19]
	v_add_co_u32_e32 v18, vcc, s14, v53
	v_addc_co_u32_e32 v19, vcc, v28, v54, vcc
	v_fma_f64 v[35:36], -v[35:36], v[47:48], v[12:13]
	v_fma_f64 v[33:34], v[33:34], v[47:48], v[14:15]
	global_load_dwordx4 v[12:15], v[18:19], off
	v_fma_f64 v[29:30], v[29:30], v[47:48], v[16:17]
	v_lshlrev_b64 v[16:17], 4, v[22:23]
	v_add_u32_e32 v22, 2, v49
	v_lshlrev_b64 v[53:54], 4, v[22:23]
	v_add_co_u32_e32 v45, vcc, s12, v16
	v_addc_co_u32_e32 v46, vcc, v27, v17, vcc
	v_add_co_u32_e32 v53, vcc, s14, v53
	v_addc_co_u32_e32 v54, vcc, v28, v54, vcc
	global_load_dwordx4 v[16:19], v[45:46], off
	v_add_u32_e32 v22, -2, v20
	v_lshlrev_b64 v[47:48], 4, v[22:23]
	v_add_u32_e32 v22, 3, v49
	v_lshlrev_b64 v[21:22], 4, v[22:23]
	v_add_u32_e32 v20, 0x140, v20
	s_waitcnt vmcnt(1)
	v_fma_f64 v[31:32], v[37:38], v[12:13], v[31:32]
	v_fma_f64 v[29:30], v[39:40], v[12:13], v[29:30]
	;; [unrolled: 1-line block ×4, first 2 shown]
	v_fma_f64 v[55:56], -v[39:40], v[14:15], v[31:32]
	v_fma_f64 v[57:58], v[37:38], v[14:15], v[29:30]
	v_fma_f64 v[43:44], -v[43:44], v[14:15], v[35:36]
	v_fma_f64 v[41:42], v[41:42], v[14:15], v[12:13]
	global_load_dwordx4 v[12:15], v[53:54], off
	global_load_dwordx4 v[29:32], v[45:46], off offset:16
	v_add_co_u32_e32 v45, vcc, s12, v47
	v_addc_co_u32_e32 v46, vcc, v27, v48, vcc
	global_load_dwordx4 v[33:36], v[45:46], off
	global_load_dwordx4 v[37:40], v[45:46], off offset:16
	v_add_co_u32_e32 v21, vcc, s14, v21
	v_addc_co_u32_e32 v22, vcc, v28, v22, vcc
	s_waitcnt vmcnt(3)
	v_fma_f64 v[45:46], v[16:17], v[12:13], v[55:56]
	v_fma_f64 v[47:48], v[18:19], v[12:13], v[57:58]
	v_fma_f64 v[45:46], -v[18:19], v[14:15], v[45:46]
	v_fma_f64 v[47:48], v[16:17], v[14:15], v[47:48]
	global_load_dwordx4 v[16:19], v[21:22], off
	s_waitcnt vmcnt(3)
	v_fma_f64 v[21:22], v[29:30], v[12:13], v[43:44]
	v_fma_f64 v[12:13], v[31:32], v[12:13], v[41:42]
	v_fma_f64 v[53:54], -v[31:32], v[14:15], v[21:22]
	v_add_u32_e32 v22, 4, v49
	v_lshlrev_b64 v[21:22], 4, v[22:23]
	v_fma_f64 v[55:56], v[29:30], v[14:15], v[12:13]
	v_add_co_u32_e32 v21, vcc, s14, v21
	v_addc_co_u32_e32 v22, vcc, v28, v22, vcc
	global_load_dwordx4 v[12:15], v[51:52], off
	global_load_dwordx4 v[29:32], v[51:52], off offset:16
	global_load_dwordx4 v[41:44], v[21:22], off
	v_cmp_ge_i32_e32 vcc, v24, v26
	s_or_b64 s[8:9], vcc, s[8:9]
	s_waitcnt vmcnt(3)
	v_fma_f64 v[21:22], v[33:34], v[16:17], v[45:46]
	v_fma_f64 v[45:46], v[35:36], v[16:17], v[47:48]
	;; [unrolled: 1-line block ×4, first 2 shown]
	v_fma_f64 v[21:22], -v[35:36], v[18:19], v[21:22]
	v_fma_f64 v[33:34], v[33:34], v[18:19], v[45:46]
	v_fma_f64 v[35:36], -v[39:40], v[18:19], v[47:48]
	v_fma_f64 v[16:17], v[37:38], v[18:19], v[16:17]
	s_waitcnt vmcnt(0)
	v_fma_f64 v[18:19], v[12:13], v[41:42], v[21:22]
	v_fma_f64 v[21:22], v[14:15], v[41:42], v[33:34]
	;; [unrolled: 1-line block ×4, first 2 shown]
	v_fma_f64 v[18:19], -v[14:15], v[43:44], v[18:19]
	v_fma_f64 v[16:17], v[12:13], v[43:44], v[21:22]
	v_fma_f64 v[12:13], -v[31:32], v[43:44], v[33:34]
	v_fma_f64 v[14:15], v[29:30], v[43:44], v[35:36]
	s_andn2_b64 exec, exec, s[8:9]
	s_cbranch_execnz .LBB246_7
; %bb.8:
	s_or_b64 exec, exec, s[8:9]
.LBB246_9:
	s_or_b64 exec, exec, s[6:7]
	s_cbranch_execz .LBB246_11
	s_branch .LBB246_16
.LBB246_10:
                                        ; implicit-def: $vgpr16_vgpr17
                                        ; implicit-def: $vgpr18_vgpr19
                                        ; implicit-def: $vgpr12_vgpr13
                                        ; implicit-def: $vgpr14_vgpr15
.LBB246_11:
	v_mov_b32_e32 v16, 0
	v_mov_b32_e32 v18, 0
	;; [unrolled: 1-line block ×8, first 2 shown]
	s_and_saveexec_b64 s[6:7], s[0:1]
	s_cbranch_execz .LBB246_15
; %bb.12:
	v_mad_u64_u32 v[20:21], s[0:1], v10, 10, 9
	v_mov_b32_e32 v16, 0
	v_mov_b32_e32 v18, 0
	;; [unrolled: 1-line block ×5, first 2 shown]
	s_mov_b64 s[0:1], 0
	v_mov_b32_e32 v24, s11
	v_mov_b32_e32 v23, 0
	;; [unrolled: 1-line block ×7, first 2 shown]
.LBB246_13:                             ; =>This Inner Loop Header: Depth=1
	v_ashrrev_i32_e32 v11, 31, v10
	v_lshlrev_b64 v[30:31], 2, v[10:11]
	v_add_u32_e32 v22, -9, v20
	v_lshlrev_b64 v[32:33], 4, v[22:23]
	v_add_co_u32_e32 v36, vcc, s10, v30
	v_add_u32_e32 v28, -4, v20
	v_mov_b32_e32 v29, v23
	v_addc_co_u32_e32 v37, vcc, v24, v31, vcc
	v_lshlrev_b64 v[28:29], 4, v[28:29]
	v_add_co_u32_e32 v38, vcc, s12, v32
	v_addc_co_u32_e32 v39, vcc, v25, v33, vcc
	v_add_co_u32_e32 v42, vcc, s12, v28
	v_addc_co_u32_e32 v43, vcc, v25, v29, vcc
	global_load_dword v11, v[36:37], off
	global_load_dwordx4 v[28:31], v[38:39], off
	global_load_dwordx4 v[32:35], v[38:39], off offset:16
	v_mov_b32_e32 v21, v23
	v_lshlrev_b64 v[21:22], 4, v[20:21]
	v_mov_b32_e32 v41, v23
	v_add_co_u32_e32 v21, vcc, s12, v21
	v_addc_co_u32_e32 v22, vcc, v25, v22, vcc
	v_add_u32_e32 v10, 32, v10
	s_waitcnt vmcnt(2)
	v_subrev_u32_e32 v11, s2, v11
	v_lshl_add_u32 v40, v11, 2, v11
	v_lshlrev_b64 v[36:37], 4, v[40:41]
	v_add_co_u32_e32 v36, vcc, s14, v36
	v_addc_co_u32_e32 v37, vcc, v27, v37, vcc
	global_load_dwordx4 v[36:39], v[36:37], off
	s_waitcnt vmcnt(0)
	v_fma_f64 v[18:19], v[28:29], v[36:37], v[18:19]
	v_fma_f64 v[16:17], v[30:31], v[36:37], v[16:17]
	v_fma_f64 v[44:45], -v[30:31], v[38:39], v[18:19]
	v_fma_f64 v[46:47], v[28:29], v[38:39], v[16:17]
	global_load_dwordx4 v[16:19], v[42:43], off
	global_load_dwordx4 v[28:31], v[21:22], off
	v_add_u32_e32 v22, 1, v40
	s_waitcnt vmcnt(1)
	v_fma_f64 v[11:12], v[16:17], v[36:37], v[12:13]
	v_fma_f64 v[13:14], v[18:19], v[36:37], v[14:15]
	v_fma_f64 v[36:37], -v[18:19], v[38:39], v[11:12]
	v_lshlrev_b64 v[11:12], 4, v[22:23]
	v_add_u32_e32 v22, -3, v20
	v_fma_f64 v[38:39], v[16:17], v[38:39], v[13:14]
	v_lshlrev_b64 v[13:14], 4, v[22:23]
	v_add_co_u32_e32 v11, vcc, s14, v11
	v_addc_co_u32_e32 v12, vcc, v27, v12, vcc
	v_add_co_u32_e32 v15, vcc, s12, v13
	v_addc_co_u32_e32 v16, vcc, v25, v14, vcc
	global_load_dwordx4 v[11:14], v[11:12], off
	v_add_u32_e32 v22, -7, v20
	v_lshlrev_b64 v[41:42], 4, v[22:23]
	v_add_u32_e32 v22, 2, v40
	s_waitcnt vmcnt(0)
	v_fma_f64 v[17:18], v[32:33], v[11:12], v[44:45]
	v_fma_f64 v[43:44], v[34:35], v[11:12], v[46:47]
	v_fma_f64 v[45:46], -v[34:35], v[13:14], v[17:18]
	global_load_dwordx4 v[15:18], v[15:16], off
	v_fma_f64 v[43:44], v[32:33], v[13:14], v[43:44]
	v_add_co_u32_e32 v32, vcc, s12, v41
	v_addc_co_u32_e32 v33, vcc, v25, v42, vcc
	global_load_dwordx4 v[32:35], v[32:33], off
	s_waitcnt vmcnt(1)
	v_fma_f64 v[36:37], v[15:16], v[11:12], v[36:37]
	v_fma_f64 v[11:12], v[17:18], v[11:12], v[38:39]
	v_fma_f64 v[36:37], -v[17:18], v[13:14], v[36:37]
	v_fma_f64 v[38:39], v[15:16], v[13:14], v[11:12]
	v_lshlrev_b64 v[11:12], 4, v[22:23]
	v_add_u32_e32 v22, -2, v20
	v_lshlrev_b64 v[13:14], 4, v[22:23]
	v_add_co_u32_e32 v11, vcc, s14, v11
	v_addc_co_u32_e32 v12, vcc, v27, v12, vcc
	v_add_co_u32_e32 v15, vcc, s12, v13
	v_addc_co_u32_e32 v16, vcc, v25, v14, vcc
	global_load_dwordx4 v[11:14], v[11:12], off
	v_add_u32_e32 v22, -6, v20
	v_lshlrev_b64 v[41:42], 4, v[22:23]
	v_add_u32_e32 v22, 3, v40
	s_waitcnt vmcnt(0)
	v_fma_f64 v[17:18], v[32:33], v[11:12], v[45:46]
	v_fma_f64 v[43:44], v[34:35], v[11:12], v[43:44]
	v_fma_f64 v[45:46], -v[34:35], v[13:14], v[17:18]
	global_load_dwordx4 v[15:18], v[15:16], off
	v_fma_f64 v[43:44], v[32:33], v[13:14], v[43:44]
	v_add_co_u32_e32 v32, vcc, s12, v41
	v_addc_co_u32_e32 v33, vcc, v25, v42, vcc
	global_load_dwordx4 v[32:35], v[32:33], off
	s_waitcnt vmcnt(1)
	v_fma_f64 v[36:37], v[15:16], v[11:12], v[36:37]
	v_fma_f64 v[11:12], v[17:18], v[11:12], v[38:39]
	v_fma_f64 v[36:37], -v[17:18], v[13:14], v[36:37]
	v_fma_f64 v[38:39], v[15:16], v[13:14], v[11:12]
	v_lshlrev_b64 v[11:12], 4, v[22:23]
	v_add_u32_e32 v22, -1, v20
	v_add_co_u32_e32 v11, vcc, s14, v11
	v_addc_co_u32_e32 v12, vcc, v27, v12, vcc
	global_load_dwordx4 v[11:14], v[11:12], off
	v_lshlrev_b64 v[15:16], 4, v[22:23]
	v_add_u32_e32 v22, -5, v20
	v_add_co_u32_e32 v15, vcc, s12, v15
	v_addc_co_u32_e32 v16, vcc, v25, v16, vcc
	v_lshlrev_b64 v[41:42], 4, v[22:23]
	v_add_u32_e32 v22, 4, v40
	v_lshlrev_b64 v[21:22], 4, v[22:23]
	v_add_u32_e32 v20, 0x140, v20
	s_waitcnt vmcnt(0)
	v_fma_f64 v[17:18], v[32:33], v[11:12], v[45:46]
	v_fma_f64 v[43:44], v[34:35], v[11:12], v[43:44]
	v_fma_f64 v[45:46], -v[34:35], v[13:14], v[17:18]
	global_load_dwordx4 v[15:18], v[15:16], off
	v_fma_f64 v[43:44], v[32:33], v[13:14], v[43:44]
	v_add_co_u32_e32 v32, vcc, s12, v41
	v_addc_co_u32_e32 v33, vcc, v25, v42, vcc
	global_load_dwordx4 v[32:35], v[32:33], off
	v_add_co_u32_e32 v21, vcc, s14, v21
	v_addc_co_u32_e32 v22, vcc, v27, v22, vcc
	v_cmp_ge_i32_e32 vcc, v10, v26
	s_or_b64 s[0:1], vcc, s[0:1]
	s_waitcnt vmcnt(1)
	v_fma_f64 v[36:37], v[15:16], v[11:12], v[36:37]
	v_fma_f64 v[11:12], v[17:18], v[11:12], v[38:39]
	v_fma_f64 v[17:18], -v[17:18], v[13:14], v[36:37]
	v_fma_f64 v[36:37], v[15:16], v[13:14], v[11:12]
	global_load_dwordx4 v[12:15], v[21:22], off
	s_waitcnt vmcnt(0)
	v_fma_f64 v[21:22], v[32:33], v[12:13], v[45:46]
	v_fma_f64 v[38:39], v[34:35], v[12:13], v[43:44]
	;; [unrolled: 1-line block ×4, first 2 shown]
	v_fma_f64 v[18:19], -v[34:35], v[14:15], v[21:22]
	v_fma_f64 v[16:17], v[32:33], v[14:15], v[38:39]
	v_fma_f64 v[12:13], -v[30:31], v[14:15], v[40:41]
	v_fma_f64 v[14:15], v[28:29], v[14:15], v[36:37]
	s_andn2_b64 exec, exec, s[0:1]
	s_cbranch_execnz .LBB246_13
; %bb.14:
	s_or_b64 exec, exec, s[0:1]
.LBB246_15:
	s_or_b64 exec, exec, s[6:7]
.LBB246_16:
	v_mov_b32_dpp v10, v18 row_shr:1 row_mask:0xf bank_mask:0xf
	v_mov_b32_dpp v11, v19 row_shr:1 row_mask:0xf bank_mask:0xf
	v_add_f64 v[10:11], v[18:19], v[10:11]
	v_mov_b32_dpp v18, v16 row_shr:1 row_mask:0xf bank_mask:0xf
	v_mov_b32_dpp v19, v17 row_shr:1 row_mask:0xf bank_mask:0xf
	v_add_f64 v[16:17], v[16:17], v[18:19]
	;; [unrolled: 3-line block ×3, first 2 shown]
	v_cmp_eq_u32_e32 vcc, 31, v0
	v_mov_b32_dpp v18, v10 row_shr:2 row_mask:0xf bank_mask:0xf
	v_mov_b32_dpp v19, v11 row_shr:2 row_mask:0xf bank_mask:0xf
	v_add_f64 v[10:11], v[10:11], v[18:19]
	v_mov_b32_dpp v18, v14 row_shr:1 row_mask:0xf bank_mask:0xf
	v_mov_b32_dpp v19, v15 row_shr:1 row_mask:0xf bank_mask:0xf
	v_add_f64 v[14:15], v[14:15], v[18:19]
	;; [unrolled: 3-line block ×4, first 2 shown]
	v_mov_b32_dpp v20, v12 row_shr:2 row_mask:0xf bank_mask:0xf
	v_mov_b32_dpp v21, v13 row_shr:2 row_mask:0xf bank_mask:0xf
	;; [unrolled: 1-line block ×3, first 2 shown]
	v_add_f64 v[12:13], v[12:13], v[20:21]
	v_mov_b32_dpp v19, v15 row_shr:2 row_mask:0xf bank_mask:0xf
	v_add_f64 v[14:15], v[14:15], v[18:19]
	v_mov_b32_dpp v20, v16 row_shr:4 row_mask:0xf bank_mask:0xe
	v_mov_b32_dpp v21, v17 row_shr:4 row_mask:0xf bank_mask:0xe
	v_add_f64 v[16:17], v[16:17], v[20:21]
	v_mov_b32_dpp v18, v10 row_shr:8 row_mask:0xf bank_mask:0xc
	v_mov_b32_dpp v19, v11 row_shr:8 row_mask:0xf bank_mask:0xc
	;; [unrolled: 1-line block ×4, first 2 shown]
	v_add_f64 v[20:21], v[12:13], v[20:21]
	v_mov_b32_dpp v12, v14 row_shr:4 row_mask:0xf bank_mask:0xe
	v_mov_b32_dpp v13, v15 row_shr:4 row_mask:0xf bank_mask:0xe
	v_add_f64 v[14:15], v[14:15], v[12:13]
	v_mov_b32_dpp v12, v16 row_shr:8 row_mask:0xf bank_mask:0xc
	v_mov_b32_dpp v13, v17 row_shr:8 row_mask:0xf bank_mask:0xc
	v_add_f64 v[12:13], v[16:17], v[12:13]
	v_add_f64 v[10:11], v[10:11], v[18:19]
	v_mov_b32_dpp v16, v20 row_shr:8 row_mask:0xf bank_mask:0xc
	v_mov_b32_dpp v17, v21 row_shr:8 row_mask:0xf bank_mask:0xc
	v_add_f64 v[18:19], v[20:21], v[16:17]
	v_mov_b32_dpp v16, v14 row_shr:8 row_mask:0xf bank_mask:0xc
	v_mov_b32_dpp v17, v15 row_shr:8 row_mask:0xf bank_mask:0xc
	v_add_f64 v[14:15], v[14:15], v[16:17]
	v_mov_b32_dpp v16, v12 row_bcast:15 row_mask:0xa bank_mask:0xf
	v_mov_b32_dpp v24, v10 row_bcast:15 row_mask:0xa bank_mask:0xf
	;; [unrolled: 1-line block ×8, first 2 shown]
	s_and_b64 exec, exec, vcc
	s_cbranch_execz .LBB246_21
; %bb.17:
	v_cmp_eq_f64_e32 vcc, 0, v[5:6]
	v_cmp_eq_f64_e64 s[0:1], 0, v[7:8]
	v_add_f64 v[10:11], v[10:11], v[24:25]
	v_add_f64 v[16:17], v[12:13], v[16:17]
	;; [unrolled: 1-line block ×4, first 2 shown]
	s_load_dwordx2 s[2:3], s[4:5], 0x48
	s_and_b64 s[0:1], vcc, s[0:1]
	s_and_saveexec_b64 s[4:5], s[0:1]
	s_xor_b64 s[0:1], exec, s[4:5]
	s_cbranch_execz .LBB246_19
; %bb.18:
	v_mul_f64 v[5:6], v[16:17], -v[3:4]
	v_mul_f64 v[7:8], v[1:2], v[16:17]
	v_mul_f64 v[16:17], v[14:15], -v[3:4]
	v_mul_f64 v[14:15], v[1:2], v[14:15]
	v_lshlrev_b32_e32 v9, 1, v9
	s_waitcnt lgkmcnt(0)
	v_mov_b32_e32 v18, s3
	v_fma_f64 v[5:6], v[1:2], v[10:11], v[5:6]
	v_fma_f64 v[7:8], v[3:4], v[10:11], v[7:8]
	;; [unrolled: 1-line block ×4, first 2 shown]
	v_ashrrev_i32_e32 v10, 31, v9
	v_lshlrev_b64 v[9:10], 4, v[9:10]
                                        ; implicit-def: $vgpr16_vgpr17
                                        ; implicit-def: $vgpr12_vgpr13
                                        ; implicit-def: $vgpr14_vgpr15
	v_add_co_u32_e32 v9, vcc, s2, v9
	v_addc_co_u32_e32 v10, vcc, v18, v10, vcc
	global_store_dwordx4 v[9:10], v[5:8], off
	global_store_dwordx4 v[9:10], v[0:3], off offset:16
                                        ; implicit-def: $vgpr9
                                        ; implicit-def: $vgpr10_vgpr11
                                        ; implicit-def: $vgpr7_vgpr8
                                        ; implicit-def: $vgpr3_vgpr4
.LBB246_19:
	s_andn2_saveexec_b64 s[0:1], s[0:1]
	s_cbranch_execz .LBB246_21
; %bb.20:
	v_lshlrev_b32_e32 v18, 1, v9
	v_ashrrev_i32_e32 v19, 31, v18
	v_lshlrev_b64 v[18:19], 4, v[18:19]
	s_waitcnt lgkmcnt(0)
	v_mov_b32_e32 v0, s3
	v_add_co_u32_e32 v26, vcc, s2, v18
	v_addc_co_u32_e32 v27, vcc, v0, v19, vcc
	global_load_dwordx4 v[18:21], v[26:27], off
	global_load_dwordx4 v[22:25], v[26:27], off offset:16
	v_mul_f64 v[28:29], v[16:17], -v[3:4]
	v_mul_f64 v[16:17], v[1:2], v[16:17]
	v_mul_f64 v[30:31], v[14:15], -v[3:4]
	v_mul_f64 v[14:15], v[1:2], v[14:15]
	v_fma_f64 v[28:29], v[1:2], v[10:11], v[28:29]
	v_fma_f64 v[9:10], v[3:4], v[10:11], v[16:17]
	;; [unrolled: 1-line block ×4, first 2 shown]
	s_waitcnt vmcnt(1)
	v_fma_f64 v[11:12], v[5:6], v[18:19], v[28:29]
	v_fma_f64 v[9:10], v[7:8], v[18:19], v[9:10]
	s_waitcnt vmcnt(0)
	v_fma_f64 v[13:14], v[5:6], v[22:23], v[0:1]
	v_fma_f64 v[15:16], v[7:8], v[22:23], v[2:3]
	v_fma_f64 v[0:1], -v[7:8], v[20:21], v[11:12]
	v_fma_f64 v[2:3], v[5:6], v[20:21], v[9:10]
	v_fma_f64 v[7:8], -v[7:8], v[24:25], v[13:14]
	v_fma_f64 v[9:10], v[5:6], v[24:25], v[15:16]
	global_store_dwordx4 v[26:27], v[0:3], off
	global_store_dwordx4 v[26:27], v[7:10], off offset:16
.LBB246_21:
	s_endpgm
	.section	.rodata,"a",@progbits
	.p2align	6, 0x0
	.amdhsa_kernel _ZN9rocsparseL19gebsrmvn_2xn_kernelILj128ELj5ELj32E21rocsparse_complex_numIdEEEvi20rocsparse_direction_NS_24const_host_device_scalarIT2_EEPKiS8_PKS5_SA_S6_PS5_21rocsparse_index_base_b
		.amdhsa_group_segment_fixed_size 0
		.amdhsa_private_segment_fixed_size 0
		.amdhsa_kernarg_size 88
		.amdhsa_user_sgpr_count 6
		.amdhsa_user_sgpr_private_segment_buffer 1
		.amdhsa_user_sgpr_dispatch_ptr 0
		.amdhsa_user_sgpr_queue_ptr 0
		.amdhsa_user_sgpr_kernarg_segment_ptr 1
		.amdhsa_user_sgpr_dispatch_id 0
		.amdhsa_user_sgpr_flat_scratch_init 0
		.amdhsa_user_sgpr_private_segment_size 0
		.amdhsa_uses_dynamic_stack 0
		.amdhsa_system_sgpr_private_segment_wavefront_offset 0
		.amdhsa_system_sgpr_workgroup_id_x 1
		.amdhsa_system_sgpr_workgroup_id_y 0
		.amdhsa_system_sgpr_workgroup_id_z 0
		.amdhsa_system_sgpr_workgroup_info 0
		.amdhsa_system_vgpr_workitem_id 0
		.amdhsa_next_free_vgpr 59
		.amdhsa_next_free_sgpr 16
		.amdhsa_reserve_vcc 1
		.amdhsa_reserve_flat_scratch 0
		.amdhsa_float_round_mode_32 0
		.amdhsa_float_round_mode_16_64 0
		.amdhsa_float_denorm_mode_32 3
		.amdhsa_float_denorm_mode_16_64 3
		.amdhsa_dx10_clamp 1
		.amdhsa_ieee_mode 1
		.amdhsa_fp16_overflow 0
		.amdhsa_exception_fp_ieee_invalid_op 0
		.amdhsa_exception_fp_denorm_src 0
		.amdhsa_exception_fp_ieee_div_zero 0
		.amdhsa_exception_fp_ieee_overflow 0
		.amdhsa_exception_fp_ieee_underflow 0
		.amdhsa_exception_fp_ieee_inexact 0
		.amdhsa_exception_int_div_zero 0
	.end_amdhsa_kernel
	.section	.text._ZN9rocsparseL19gebsrmvn_2xn_kernelILj128ELj5ELj32E21rocsparse_complex_numIdEEEvi20rocsparse_direction_NS_24const_host_device_scalarIT2_EEPKiS8_PKS5_SA_S6_PS5_21rocsparse_index_base_b,"axG",@progbits,_ZN9rocsparseL19gebsrmvn_2xn_kernelILj128ELj5ELj32E21rocsparse_complex_numIdEEEvi20rocsparse_direction_NS_24const_host_device_scalarIT2_EEPKiS8_PKS5_SA_S6_PS5_21rocsparse_index_base_b,comdat
.Lfunc_end246:
	.size	_ZN9rocsparseL19gebsrmvn_2xn_kernelILj128ELj5ELj32E21rocsparse_complex_numIdEEEvi20rocsparse_direction_NS_24const_host_device_scalarIT2_EEPKiS8_PKS5_SA_S6_PS5_21rocsparse_index_base_b, .Lfunc_end246-_ZN9rocsparseL19gebsrmvn_2xn_kernelILj128ELj5ELj32E21rocsparse_complex_numIdEEEvi20rocsparse_direction_NS_24const_host_device_scalarIT2_EEPKiS8_PKS5_SA_S6_PS5_21rocsparse_index_base_b
                                        ; -- End function
	.set _ZN9rocsparseL19gebsrmvn_2xn_kernelILj128ELj5ELj32E21rocsparse_complex_numIdEEEvi20rocsparse_direction_NS_24const_host_device_scalarIT2_EEPKiS8_PKS5_SA_S6_PS5_21rocsparse_index_base_b.num_vgpr, 59
	.set _ZN9rocsparseL19gebsrmvn_2xn_kernelILj128ELj5ELj32E21rocsparse_complex_numIdEEEvi20rocsparse_direction_NS_24const_host_device_scalarIT2_EEPKiS8_PKS5_SA_S6_PS5_21rocsparse_index_base_b.num_agpr, 0
	.set _ZN9rocsparseL19gebsrmvn_2xn_kernelILj128ELj5ELj32E21rocsparse_complex_numIdEEEvi20rocsparse_direction_NS_24const_host_device_scalarIT2_EEPKiS8_PKS5_SA_S6_PS5_21rocsparse_index_base_b.numbered_sgpr, 16
	.set _ZN9rocsparseL19gebsrmvn_2xn_kernelILj128ELj5ELj32E21rocsparse_complex_numIdEEEvi20rocsparse_direction_NS_24const_host_device_scalarIT2_EEPKiS8_PKS5_SA_S6_PS5_21rocsparse_index_base_b.num_named_barrier, 0
	.set _ZN9rocsparseL19gebsrmvn_2xn_kernelILj128ELj5ELj32E21rocsparse_complex_numIdEEEvi20rocsparse_direction_NS_24const_host_device_scalarIT2_EEPKiS8_PKS5_SA_S6_PS5_21rocsparse_index_base_b.private_seg_size, 0
	.set _ZN9rocsparseL19gebsrmvn_2xn_kernelILj128ELj5ELj32E21rocsparse_complex_numIdEEEvi20rocsparse_direction_NS_24const_host_device_scalarIT2_EEPKiS8_PKS5_SA_S6_PS5_21rocsparse_index_base_b.uses_vcc, 1
	.set _ZN9rocsparseL19gebsrmvn_2xn_kernelILj128ELj5ELj32E21rocsparse_complex_numIdEEEvi20rocsparse_direction_NS_24const_host_device_scalarIT2_EEPKiS8_PKS5_SA_S6_PS5_21rocsparse_index_base_b.uses_flat_scratch, 0
	.set _ZN9rocsparseL19gebsrmvn_2xn_kernelILj128ELj5ELj32E21rocsparse_complex_numIdEEEvi20rocsparse_direction_NS_24const_host_device_scalarIT2_EEPKiS8_PKS5_SA_S6_PS5_21rocsparse_index_base_b.has_dyn_sized_stack, 0
	.set _ZN9rocsparseL19gebsrmvn_2xn_kernelILj128ELj5ELj32E21rocsparse_complex_numIdEEEvi20rocsparse_direction_NS_24const_host_device_scalarIT2_EEPKiS8_PKS5_SA_S6_PS5_21rocsparse_index_base_b.has_recursion, 0
	.set _ZN9rocsparseL19gebsrmvn_2xn_kernelILj128ELj5ELj32E21rocsparse_complex_numIdEEEvi20rocsparse_direction_NS_24const_host_device_scalarIT2_EEPKiS8_PKS5_SA_S6_PS5_21rocsparse_index_base_b.has_indirect_call, 0
	.section	.AMDGPU.csdata,"",@progbits
; Kernel info:
; codeLenInByte = 2924
; TotalNumSgprs: 20
; NumVgprs: 59
; ScratchSize: 0
; MemoryBound: 0
; FloatMode: 240
; IeeeMode: 1
; LDSByteSize: 0 bytes/workgroup (compile time only)
; SGPRBlocks: 2
; VGPRBlocks: 14
; NumSGPRsForWavesPerEU: 20
; NumVGPRsForWavesPerEU: 59
; Occupancy: 4
; WaveLimiterHint : 1
; COMPUTE_PGM_RSRC2:SCRATCH_EN: 0
; COMPUTE_PGM_RSRC2:USER_SGPR: 6
; COMPUTE_PGM_RSRC2:TRAP_HANDLER: 0
; COMPUTE_PGM_RSRC2:TGID_X_EN: 1
; COMPUTE_PGM_RSRC2:TGID_Y_EN: 0
; COMPUTE_PGM_RSRC2:TGID_Z_EN: 0
; COMPUTE_PGM_RSRC2:TIDIG_COMP_CNT: 0
	.section	.text._ZN9rocsparseL19gebsrmvn_2xn_kernelILj128ELj5ELj64E21rocsparse_complex_numIdEEEvi20rocsparse_direction_NS_24const_host_device_scalarIT2_EEPKiS8_PKS5_SA_S6_PS5_21rocsparse_index_base_b,"axG",@progbits,_ZN9rocsparseL19gebsrmvn_2xn_kernelILj128ELj5ELj64E21rocsparse_complex_numIdEEEvi20rocsparse_direction_NS_24const_host_device_scalarIT2_EEPKiS8_PKS5_SA_S6_PS5_21rocsparse_index_base_b,comdat
	.globl	_ZN9rocsparseL19gebsrmvn_2xn_kernelILj128ELj5ELj64E21rocsparse_complex_numIdEEEvi20rocsparse_direction_NS_24const_host_device_scalarIT2_EEPKiS8_PKS5_SA_S6_PS5_21rocsparse_index_base_b ; -- Begin function _ZN9rocsparseL19gebsrmvn_2xn_kernelILj128ELj5ELj64E21rocsparse_complex_numIdEEEvi20rocsparse_direction_NS_24const_host_device_scalarIT2_EEPKiS8_PKS5_SA_S6_PS5_21rocsparse_index_base_b
	.p2align	8
	.type	_ZN9rocsparseL19gebsrmvn_2xn_kernelILj128ELj5ELj64E21rocsparse_complex_numIdEEEvi20rocsparse_direction_NS_24const_host_device_scalarIT2_EEPKiS8_PKS5_SA_S6_PS5_21rocsparse_index_base_b,@function
_ZN9rocsparseL19gebsrmvn_2xn_kernelILj128ELj5ELj64E21rocsparse_complex_numIdEEEvi20rocsparse_direction_NS_24const_host_device_scalarIT2_EEPKiS8_PKS5_SA_S6_PS5_21rocsparse_index_base_b: ; @_ZN9rocsparseL19gebsrmvn_2xn_kernelILj128ELj5ELj64E21rocsparse_complex_numIdEEEvi20rocsparse_direction_NS_24const_host_device_scalarIT2_EEPKiS8_PKS5_SA_S6_PS5_21rocsparse_index_base_b
; %bb.0:
	s_load_dwordx2 s[0:1], s[4:5], 0x8
	s_load_dwordx2 s[8:9], s[4:5], 0x38
	s_load_dwordx2 s[2:3], s[4:5], 0x50
	s_add_u32 s7, s4, 8
	s_addc_u32 s10, s5, 0
	s_add_u32 s11, s4, 56
	s_addc_u32 s12, s5, 0
	s_waitcnt lgkmcnt(0)
	s_bitcmp1_b32 s3, 0
	s_cselect_b32 s1, s10, s1
	s_cselect_b32 s0, s7, s0
	v_mov_b32_e32 v1, s0
	v_mov_b32_e32 v2, s1
	flat_load_dwordx4 v[1:4], v[1:2]
	s_cselect_b32 s0, s12, s9
	s_cselect_b32 s1, s11, s8
	v_mov_b32_e32 v5, s1
	v_mov_b32_e32 v6, s0
	flat_load_dwordx4 v[5:8], v[5:6]
	s_waitcnt vmcnt(0) lgkmcnt(0)
	v_cmp_eq_f64_e32 vcc, 0, v[1:2]
	v_cmp_eq_f64_e64 s[0:1], 0, v[3:4]
	s_and_b64 s[10:11], vcc, s[0:1]
	s_mov_b64 s[0:1], -1
	s_and_saveexec_b64 s[8:9], s[10:11]
	s_cbranch_execz .LBB247_2
; %bb.1:
	v_cmp_neq_f64_e32 vcc, 1.0, v[5:6]
	v_cmp_neq_f64_e64 s[0:1], 0, v[7:8]
	s_or_b64 s[0:1], vcc, s[0:1]
	s_orn2_b64 s[0:1], s[0:1], exec
.LBB247_2:
	s_or_b64 exec, exec, s[8:9]
	s_and_saveexec_b64 s[8:9], s[0:1]
	s_cbranch_execz .LBB247_21
; %bb.3:
	s_load_dwordx2 s[0:1], s[4:5], 0x0
	v_lshrrev_b32_e32 v9, 6, v0
	v_lshl_or_b32 v9, s6, 1, v9
	s_waitcnt lgkmcnt(0)
	v_cmp_gt_i32_e32 vcc, s0, v9
	s_and_b64 exec, exec, vcc
	s_cbranch_execz .LBB247_21
; %bb.4:
	s_load_dwordx8 s[8:15], s[4:5], 0x18
	v_ashrrev_i32_e32 v10, 31, v9
	v_lshlrev_b64 v[10:11], 2, v[9:10]
	v_and_b32_e32 v0, 63, v0
	s_cmp_lg_u32 s1, 0
	s_waitcnt lgkmcnt(0)
	v_mov_b32_e32 v12, s9
	v_add_co_u32_e32 v10, vcc, s8, v10
	v_addc_co_u32_e32 v11, vcc, v12, v11, vcc
	global_load_dwordx2 v[10:11], v[10:11], off
	s_waitcnt vmcnt(0)
	v_subrev_u32_e32 v10, s2, v10
	v_subrev_u32_e32 v26, s2, v11
	v_add_u32_e32 v10, v10, v0
	v_cmp_lt_i32_e64 s[0:1], v10, v26
	s_cbranch_scc0 .LBB247_10
; %bb.5:
	v_mov_b32_e32 v16, 0
	v_mov_b32_e32 v18, 0
	;; [unrolled: 1-line block ×8, first 2 shown]
	s_and_saveexec_b64 s[6:7], s[0:1]
	s_cbranch_execz .LBB247_9
; %bb.6:
	v_mad_u64_u32 v[20:21], s[8:9], v10, 10, 8
	v_mov_b32_e32 v16, 0
	v_mov_b32_e32 v18, 0
	;; [unrolled: 1-line block ×5, first 2 shown]
	s_mov_b64 s[8:9], 0
	v_mov_b32_e32 v11, s11
	v_mov_b32_e32 v23, 0
	;; [unrolled: 1-line block ×8, first 2 shown]
.LBB247_7:                              ; =>This Inner Loop Header: Depth=1
	v_ashrrev_i32_e32 v25, 31, v24
	v_lshlrev_b64 v[29:30], 2, v[24:25]
	v_add_u32_e32 v22, -8, v20
	v_lshlrev_b64 v[31:32], 4, v[22:23]
	v_add_co_u32_e32 v37, vcc, s10, v29
	v_mov_b32_e32 v21, v23
	v_addc_co_u32_e32 v38, vcc, v11, v30, vcc
	v_lshlrev_b64 v[33:34], 4, v[20:21]
	v_add_co_u32_e32 v39, vcc, s12, v31
	v_addc_co_u32_e32 v40, vcc, v27, v32, vcc
	v_add_co_u32_e32 v51, vcc, s12, v33
	v_addc_co_u32_e32 v52, vcc, v27, v34, vcc
	global_load_dword v25, v[37:38], off
	global_load_dwordx4 v[29:32], v[39:40], off
	global_load_dwordx4 v[33:36], v[39:40], off offset:16
	v_add_u32_e32 v22, -6, v20
	v_lshlrev_b64 v[21:22], 4, v[22:23]
	v_mov_b32_e32 v50, v23
	v_add_co_u32_e32 v21, vcc, s12, v21
	v_addc_co_u32_e32 v22, vcc, v27, v22, vcc
	global_load_dwordx4 v[37:40], v[21:22], off
	global_load_dwordx4 v[41:44], v[21:22], off offset:16
	v_add_u32_e32 v24, 64, v24
	s_waitcnt vmcnt(4)
	v_subrev_u32_e32 v21, s2, v25
	v_lshl_add_u32 v49, v21, 2, v21
	v_lshlrev_b64 v[45:46], 4, v[49:50]
	v_add_u32_e32 v22, 1, v49
	v_add_co_u32_e32 v45, vcc, s14, v45
	v_addc_co_u32_e32 v46, vcc, v28, v46, vcc
	global_load_dwordx4 v[45:48], v[45:46], off
	v_lshlrev_b64 v[53:54], 4, v[22:23]
	v_add_u32_e32 v22, -4, v20
	s_waitcnt vmcnt(0)
	v_fma_f64 v[18:19], v[29:30], v[45:46], v[18:19]
	v_fma_f64 v[12:13], v[33:34], v[45:46], v[12:13]
	;; [unrolled: 1-line block ×4, first 2 shown]
	v_fma_f64 v[31:32], -v[31:32], v[47:48], v[18:19]
	v_add_co_u32_e32 v18, vcc, s14, v53
	v_addc_co_u32_e32 v19, vcc, v28, v54, vcc
	v_fma_f64 v[35:36], -v[35:36], v[47:48], v[12:13]
	v_fma_f64 v[33:34], v[33:34], v[47:48], v[14:15]
	global_load_dwordx4 v[12:15], v[18:19], off
	v_fma_f64 v[29:30], v[29:30], v[47:48], v[16:17]
	v_lshlrev_b64 v[16:17], 4, v[22:23]
	v_add_u32_e32 v22, 2, v49
	v_lshlrev_b64 v[53:54], 4, v[22:23]
	v_add_co_u32_e32 v45, vcc, s12, v16
	v_addc_co_u32_e32 v46, vcc, v27, v17, vcc
	v_add_co_u32_e32 v53, vcc, s14, v53
	v_addc_co_u32_e32 v54, vcc, v28, v54, vcc
	global_load_dwordx4 v[16:19], v[45:46], off
	v_add_u32_e32 v22, -2, v20
	v_lshlrev_b64 v[47:48], 4, v[22:23]
	v_add_u32_e32 v22, 3, v49
	v_lshlrev_b64 v[21:22], 4, v[22:23]
	v_add_u32_e32 v20, 0x280, v20
	s_waitcnt vmcnt(1)
	v_fma_f64 v[31:32], v[37:38], v[12:13], v[31:32]
	v_fma_f64 v[29:30], v[39:40], v[12:13], v[29:30]
	;; [unrolled: 1-line block ×4, first 2 shown]
	v_fma_f64 v[55:56], -v[39:40], v[14:15], v[31:32]
	v_fma_f64 v[57:58], v[37:38], v[14:15], v[29:30]
	v_fma_f64 v[43:44], -v[43:44], v[14:15], v[35:36]
	v_fma_f64 v[41:42], v[41:42], v[14:15], v[12:13]
	global_load_dwordx4 v[12:15], v[53:54], off
	global_load_dwordx4 v[29:32], v[45:46], off offset:16
	v_add_co_u32_e32 v45, vcc, s12, v47
	v_addc_co_u32_e32 v46, vcc, v27, v48, vcc
	global_load_dwordx4 v[33:36], v[45:46], off
	global_load_dwordx4 v[37:40], v[45:46], off offset:16
	v_add_co_u32_e32 v21, vcc, s14, v21
	v_addc_co_u32_e32 v22, vcc, v28, v22, vcc
	s_waitcnt vmcnt(3)
	v_fma_f64 v[45:46], v[16:17], v[12:13], v[55:56]
	v_fma_f64 v[47:48], v[18:19], v[12:13], v[57:58]
	v_fma_f64 v[45:46], -v[18:19], v[14:15], v[45:46]
	v_fma_f64 v[47:48], v[16:17], v[14:15], v[47:48]
	global_load_dwordx4 v[16:19], v[21:22], off
	s_waitcnt vmcnt(3)
	v_fma_f64 v[21:22], v[29:30], v[12:13], v[43:44]
	v_fma_f64 v[12:13], v[31:32], v[12:13], v[41:42]
	v_fma_f64 v[53:54], -v[31:32], v[14:15], v[21:22]
	v_add_u32_e32 v22, 4, v49
	v_lshlrev_b64 v[21:22], 4, v[22:23]
	v_fma_f64 v[55:56], v[29:30], v[14:15], v[12:13]
	v_add_co_u32_e32 v21, vcc, s14, v21
	v_addc_co_u32_e32 v22, vcc, v28, v22, vcc
	global_load_dwordx4 v[12:15], v[51:52], off
	global_load_dwordx4 v[29:32], v[51:52], off offset:16
	global_load_dwordx4 v[41:44], v[21:22], off
	v_cmp_ge_i32_e32 vcc, v24, v26
	s_or_b64 s[8:9], vcc, s[8:9]
	s_waitcnt vmcnt(3)
	v_fma_f64 v[21:22], v[33:34], v[16:17], v[45:46]
	v_fma_f64 v[45:46], v[35:36], v[16:17], v[47:48]
	;; [unrolled: 1-line block ×4, first 2 shown]
	v_fma_f64 v[21:22], -v[35:36], v[18:19], v[21:22]
	v_fma_f64 v[33:34], v[33:34], v[18:19], v[45:46]
	v_fma_f64 v[35:36], -v[39:40], v[18:19], v[47:48]
	v_fma_f64 v[16:17], v[37:38], v[18:19], v[16:17]
	s_waitcnt vmcnt(0)
	v_fma_f64 v[18:19], v[12:13], v[41:42], v[21:22]
	v_fma_f64 v[21:22], v[14:15], v[41:42], v[33:34]
	;; [unrolled: 1-line block ×4, first 2 shown]
	v_fma_f64 v[18:19], -v[14:15], v[43:44], v[18:19]
	v_fma_f64 v[16:17], v[12:13], v[43:44], v[21:22]
	v_fma_f64 v[12:13], -v[31:32], v[43:44], v[33:34]
	v_fma_f64 v[14:15], v[29:30], v[43:44], v[35:36]
	s_andn2_b64 exec, exec, s[8:9]
	s_cbranch_execnz .LBB247_7
; %bb.8:
	s_or_b64 exec, exec, s[8:9]
.LBB247_9:
	s_or_b64 exec, exec, s[6:7]
	s_cbranch_execz .LBB247_11
	s_branch .LBB247_16
.LBB247_10:
                                        ; implicit-def: $vgpr16_vgpr17
                                        ; implicit-def: $vgpr18_vgpr19
                                        ; implicit-def: $vgpr12_vgpr13
                                        ; implicit-def: $vgpr14_vgpr15
.LBB247_11:
	v_mov_b32_e32 v16, 0
	v_mov_b32_e32 v18, 0
	;; [unrolled: 1-line block ×8, first 2 shown]
	s_and_saveexec_b64 s[6:7], s[0:1]
	s_cbranch_execz .LBB247_15
; %bb.12:
	v_mad_u64_u32 v[20:21], s[0:1], v10, 10, 9
	v_mov_b32_e32 v16, 0
	v_mov_b32_e32 v18, 0
	;; [unrolled: 1-line block ×5, first 2 shown]
	s_mov_b64 s[0:1], 0
	v_mov_b32_e32 v24, s11
	v_mov_b32_e32 v23, 0
	;; [unrolled: 1-line block ×7, first 2 shown]
.LBB247_13:                             ; =>This Inner Loop Header: Depth=1
	v_ashrrev_i32_e32 v11, 31, v10
	v_lshlrev_b64 v[30:31], 2, v[10:11]
	v_add_u32_e32 v22, -9, v20
	v_lshlrev_b64 v[32:33], 4, v[22:23]
	v_add_co_u32_e32 v36, vcc, s10, v30
	v_add_u32_e32 v28, -4, v20
	v_mov_b32_e32 v29, v23
	v_addc_co_u32_e32 v37, vcc, v24, v31, vcc
	v_lshlrev_b64 v[28:29], 4, v[28:29]
	v_add_co_u32_e32 v38, vcc, s12, v32
	v_addc_co_u32_e32 v39, vcc, v25, v33, vcc
	v_add_co_u32_e32 v42, vcc, s12, v28
	v_addc_co_u32_e32 v43, vcc, v25, v29, vcc
	global_load_dword v11, v[36:37], off
	global_load_dwordx4 v[28:31], v[38:39], off
	global_load_dwordx4 v[32:35], v[38:39], off offset:16
	v_mov_b32_e32 v21, v23
	v_lshlrev_b64 v[21:22], 4, v[20:21]
	v_mov_b32_e32 v41, v23
	v_add_co_u32_e32 v21, vcc, s12, v21
	v_addc_co_u32_e32 v22, vcc, v25, v22, vcc
	v_add_u32_e32 v10, 64, v10
	s_waitcnt vmcnt(2)
	v_subrev_u32_e32 v11, s2, v11
	v_lshl_add_u32 v40, v11, 2, v11
	v_lshlrev_b64 v[36:37], 4, v[40:41]
	v_add_co_u32_e32 v36, vcc, s14, v36
	v_addc_co_u32_e32 v37, vcc, v27, v37, vcc
	global_load_dwordx4 v[36:39], v[36:37], off
	s_waitcnt vmcnt(0)
	v_fma_f64 v[18:19], v[28:29], v[36:37], v[18:19]
	v_fma_f64 v[16:17], v[30:31], v[36:37], v[16:17]
	v_fma_f64 v[44:45], -v[30:31], v[38:39], v[18:19]
	v_fma_f64 v[46:47], v[28:29], v[38:39], v[16:17]
	global_load_dwordx4 v[16:19], v[42:43], off
	global_load_dwordx4 v[28:31], v[21:22], off
	v_add_u32_e32 v22, 1, v40
	s_waitcnt vmcnt(1)
	v_fma_f64 v[11:12], v[16:17], v[36:37], v[12:13]
	v_fma_f64 v[13:14], v[18:19], v[36:37], v[14:15]
	v_fma_f64 v[36:37], -v[18:19], v[38:39], v[11:12]
	v_lshlrev_b64 v[11:12], 4, v[22:23]
	v_add_u32_e32 v22, -3, v20
	v_fma_f64 v[38:39], v[16:17], v[38:39], v[13:14]
	v_lshlrev_b64 v[13:14], 4, v[22:23]
	v_add_co_u32_e32 v11, vcc, s14, v11
	v_addc_co_u32_e32 v12, vcc, v27, v12, vcc
	v_add_co_u32_e32 v15, vcc, s12, v13
	v_addc_co_u32_e32 v16, vcc, v25, v14, vcc
	global_load_dwordx4 v[11:14], v[11:12], off
	v_add_u32_e32 v22, -7, v20
	v_lshlrev_b64 v[41:42], 4, v[22:23]
	v_add_u32_e32 v22, 2, v40
	s_waitcnt vmcnt(0)
	v_fma_f64 v[17:18], v[32:33], v[11:12], v[44:45]
	v_fma_f64 v[43:44], v[34:35], v[11:12], v[46:47]
	v_fma_f64 v[45:46], -v[34:35], v[13:14], v[17:18]
	global_load_dwordx4 v[15:18], v[15:16], off
	v_fma_f64 v[43:44], v[32:33], v[13:14], v[43:44]
	v_add_co_u32_e32 v32, vcc, s12, v41
	v_addc_co_u32_e32 v33, vcc, v25, v42, vcc
	global_load_dwordx4 v[32:35], v[32:33], off
	s_waitcnt vmcnt(1)
	v_fma_f64 v[36:37], v[15:16], v[11:12], v[36:37]
	v_fma_f64 v[11:12], v[17:18], v[11:12], v[38:39]
	v_fma_f64 v[36:37], -v[17:18], v[13:14], v[36:37]
	v_fma_f64 v[38:39], v[15:16], v[13:14], v[11:12]
	v_lshlrev_b64 v[11:12], 4, v[22:23]
	v_add_u32_e32 v22, -2, v20
	v_lshlrev_b64 v[13:14], 4, v[22:23]
	v_add_co_u32_e32 v11, vcc, s14, v11
	v_addc_co_u32_e32 v12, vcc, v27, v12, vcc
	v_add_co_u32_e32 v15, vcc, s12, v13
	v_addc_co_u32_e32 v16, vcc, v25, v14, vcc
	global_load_dwordx4 v[11:14], v[11:12], off
	v_add_u32_e32 v22, -6, v20
	v_lshlrev_b64 v[41:42], 4, v[22:23]
	v_add_u32_e32 v22, 3, v40
	s_waitcnt vmcnt(0)
	v_fma_f64 v[17:18], v[32:33], v[11:12], v[45:46]
	v_fma_f64 v[43:44], v[34:35], v[11:12], v[43:44]
	v_fma_f64 v[45:46], -v[34:35], v[13:14], v[17:18]
	global_load_dwordx4 v[15:18], v[15:16], off
	v_fma_f64 v[43:44], v[32:33], v[13:14], v[43:44]
	v_add_co_u32_e32 v32, vcc, s12, v41
	v_addc_co_u32_e32 v33, vcc, v25, v42, vcc
	global_load_dwordx4 v[32:35], v[32:33], off
	s_waitcnt vmcnt(1)
	v_fma_f64 v[36:37], v[15:16], v[11:12], v[36:37]
	v_fma_f64 v[11:12], v[17:18], v[11:12], v[38:39]
	v_fma_f64 v[36:37], -v[17:18], v[13:14], v[36:37]
	v_fma_f64 v[38:39], v[15:16], v[13:14], v[11:12]
	v_lshlrev_b64 v[11:12], 4, v[22:23]
	v_add_u32_e32 v22, -1, v20
	v_add_co_u32_e32 v11, vcc, s14, v11
	v_addc_co_u32_e32 v12, vcc, v27, v12, vcc
	global_load_dwordx4 v[11:14], v[11:12], off
	v_lshlrev_b64 v[15:16], 4, v[22:23]
	v_add_u32_e32 v22, -5, v20
	v_add_co_u32_e32 v15, vcc, s12, v15
	v_addc_co_u32_e32 v16, vcc, v25, v16, vcc
	v_lshlrev_b64 v[41:42], 4, v[22:23]
	v_add_u32_e32 v22, 4, v40
	v_lshlrev_b64 v[21:22], 4, v[22:23]
	v_add_u32_e32 v20, 0x280, v20
	s_waitcnt vmcnt(0)
	v_fma_f64 v[17:18], v[32:33], v[11:12], v[45:46]
	v_fma_f64 v[43:44], v[34:35], v[11:12], v[43:44]
	v_fma_f64 v[45:46], -v[34:35], v[13:14], v[17:18]
	global_load_dwordx4 v[15:18], v[15:16], off
	v_fma_f64 v[43:44], v[32:33], v[13:14], v[43:44]
	v_add_co_u32_e32 v32, vcc, s12, v41
	v_addc_co_u32_e32 v33, vcc, v25, v42, vcc
	global_load_dwordx4 v[32:35], v[32:33], off
	v_add_co_u32_e32 v21, vcc, s14, v21
	v_addc_co_u32_e32 v22, vcc, v27, v22, vcc
	v_cmp_ge_i32_e32 vcc, v10, v26
	s_or_b64 s[0:1], vcc, s[0:1]
	s_waitcnt vmcnt(1)
	v_fma_f64 v[36:37], v[15:16], v[11:12], v[36:37]
	v_fma_f64 v[11:12], v[17:18], v[11:12], v[38:39]
	v_fma_f64 v[17:18], -v[17:18], v[13:14], v[36:37]
	v_fma_f64 v[36:37], v[15:16], v[13:14], v[11:12]
	global_load_dwordx4 v[12:15], v[21:22], off
	s_waitcnt vmcnt(0)
	v_fma_f64 v[21:22], v[32:33], v[12:13], v[45:46]
	v_fma_f64 v[38:39], v[34:35], v[12:13], v[43:44]
	;; [unrolled: 1-line block ×4, first 2 shown]
	v_fma_f64 v[18:19], -v[34:35], v[14:15], v[21:22]
	v_fma_f64 v[16:17], v[32:33], v[14:15], v[38:39]
	v_fma_f64 v[12:13], -v[30:31], v[14:15], v[40:41]
	v_fma_f64 v[14:15], v[28:29], v[14:15], v[36:37]
	s_andn2_b64 exec, exec, s[0:1]
	s_cbranch_execnz .LBB247_13
; %bb.14:
	s_or_b64 exec, exec, s[0:1]
.LBB247_15:
	s_or_b64 exec, exec, s[6:7]
.LBB247_16:
	v_mov_b32_dpp v10, v18 row_shr:1 row_mask:0xf bank_mask:0xf
	v_mov_b32_dpp v11, v19 row_shr:1 row_mask:0xf bank_mask:0xf
	v_add_f64 v[10:11], v[18:19], v[10:11]
	v_mov_b32_dpp v18, v16 row_shr:1 row_mask:0xf bank_mask:0xf
	v_mov_b32_dpp v19, v17 row_shr:1 row_mask:0xf bank_mask:0xf
	v_add_f64 v[16:17], v[16:17], v[18:19]
	;; [unrolled: 3-line block ×3, first 2 shown]
	v_cmp_eq_u32_e32 vcc, 63, v0
	v_mov_b32_dpp v18, v10 row_shr:2 row_mask:0xf bank_mask:0xf
	v_mov_b32_dpp v19, v11 row_shr:2 row_mask:0xf bank_mask:0xf
	v_add_f64 v[10:11], v[10:11], v[18:19]
	v_mov_b32_dpp v18, v12 row_shr:1 row_mask:0xf bank_mask:0xf
	v_mov_b32_dpp v19, v13 row_shr:1 row_mask:0xf bank_mask:0xf
	v_add_f64 v[12:13], v[12:13], v[18:19]
	v_mov_b32_dpp v18, v16 row_shr:2 row_mask:0xf bank_mask:0xf
	v_mov_b32_dpp v19, v10 row_shr:4 row_mask:0xf bank_mask:0xe
	v_mov_b32_dpp v20, v11 row_shr:4 row_mask:0xf bank_mask:0xe
	v_add_f64 v[10:11], v[10:11], v[19:20]
	v_mov_b32_dpp v19, v17 row_shr:2 row_mask:0xf bank_mask:0xf
	v_mov_b32_dpp v20, v12 row_shr:2 row_mask:0xf bank_mask:0xf
	v_mov_b32_dpp v21, v13 row_shr:2 row_mask:0xf bank_mask:0xf
	v_add_f64 v[16:17], v[16:17], v[18:19]
	v_mov_b32_dpp v18, v14 row_shr:2 row_mask:0xf bank_mask:0xf
	v_add_f64 v[12:13], v[12:13], v[20:21]
	v_mov_b32_dpp v19, v15 row_shr:2 row_mask:0xf bank_mask:0xf
	v_add_f64 v[14:15], v[14:15], v[18:19]
	v_mov_b32_dpp v20, v10 row_shr:8 row_mask:0xf bank_mask:0xc
	v_mov_b32_dpp v21, v11 row_shr:8 row_mask:0xf bank_mask:0xc
	v_add_f64 v[10:11], v[10:11], v[20:21]
	v_mov_b32_dpp v18, v16 row_shr:4 row_mask:0xf bank_mask:0xe
	v_mov_b32_dpp v19, v17 row_shr:4 row_mask:0xf bank_mask:0xe
	v_mov_b32_dpp v20, v12 row_shr:4 row_mask:0xf bank_mask:0xe
	v_add_f64 v[16:17], v[16:17], v[18:19]
	v_mov_b32_dpp v21, v13 row_shr:4 row_mask:0xf bank_mask:0xe
	v_add_f64 v[12:13], v[12:13], v[20:21]
	v_mov_b32_dpp v19, v14 row_shr:4 row_mask:0xf bank_mask:0xe
	v_mov_b32_dpp v20, v15 row_shr:4 row_mask:0xf bank_mask:0xe
	v_add_f64 v[14:15], v[14:15], v[19:20]
	v_mov_b32_dpp v18, v10 row_bcast:15 row_mask:0xa bank_mask:0xf
	v_mov_b32_dpp v19, v11 row_bcast:15 row_mask:0xa bank_mask:0xf
	v_mov_b32_dpp v20, v16 row_shr:8 row_mask:0xf bank_mask:0xc
	v_mov_b32_dpp v21, v17 row_shr:8 row_mask:0xf bank_mask:0xc
	v_add_f64 v[16:17], v[16:17], v[20:21]
	v_mov_b32_dpp v20, v12 row_shr:8 row_mask:0xf bank_mask:0xc
	v_mov_b32_dpp v21, v13 row_shr:8 row_mask:0xf bank_mask:0xc
	v_add_f64 v[20:21], v[12:13], v[20:21]
	;; [unrolled: 3-line block ×3, first 2 shown]
	v_add_f64 v[10:11], v[10:11], v[18:19]
	v_mov_b32_dpp v12, v16 row_bcast:15 row_mask:0xa bank_mask:0xf
	v_mov_b32_dpp v13, v17 row_bcast:15 row_mask:0xa bank_mask:0xf
	v_add_f64 v[12:13], v[16:17], v[12:13]
	v_mov_b32_dpp v16, v20 row_bcast:15 row_mask:0xa bank_mask:0xf
	v_mov_b32_dpp v17, v21 row_bcast:15 row_mask:0xa bank_mask:0xf
	;; [unrolled: 3-line block ×4, first 2 shown]
	v_mov_b32_dpp v16, v12 row_bcast:31 row_mask:0xc bank_mask:0xf
	v_mov_b32_dpp v17, v13 row_bcast:31 row_mask:0xc bank_mask:0xf
	;; [unrolled: 1-line block ×6, first 2 shown]
	s_and_b64 exec, exec, vcc
	s_cbranch_execz .LBB247_21
; %bb.17:
	v_cmp_eq_f64_e32 vcc, 0, v[5:6]
	v_cmp_eq_f64_e64 s[0:1], 0, v[7:8]
	v_add_f64 v[10:11], v[10:11], v[24:25]
	v_add_f64 v[16:17], v[12:13], v[16:17]
	;; [unrolled: 1-line block ×4, first 2 shown]
	s_load_dwordx2 s[2:3], s[4:5], 0x48
	s_and_b64 s[0:1], vcc, s[0:1]
	s_and_saveexec_b64 s[4:5], s[0:1]
	s_xor_b64 s[0:1], exec, s[4:5]
	s_cbranch_execz .LBB247_19
; %bb.18:
	v_mul_f64 v[5:6], v[16:17], -v[3:4]
	v_mul_f64 v[7:8], v[1:2], v[16:17]
	v_mul_f64 v[16:17], v[14:15], -v[3:4]
	v_mul_f64 v[14:15], v[1:2], v[14:15]
	v_lshlrev_b32_e32 v9, 1, v9
	s_waitcnt lgkmcnt(0)
	v_mov_b32_e32 v18, s3
	v_fma_f64 v[5:6], v[1:2], v[10:11], v[5:6]
	v_fma_f64 v[7:8], v[3:4], v[10:11], v[7:8]
	;; [unrolled: 1-line block ×4, first 2 shown]
	v_ashrrev_i32_e32 v10, 31, v9
	v_lshlrev_b64 v[9:10], 4, v[9:10]
                                        ; implicit-def: $vgpr16_vgpr17
                                        ; implicit-def: $vgpr12_vgpr13
                                        ; implicit-def: $vgpr14_vgpr15
	v_add_co_u32_e32 v9, vcc, s2, v9
	v_addc_co_u32_e32 v10, vcc, v18, v10, vcc
	global_store_dwordx4 v[9:10], v[5:8], off
	global_store_dwordx4 v[9:10], v[0:3], off offset:16
                                        ; implicit-def: $vgpr9
                                        ; implicit-def: $vgpr10_vgpr11
                                        ; implicit-def: $vgpr7_vgpr8
                                        ; implicit-def: $vgpr3_vgpr4
.LBB247_19:
	s_andn2_saveexec_b64 s[0:1], s[0:1]
	s_cbranch_execz .LBB247_21
; %bb.20:
	v_lshlrev_b32_e32 v18, 1, v9
	v_ashrrev_i32_e32 v19, 31, v18
	v_lshlrev_b64 v[18:19], 4, v[18:19]
	s_waitcnt lgkmcnt(0)
	v_mov_b32_e32 v0, s3
	v_add_co_u32_e32 v26, vcc, s2, v18
	v_addc_co_u32_e32 v27, vcc, v0, v19, vcc
	global_load_dwordx4 v[18:21], v[26:27], off
	global_load_dwordx4 v[22:25], v[26:27], off offset:16
	v_mul_f64 v[28:29], v[16:17], -v[3:4]
	v_mul_f64 v[16:17], v[1:2], v[16:17]
	v_mul_f64 v[30:31], v[14:15], -v[3:4]
	v_mul_f64 v[14:15], v[1:2], v[14:15]
	v_fma_f64 v[28:29], v[1:2], v[10:11], v[28:29]
	v_fma_f64 v[9:10], v[3:4], v[10:11], v[16:17]
	;; [unrolled: 1-line block ×4, first 2 shown]
	s_waitcnt vmcnt(1)
	v_fma_f64 v[11:12], v[5:6], v[18:19], v[28:29]
	v_fma_f64 v[9:10], v[7:8], v[18:19], v[9:10]
	s_waitcnt vmcnt(0)
	v_fma_f64 v[13:14], v[5:6], v[22:23], v[0:1]
	v_fma_f64 v[15:16], v[7:8], v[22:23], v[2:3]
	v_fma_f64 v[0:1], -v[7:8], v[20:21], v[11:12]
	v_fma_f64 v[2:3], v[5:6], v[20:21], v[9:10]
	v_fma_f64 v[7:8], -v[7:8], v[24:25], v[13:14]
	v_fma_f64 v[9:10], v[5:6], v[24:25], v[15:16]
	global_store_dwordx4 v[26:27], v[0:3], off
	global_store_dwordx4 v[26:27], v[7:10], off offset:16
.LBB247_21:
	s_endpgm
	.section	.rodata,"a",@progbits
	.p2align	6, 0x0
	.amdhsa_kernel _ZN9rocsparseL19gebsrmvn_2xn_kernelILj128ELj5ELj64E21rocsparse_complex_numIdEEEvi20rocsparse_direction_NS_24const_host_device_scalarIT2_EEPKiS8_PKS5_SA_S6_PS5_21rocsparse_index_base_b
		.amdhsa_group_segment_fixed_size 0
		.amdhsa_private_segment_fixed_size 0
		.amdhsa_kernarg_size 88
		.amdhsa_user_sgpr_count 6
		.amdhsa_user_sgpr_private_segment_buffer 1
		.amdhsa_user_sgpr_dispatch_ptr 0
		.amdhsa_user_sgpr_queue_ptr 0
		.amdhsa_user_sgpr_kernarg_segment_ptr 1
		.amdhsa_user_sgpr_dispatch_id 0
		.amdhsa_user_sgpr_flat_scratch_init 0
		.amdhsa_user_sgpr_private_segment_size 0
		.amdhsa_uses_dynamic_stack 0
		.amdhsa_system_sgpr_private_segment_wavefront_offset 0
		.amdhsa_system_sgpr_workgroup_id_x 1
		.amdhsa_system_sgpr_workgroup_id_y 0
		.amdhsa_system_sgpr_workgroup_id_z 0
		.amdhsa_system_sgpr_workgroup_info 0
		.amdhsa_system_vgpr_workitem_id 0
		.amdhsa_next_free_vgpr 59
		.amdhsa_next_free_sgpr 16
		.amdhsa_reserve_vcc 1
		.amdhsa_reserve_flat_scratch 0
		.amdhsa_float_round_mode_32 0
		.amdhsa_float_round_mode_16_64 0
		.amdhsa_float_denorm_mode_32 3
		.amdhsa_float_denorm_mode_16_64 3
		.amdhsa_dx10_clamp 1
		.amdhsa_ieee_mode 1
		.amdhsa_fp16_overflow 0
		.amdhsa_exception_fp_ieee_invalid_op 0
		.amdhsa_exception_fp_denorm_src 0
		.amdhsa_exception_fp_ieee_div_zero 0
		.amdhsa_exception_fp_ieee_overflow 0
		.amdhsa_exception_fp_ieee_underflow 0
		.amdhsa_exception_fp_ieee_inexact 0
		.amdhsa_exception_int_div_zero 0
	.end_amdhsa_kernel
	.section	.text._ZN9rocsparseL19gebsrmvn_2xn_kernelILj128ELj5ELj64E21rocsparse_complex_numIdEEEvi20rocsparse_direction_NS_24const_host_device_scalarIT2_EEPKiS8_PKS5_SA_S6_PS5_21rocsparse_index_base_b,"axG",@progbits,_ZN9rocsparseL19gebsrmvn_2xn_kernelILj128ELj5ELj64E21rocsparse_complex_numIdEEEvi20rocsparse_direction_NS_24const_host_device_scalarIT2_EEPKiS8_PKS5_SA_S6_PS5_21rocsparse_index_base_b,comdat
.Lfunc_end247:
	.size	_ZN9rocsparseL19gebsrmvn_2xn_kernelILj128ELj5ELj64E21rocsparse_complex_numIdEEEvi20rocsparse_direction_NS_24const_host_device_scalarIT2_EEPKiS8_PKS5_SA_S6_PS5_21rocsparse_index_base_b, .Lfunc_end247-_ZN9rocsparseL19gebsrmvn_2xn_kernelILj128ELj5ELj64E21rocsparse_complex_numIdEEEvi20rocsparse_direction_NS_24const_host_device_scalarIT2_EEPKiS8_PKS5_SA_S6_PS5_21rocsparse_index_base_b
                                        ; -- End function
	.set _ZN9rocsparseL19gebsrmvn_2xn_kernelILj128ELj5ELj64E21rocsparse_complex_numIdEEEvi20rocsparse_direction_NS_24const_host_device_scalarIT2_EEPKiS8_PKS5_SA_S6_PS5_21rocsparse_index_base_b.num_vgpr, 59
	.set _ZN9rocsparseL19gebsrmvn_2xn_kernelILj128ELj5ELj64E21rocsparse_complex_numIdEEEvi20rocsparse_direction_NS_24const_host_device_scalarIT2_EEPKiS8_PKS5_SA_S6_PS5_21rocsparse_index_base_b.num_agpr, 0
	.set _ZN9rocsparseL19gebsrmvn_2xn_kernelILj128ELj5ELj64E21rocsparse_complex_numIdEEEvi20rocsparse_direction_NS_24const_host_device_scalarIT2_EEPKiS8_PKS5_SA_S6_PS5_21rocsparse_index_base_b.numbered_sgpr, 16
	.set _ZN9rocsparseL19gebsrmvn_2xn_kernelILj128ELj5ELj64E21rocsparse_complex_numIdEEEvi20rocsparse_direction_NS_24const_host_device_scalarIT2_EEPKiS8_PKS5_SA_S6_PS5_21rocsparse_index_base_b.num_named_barrier, 0
	.set _ZN9rocsparseL19gebsrmvn_2xn_kernelILj128ELj5ELj64E21rocsparse_complex_numIdEEEvi20rocsparse_direction_NS_24const_host_device_scalarIT2_EEPKiS8_PKS5_SA_S6_PS5_21rocsparse_index_base_b.private_seg_size, 0
	.set _ZN9rocsparseL19gebsrmvn_2xn_kernelILj128ELj5ELj64E21rocsparse_complex_numIdEEEvi20rocsparse_direction_NS_24const_host_device_scalarIT2_EEPKiS8_PKS5_SA_S6_PS5_21rocsparse_index_base_b.uses_vcc, 1
	.set _ZN9rocsparseL19gebsrmvn_2xn_kernelILj128ELj5ELj64E21rocsparse_complex_numIdEEEvi20rocsparse_direction_NS_24const_host_device_scalarIT2_EEPKiS8_PKS5_SA_S6_PS5_21rocsparse_index_base_b.uses_flat_scratch, 0
	.set _ZN9rocsparseL19gebsrmvn_2xn_kernelILj128ELj5ELj64E21rocsparse_complex_numIdEEEvi20rocsparse_direction_NS_24const_host_device_scalarIT2_EEPKiS8_PKS5_SA_S6_PS5_21rocsparse_index_base_b.has_dyn_sized_stack, 0
	.set _ZN9rocsparseL19gebsrmvn_2xn_kernelILj128ELj5ELj64E21rocsparse_complex_numIdEEEvi20rocsparse_direction_NS_24const_host_device_scalarIT2_EEPKiS8_PKS5_SA_S6_PS5_21rocsparse_index_base_b.has_recursion, 0
	.set _ZN9rocsparseL19gebsrmvn_2xn_kernelILj128ELj5ELj64E21rocsparse_complex_numIdEEEvi20rocsparse_direction_NS_24const_host_device_scalarIT2_EEPKiS8_PKS5_SA_S6_PS5_21rocsparse_index_base_b.has_indirect_call, 0
	.section	.AMDGPU.csdata,"",@progbits
; Kernel info:
; codeLenInByte = 3020
; TotalNumSgprs: 20
; NumVgprs: 59
; ScratchSize: 0
; MemoryBound: 0
; FloatMode: 240
; IeeeMode: 1
; LDSByteSize: 0 bytes/workgroup (compile time only)
; SGPRBlocks: 2
; VGPRBlocks: 14
; NumSGPRsForWavesPerEU: 20
; NumVGPRsForWavesPerEU: 59
; Occupancy: 4
; WaveLimiterHint : 1
; COMPUTE_PGM_RSRC2:SCRATCH_EN: 0
; COMPUTE_PGM_RSRC2:USER_SGPR: 6
; COMPUTE_PGM_RSRC2:TRAP_HANDLER: 0
; COMPUTE_PGM_RSRC2:TGID_X_EN: 1
; COMPUTE_PGM_RSRC2:TGID_Y_EN: 0
; COMPUTE_PGM_RSRC2:TGID_Z_EN: 0
; COMPUTE_PGM_RSRC2:TIDIG_COMP_CNT: 0
	.section	.text._ZN9rocsparseL19gebsrmvn_2xn_kernelILj128ELj6ELj4E21rocsparse_complex_numIdEEEvi20rocsparse_direction_NS_24const_host_device_scalarIT2_EEPKiS8_PKS5_SA_S6_PS5_21rocsparse_index_base_b,"axG",@progbits,_ZN9rocsparseL19gebsrmvn_2xn_kernelILj128ELj6ELj4E21rocsparse_complex_numIdEEEvi20rocsparse_direction_NS_24const_host_device_scalarIT2_EEPKiS8_PKS5_SA_S6_PS5_21rocsparse_index_base_b,comdat
	.globl	_ZN9rocsparseL19gebsrmvn_2xn_kernelILj128ELj6ELj4E21rocsparse_complex_numIdEEEvi20rocsparse_direction_NS_24const_host_device_scalarIT2_EEPKiS8_PKS5_SA_S6_PS5_21rocsparse_index_base_b ; -- Begin function _ZN9rocsparseL19gebsrmvn_2xn_kernelILj128ELj6ELj4E21rocsparse_complex_numIdEEEvi20rocsparse_direction_NS_24const_host_device_scalarIT2_EEPKiS8_PKS5_SA_S6_PS5_21rocsparse_index_base_b
	.p2align	8
	.type	_ZN9rocsparseL19gebsrmvn_2xn_kernelILj128ELj6ELj4E21rocsparse_complex_numIdEEEvi20rocsparse_direction_NS_24const_host_device_scalarIT2_EEPKiS8_PKS5_SA_S6_PS5_21rocsparse_index_base_b,@function
_ZN9rocsparseL19gebsrmvn_2xn_kernelILj128ELj6ELj4E21rocsparse_complex_numIdEEEvi20rocsparse_direction_NS_24const_host_device_scalarIT2_EEPKiS8_PKS5_SA_S6_PS5_21rocsparse_index_base_b: ; @_ZN9rocsparseL19gebsrmvn_2xn_kernelILj128ELj6ELj4E21rocsparse_complex_numIdEEEvi20rocsparse_direction_NS_24const_host_device_scalarIT2_EEPKiS8_PKS5_SA_S6_PS5_21rocsparse_index_base_b
; %bb.0:
	s_load_dwordx2 s[0:1], s[4:5], 0x8
	s_load_dwordx2 s[2:3], s[4:5], 0x38
	;; [unrolled: 1-line block ×3, first 2 shown]
	s_add_u32 s7, s4, 8
	s_addc_u32 s8, s5, 0
	s_add_u32 s9, s4, 56
	s_addc_u32 s10, s5, 0
	s_waitcnt lgkmcnt(0)
	s_bitcmp1_b32 s17, 0
	s_cselect_b32 s1, s8, s1
	s_cselect_b32 s0, s7, s0
	v_mov_b32_e32 v1, s0
	v_mov_b32_e32 v2, s1
	flat_load_dwordx4 v[1:4], v[1:2]
	s_cselect_b32 s0, s10, s3
	s_cselect_b32 s1, s9, s2
	v_mov_b32_e32 v5, s1
	v_mov_b32_e32 v6, s0
	flat_load_dwordx4 v[5:8], v[5:6]
	s_waitcnt vmcnt(0) lgkmcnt(0)
	v_cmp_eq_f64_e32 vcc, 0, v[1:2]
	v_cmp_eq_f64_e64 s[0:1], 0, v[3:4]
	s_and_b64 s[8:9], vcc, s[0:1]
	s_mov_b64 s[0:1], -1
	s_and_saveexec_b64 s[2:3], s[8:9]
	s_cbranch_execz .LBB248_2
; %bb.1:
	v_cmp_neq_f64_e32 vcc, 1.0, v[5:6]
	v_cmp_neq_f64_e64 s[0:1], 0, v[7:8]
	s_or_b64 s[0:1], vcc, s[0:1]
	s_orn2_b64 s[0:1], s[0:1], exec
.LBB248_2:
	s_or_b64 exec, exec, s[2:3]
	s_and_saveexec_b64 s[2:3], s[0:1]
	s_cbranch_execz .LBB248_21
; %bb.3:
	s_load_dwordx2 s[0:1], s[4:5], 0x0
	v_lshrrev_b32_e32 v9, 2, v0
	v_lshl_or_b32 v9, s6, 5, v9
	s_waitcnt lgkmcnt(0)
	v_cmp_gt_i32_e32 vcc, s0, v9
	s_and_b64 exec, exec, vcc
	s_cbranch_execz .LBB248_21
; %bb.4:
	s_load_dwordx8 s[8:15], s[4:5], 0x18
	v_ashrrev_i32_e32 v10, 31, v9
	v_lshlrev_b64 v[10:11], 2, v[9:10]
	v_and_b32_e32 v0, 3, v0
	s_cmp_lg_u32 s1, 0
	s_waitcnt lgkmcnt(0)
	v_mov_b32_e32 v12, s9
	v_add_co_u32_e32 v10, vcc, s8, v10
	v_addc_co_u32_e32 v11, vcc, v12, v11, vcc
	global_load_dwordx2 v[10:11], v[10:11], off
	s_waitcnt vmcnt(0)
	v_subrev_u32_e32 v10, s16, v10
	v_subrev_u32_e32 v26, s16, v11
	v_add_u32_e32 v10, v10, v0
	v_cmp_lt_i32_e64 s[0:1], v10, v26
	s_cbranch_scc0 .LBB248_10
; %bb.5:
	v_mov_b32_e32 v12, 0
	v_mov_b32_e32 v18, 0
	;; [unrolled: 1-line block ×8, first 2 shown]
	s_and_saveexec_b64 s[8:9], s[0:1]
	s_cbranch_execz .LBB248_9
; %bb.6:
	v_mad_u64_u32 v[20:21], s[2:3], v10, 12, 10
	v_mov_b32_e32 v12, 0
	v_mov_b32_e32 v18, 0
	;; [unrolled: 1-line block ×5, first 2 shown]
	s_mov_b64 s[18:19], 0
	v_mov_b32_e32 v11, s11
	v_mov_b32_e32 v23, 0
	;; [unrolled: 1-line block ×8, first 2 shown]
.LBB248_7:                              ; =>This Inner Loop Header: Depth=1
	v_ashrrev_i32_e32 v25, 31, v24
	v_add_u32_e32 v22, -10, v20
	v_lshlrev_b64 v[29:30], 2, v[24:25]
	v_lshlrev_b64 v[31:32], 4, v[22:23]
	v_add_co_u32_e32 v35, vcc, s10, v29
	v_add_co_u32_e64 v39, s[2:3], s12, v31
	v_addc_co_u32_e32 v36, vcc, v11, v30, vcc
	v_addc_co_u32_e64 v40, vcc, v27, v32, s[2:3]
	global_load_dword v25, v[35:36], off
	global_load_dwordx4 v[29:32], v[39:40], off
	v_mov_b32_e32 v21, v23
	v_lshlrev_b64 v[33:34], 4, v[20:21]
	v_mov_b32_e32 v38, v23
	v_add_co_u32_e64 v41, s[6:7], s12, v33
	v_addc_co_u32_e64 v42, vcc, v27, v34, s[6:7]
	v_add_u32_e32 v22, -6, v20
	v_lshlrev_b64 v[21:22], 4, v[22:23]
	v_add_u32_e32 v24, 4, v24
	s_waitcnt vmcnt(1)
	v_subrev_u32_e32 v25, s16, v25
	v_mul_lo_u32 v37, v25, 6
	v_lshlrev_b64 v[33:34], 4, v[37:38]
	v_add_co_u32_e32 v43, vcc, s14, v33
	v_addc_co_u32_e32 v44, vcc, v28, v34, vcc
	global_load_dwordx4 v[33:36], v[43:44], off
	v_add_co_u32_e32 v21, vcc, s12, v21
	v_addc_co_u32_e32 v22, vcc, v27, v22, vcc
	s_waitcnt vmcnt(0)
	v_fma_f64 v[18:19], v[29:30], v[33:34], v[18:19]
	v_fma_f64 v[12:13], v[31:32], v[33:34], v[12:13]
	v_fma_f64 v[45:46], -v[31:32], v[35:36], v[18:19]
	v_fma_f64 v[47:48], v[29:30], v[35:36], v[12:13]
	global_load_dwordx4 v[29:32], v[39:40], off offset:16
	s_waitcnt vmcnt(0)
	v_fma_f64 v[12:13], v[29:30], v[33:34], v[16:17]
	v_fma_f64 v[14:15], v[31:32], v[33:34], v[14:15]
	v_fma_f64 v[33:34], -v[31:32], v[35:36], v[12:13]
	v_fma_f64 v[35:36], v[29:30], v[35:36], v[14:15]
	global_load_dwordx4 v[12:15], v[39:40], off offset:48
	global_load_dwordx4 v[16:19], v[39:40], off offset:32
	;; [unrolled: 1-line block ×3, first 2 shown]
	s_waitcnt vmcnt(0)
	v_fma_f64 v[38:39], v[16:17], v[29:30], v[45:46]
	v_fma_f64 v[43:44], v[18:19], v[29:30], v[47:48]
	;; [unrolled: 1-line block ×4, first 2 shown]
	v_fma_f64 v[38:39], -v[18:19], v[31:32], v[38:39]
	v_fma_f64 v[43:44], v[16:17], v[31:32], v[43:44]
	global_load_dwordx4 v[16:19], v[21:22], off offset:16
	v_fma_f64 v[33:34], -v[14:15], v[31:32], v[33:34]
	v_fma_f64 v[35:36], v[12:13], v[31:32], v[29:30]
	global_load_dwordx4 v[12:15], v[21:22], off
	v_add_u32_e32 v22, 2, v37
	v_lshlrev_b64 v[29:30], 4, v[22:23]
	v_add_u32_e32 v22, -4, v20
	v_add_co_u32_e32 v45, vcc, s14, v29
	v_addc_co_u32_e32 v46, vcc, v28, v30, vcc
	global_load_dwordx4 v[29:32], v[45:46], off
	v_lshlrev_b64 v[47:48], 4, v[22:23]
	v_add_u32_e32 v22, -2, v20
	v_lshlrev_b64 v[49:50], 4, v[22:23]
	v_add_u32_e32 v22, 4, v37
	v_add_co_u32_e32 v21, vcc, s12, v47
	v_lshlrev_b64 v[51:52], 4, v[22:23]
	v_addc_co_u32_e32 v22, vcc, v27, v48, vcc
	v_add_u32_e32 v20, 48, v20
	s_waitcnt vmcnt(0)
	v_fma_f64 v[38:39], v[12:13], v[29:30], v[38:39]
	v_fma_f64 v[43:44], v[14:15], v[29:30], v[43:44]
	v_fma_f64 v[38:39], -v[14:15], v[31:32], v[38:39]
	v_fma_f64 v[43:44], v[12:13], v[31:32], v[43:44]
	v_fma_f64 v[12:13], v[16:17], v[29:30], v[33:34]
	;; [unrolled: 1-line block ×3, first 2 shown]
	v_fma_f64 v[33:34], -v[18:19], v[31:32], v[12:13]
	v_fma_f64 v[35:36], v[16:17], v[31:32], v[14:15]
	global_load_dwordx4 v[12:15], v[45:46], off offset:16
	global_load_dwordx4 v[16:19], v[21:22], off
	global_load_dwordx4 v[29:32], v[21:22], off offset:16
	v_add_co_u32_e32 v45, vcc, s12, v49
	v_addc_co_u32_e32 v46, vcc, v27, v50, vcc
	s_waitcnt vmcnt(1)
	v_fma_f64 v[21:22], v[16:17], v[12:13], v[38:39]
	v_fma_f64 v[37:38], v[18:19], v[12:13], v[43:44]
	v_add_co_u32_e32 v39, vcc, s14, v51
	v_addc_co_u32_e32 v40, vcc, v28, v52, vcc
	v_cmp_ge_i32_e32 vcc, v24, v26
	s_or_b64 s[18:19], vcc, s[18:19]
	v_fma_f64 v[21:22], -v[18:19], v[14:15], v[21:22]
	v_fma_f64 v[37:38], v[16:17], v[14:15], v[37:38]
	s_waitcnt vmcnt(0)
	v_fma_f64 v[16:17], v[29:30], v[12:13], v[33:34]
	v_fma_f64 v[12:13], v[31:32], v[12:13], v[35:36]
	v_fma_f64 v[43:44], -v[31:32], v[14:15], v[16:17]
	v_fma_f64 v[47:48], v[29:30], v[14:15], v[12:13]
	global_load_dwordx4 v[12:15], v[45:46], off offset:16
	global_load_dwordx4 v[16:19], v[45:46], off
	global_load_dwordx4 v[29:32], v[39:40], off
	s_waitcnt vmcnt(0)
	v_fma_f64 v[21:22], v[16:17], v[29:30], v[21:22]
	v_fma_f64 v[33:34], v[18:19], v[29:30], v[37:38]
	v_fma_f64 v[21:22], -v[18:19], v[31:32], v[21:22]
	v_fma_f64 v[37:38], v[16:17], v[31:32], v[33:34]
	global_load_dwordx4 v[16:19], v[41:42], off
	global_load_dwordx4 v[33:36], v[41:42], off offset:16
	v_fma_f64 v[41:42], v[12:13], v[29:30], v[43:44]
	v_fma_f64 v[29:30], v[14:15], v[29:30], v[47:48]
	v_fma_f64 v[41:42], -v[14:15], v[31:32], v[41:42]
	v_fma_f64 v[29:30], v[12:13], v[31:32], v[29:30]
	global_load_dwordx4 v[12:15], v[39:40], off offset:16
	s_waitcnt vmcnt(0)
	v_fma_f64 v[21:22], v[16:17], v[12:13], v[21:22]
	v_fma_f64 v[31:32], v[18:19], v[12:13], v[37:38]
	v_fma_f64 v[37:38], v[33:34], v[12:13], v[41:42]
	v_fma_f64 v[29:30], v[35:36], v[12:13], v[29:30]
	v_fma_f64 v[18:19], -v[18:19], v[14:15], v[21:22]
	v_fma_f64 v[12:13], v[16:17], v[14:15], v[31:32]
	v_fma_f64 v[16:17], -v[35:36], v[14:15], v[37:38]
	v_fma_f64 v[14:15], v[33:34], v[14:15], v[29:30]
	s_andn2_b64 exec, exec, s[18:19]
	s_cbranch_execnz .LBB248_7
; %bb.8:
	s_or_b64 exec, exec, s[18:19]
.LBB248_9:
	s_or_b64 exec, exec, s[8:9]
	s_cbranch_execz .LBB248_11
	s_branch .LBB248_16
.LBB248_10:
                                        ; implicit-def: $vgpr12_vgpr13
                                        ; implicit-def: $vgpr18_vgpr19
                                        ; implicit-def: $vgpr16_vgpr17
                                        ; implicit-def: $vgpr14_vgpr15
.LBB248_11:
	v_mov_b32_e32 v12, 0
	v_mov_b32_e32 v18, 0
	;; [unrolled: 1-line block ×8, first 2 shown]
	s_and_saveexec_b64 s[2:3], s[0:1]
	s_cbranch_execz .LBB248_15
; %bb.12:
	v_mad_u64_u32 v[20:21], s[0:1], v10, 12, 11
	v_mov_b32_e32 v12, 0
	v_mov_b32_e32 v18, 0
	v_mov_b32_e32 v16, 0
	v_mov_b32_e32 v14, 0
	v_mov_b32_e32 v13, 0
	s_mov_b64 s[0:1], 0
	v_mov_b32_e32 v24, s11
	v_mov_b32_e32 v23, 0
	;; [unrolled: 1-line block ×7, first 2 shown]
.LBB248_13:                             ; =>This Inner Loop Header: Depth=1
	v_ashrrev_i32_e32 v11, 31, v10
	v_lshlrev_b64 v[30:31], 2, v[10:11]
	v_add_u32_e32 v22, -11, v20
	v_lshlrev_b64 v[32:33], 4, v[22:23]
	v_add_co_u32_e32 v36, vcc, s10, v30
	v_add_u32_e32 v28, -5, v20
	v_mov_b32_e32 v29, v23
	v_addc_co_u32_e32 v37, vcc, v24, v31, vcc
	v_lshlrev_b64 v[28:29], 4, v[28:29]
	v_add_co_u32_e32 v50, vcc, s12, v32
	v_mov_b32_e32 v21, v23
	v_addc_co_u32_e32 v51, vcc, v25, v33, vcc
	v_lshlrev_b64 v[34:35], 4, v[20:21]
	v_add_co_u32_e32 v44, vcc, s12, v28
	v_addc_co_u32_e32 v45, vcc, v25, v29, vcc
	v_add_co_u32_e32 v52, vcc, s12, v34
	v_addc_co_u32_e32 v53, vcc, v25, v35, vcc
	global_load_dword v11, v[36:37], off
	global_load_dwordx4 v[28:31], v[50:51], off
	global_load_dwordx4 v[32:35], v[50:51], off offset:16
	v_mov_b32_e32 v49, v23
	v_add_u32_e32 v22, -4, v20
	v_lshlrev_b64 v[21:22], 4, v[22:23]
	v_add_u32_e32 v10, 4, v10
	s_waitcnt vmcnt(2)
	v_subrev_u32_e32 v11, s16, v11
	v_mul_lo_u32 v48, v11, 6
	v_lshlrev_b64 v[36:37], 4, v[48:49]
	v_add_co_u32_e32 v46, vcc, s14, v36
	v_addc_co_u32_e32 v47, vcc, v27, v37, vcc
	global_load_dwordx4 v[36:39], v[46:47], off
	global_load_dwordx4 v[40:43], v[46:47], off offset:16
	s_waitcnt vmcnt(1)
	v_fma_f64 v[18:19], v[28:29], v[36:37], v[18:19]
	v_fma_f64 v[11:12], v[30:31], v[36:37], v[12:13]
	v_fma_f64 v[54:55], -v[30:31], v[38:39], v[18:19]
	v_fma_f64 v[56:57], v[28:29], v[38:39], v[11:12]
	global_load_dwordx4 v[28:31], v[44:45], off
	v_add_co_u32_e32 v11, vcc, s12, v21
	v_addc_co_u32_e32 v12, vcc, v25, v22, vcc
	global_load_dwordx4 v[44:47], v[11:12], off
	v_add_u32_e32 v22, 2, v48
	s_waitcnt vmcnt(1)
	v_fma_f64 v[11:12], v[28:29], v[36:37], v[16:17]
	v_fma_f64 v[13:14], v[30:31], v[36:37], v[14:15]
	v_fma_f64 v[36:37], -v[30:31], v[38:39], v[11:12]
	v_fma_f64 v[38:39], v[28:29], v[38:39], v[13:14]
	global_load_dwordx4 v[11:14], v[50:51], off offset:32
	global_load_dwordx4 v[15:18], v[50:51], off offset:48
	global_load_dwordx4 v[28:31], v[52:53], off
	v_fma_f64 v[51:52], v[34:35], v[40:41], v[56:57]
	v_fma_f64 v[49:50], v[32:33], v[40:41], v[54:55]
	;; [unrolled: 1-line block ×3, first 2 shown]
	v_lshlrev_b64 v[32:33], 4, v[22:23]
	v_fma_f64 v[49:50], -v[34:35], v[42:43], v[49:50]
	v_add_co_u32_e32 v53, vcc, s14, v32
	v_addc_co_u32_e32 v54, vcc, v27, v33, vcc
	s_waitcnt vmcnt(3)
	v_fma_f64 v[32:33], v[44:45], v[40:41], v[36:37]
	v_fma_f64 v[34:35], v[46:47], v[40:41], v[38:39]
	v_add_u32_e32 v22, -3, v20
	v_lshlrev_b64 v[55:56], 4, v[22:23]
	v_add_u32_e32 v22, -2, v20
	v_lshlrev_b64 v[40:41], 4, v[22:23]
	v_add_u32_e32 v22, -7, v20
	global_load_dwordx4 v[36:39], v[53:54], off offset:16
	v_fma_f64 v[46:47], -v[46:47], v[42:43], v[32:33]
	v_fma_f64 v[44:45], v[44:45], v[42:43], v[34:35]
	global_load_dwordx4 v[32:35], v[53:54], off
	v_add_co_u32_e32 v42, vcc, s12, v55
	v_addc_co_u32_e32 v43, vcc, v25, v56, vcc
	v_lshlrev_b64 v[55:56], 4, v[22:23]
	v_add_u32_e32 v22, 4, v48
	v_add_co_u32_e32 v40, vcc, s12, v40
	v_addc_co_u32_e32 v41, vcc, v25, v41, vcc
	s_waitcnt vmcnt(0)
	v_fma_f64 v[48:49], v[11:12], v[32:33], v[49:50]
	v_fma_f64 v[50:51], v[13:14], v[32:33], v[51:52]
	v_fma_f64 v[48:49], -v[13:14], v[34:35], v[48:49]
	v_fma_f64 v[50:51], v[11:12], v[34:35], v[50:51]
	global_load_dwordx4 v[11:14], v[42:43], off
	s_waitcnt vmcnt(0)
	v_fma_f64 v[46:47], v[11:12], v[32:33], v[46:47]
	global_load_dwordx4 v[40:43], v[40:41], off
	v_fma_f64 v[32:33], v[13:14], v[32:33], v[44:45]
	v_fma_f64 v[44:45], -v[13:14], v[34:35], v[46:47]
	v_add_co_u32_e32 v13, vcc, s12, v55
	v_fma_f64 v[46:47], v[11:12], v[34:35], v[32:33]
	v_fma_f64 v[34:35], v[15:16], v[36:37], v[48:49]
	;; [unrolled: 1-line block ×3, first 2 shown]
	v_lshlrev_b64 v[11:12], 4, v[22:23]
	v_add_u32_e32 v22, -1, v20
	v_addc_co_u32_e32 v14, vcc, v25, v56, vcc
	v_lshlrev_b64 v[32:33], 4, v[22:23]
	v_add_co_u32_e32 v52, vcc, s14, v11
	v_addc_co_u32_e32 v53, vcc, v27, v12, vcc
	v_add_co_u32_e32 v32, vcc, s12, v32
	v_addc_co_u32_e32 v33, vcc, v25, v33, vcc
	global_load_dwordx4 v[11:14], v[13:14], off
	v_fma_f64 v[50:51], -v[17:18], v[38:39], v[34:35]
	v_fma_f64 v[48:49], v[15:16], v[38:39], v[48:49]
	global_load_dwordx4 v[15:18], v[52:53], off
	v_add_u32_e32 v22, -6, v20
	global_load_dwordx4 v[32:35], v[32:33], off
	v_lshlrev_b64 v[21:22], 4, v[22:23]
	v_add_u32_e32 v20, 48, v20
	v_add_co_u32_e32 v21, vcc, s12, v21
	v_addc_co_u32_e32 v22, vcc, v25, v22, vcc
	v_cmp_ge_i32_e32 vcc, v10, v26
	s_or_b64 s[0:1], vcc, s[0:1]
	s_waitcnt vmcnt(3)
	v_fma_f64 v[44:45], v[40:41], v[36:37], v[44:45]
	v_fma_f64 v[36:37], v[42:43], v[36:37], v[46:47]
	v_fma_f64 v[44:45], -v[42:43], v[38:39], v[44:45]
	v_fma_f64 v[46:47], v[40:41], v[38:39], v[36:37]
	global_load_dwordx4 v[36:39], v[52:53], off offset:16
	global_load_dwordx4 v[40:43], v[21:22], off
	s_waitcnt vmcnt(3)
	v_fma_f64 v[21:22], v[11:12], v[15:16], v[50:51]
	v_fma_f64 v[48:49], v[13:14], v[15:16], v[48:49]
	s_waitcnt vmcnt(2)
	v_fma_f64 v[44:45], v[32:33], v[15:16], v[44:45]
	v_fma_f64 v[15:16], v[34:35], v[15:16], v[46:47]
	v_fma_f64 v[13:14], -v[13:14], v[17:18], v[21:22]
	v_fma_f64 v[11:12], v[11:12], v[17:18], v[48:49]
	v_fma_f64 v[21:22], -v[34:35], v[17:18], v[44:45]
	v_fma_f64 v[15:16], v[32:33], v[17:18], v[15:16]
	s_waitcnt vmcnt(1)
	v_fma_f64 v[21:22], v[28:29], v[36:37], v[21:22]
	s_waitcnt vmcnt(0)
	v_fma_f64 v[13:14], v[40:41], v[36:37], v[13:14]
	v_fma_f64 v[11:12], v[42:43], v[36:37], v[11:12]
	;; [unrolled: 1-line block ×3, first 2 shown]
	v_fma_f64 v[16:17], -v[30:31], v[38:39], v[21:22]
	v_fma_f64 v[18:19], -v[42:43], v[38:39], v[13:14]
	v_fma_f64 v[12:13], v[40:41], v[38:39], v[11:12]
	v_fma_f64 v[14:15], v[28:29], v[38:39], v[32:33]
	s_andn2_b64 exec, exec, s[0:1]
	s_cbranch_execnz .LBB248_13
; %bb.14:
	s_or_b64 exec, exec, s[0:1]
.LBB248_15:
	s_or_b64 exec, exec, s[2:3]
.LBB248_16:
	v_mov_b32_dpp v10, v18 row_shr:1 row_mask:0xf bank_mask:0xf
	v_mov_b32_dpp v11, v19 row_shr:1 row_mask:0xf bank_mask:0xf
	v_add_f64 v[10:11], v[18:19], v[10:11]
	v_mov_b32_dpp v18, v12 row_shr:1 row_mask:0xf bank_mask:0xf
	v_mov_b32_dpp v19, v13 row_shr:1 row_mask:0xf bank_mask:0xf
	v_add_f64 v[12:13], v[12:13], v[18:19]
	;; [unrolled: 3-line block ×4, first 2 shown]
	v_mov_b32_dpp v24, v10 row_shr:2 row_mask:0xf bank_mask:0xf
	v_mov_b32_dpp v25, v11 row_shr:2 row_mask:0xf bank_mask:0xf
	;; [unrolled: 1-line block ×6, first 2 shown]
	v_cmp_eq_u32_e32 vcc, 3, v0
	v_mov_b32_dpp v20, v14 row_shr:2 row_mask:0xf bank_mask:0xf
	v_mov_b32_dpp v21, v15 row_shr:2 row_mask:0xf bank_mask:0xf
	s_and_b64 exec, exec, vcc
	s_cbranch_execz .LBB248_21
; %bb.17:
	v_cmp_eq_f64_e32 vcc, 0, v[5:6]
	v_cmp_eq_f64_e64 s[0:1], 0, v[7:8]
	v_add_f64 v[10:11], v[10:11], v[24:25]
	v_add_f64 v[16:17], v[12:13], v[16:17]
	;; [unrolled: 1-line block ×4, first 2 shown]
	s_load_dwordx2 s[2:3], s[4:5], 0x48
	s_and_b64 s[0:1], vcc, s[0:1]
	s_and_saveexec_b64 s[4:5], s[0:1]
	s_xor_b64 s[0:1], exec, s[4:5]
	s_cbranch_execz .LBB248_19
; %bb.18:
	v_mul_f64 v[5:6], v[16:17], -v[3:4]
	v_mul_f64 v[7:8], v[1:2], v[16:17]
	v_mul_f64 v[16:17], v[14:15], -v[3:4]
	v_mul_f64 v[14:15], v[1:2], v[14:15]
	v_lshlrev_b32_e32 v9, 1, v9
	s_waitcnt lgkmcnt(0)
	v_mov_b32_e32 v18, s3
	v_fma_f64 v[5:6], v[1:2], v[10:11], v[5:6]
	v_fma_f64 v[7:8], v[3:4], v[10:11], v[7:8]
	;; [unrolled: 1-line block ×4, first 2 shown]
	v_ashrrev_i32_e32 v10, 31, v9
	v_lshlrev_b64 v[9:10], 4, v[9:10]
                                        ; implicit-def: $vgpr16_vgpr17
                                        ; implicit-def: $vgpr12_vgpr13
                                        ; implicit-def: $vgpr14_vgpr15
	v_add_co_u32_e32 v9, vcc, s2, v9
	v_addc_co_u32_e32 v10, vcc, v18, v10, vcc
	global_store_dwordx4 v[9:10], v[5:8], off
	global_store_dwordx4 v[9:10], v[0:3], off offset:16
                                        ; implicit-def: $vgpr9
                                        ; implicit-def: $vgpr10_vgpr11
                                        ; implicit-def: $vgpr7_vgpr8
                                        ; implicit-def: $vgpr3_vgpr4
.LBB248_19:
	s_andn2_saveexec_b64 s[0:1], s[0:1]
	s_cbranch_execz .LBB248_21
; %bb.20:
	v_lshlrev_b32_e32 v18, 1, v9
	v_ashrrev_i32_e32 v19, 31, v18
	v_lshlrev_b64 v[18:19], 4, v[18:19]
	s_waitcnt lgkmcnt(0)
	v_mov_b32_e32 v0, s3
	v_add_co_u32_e32 v26, vcc, s2, v18
	v_addc_co_u32_e32 v27, vcc, v0, v19, vcc
	global_load_dwordx4 v[18:21], v[26:27], off
	global_load_dwordx4 v[22:25], v[26:27], off offset:16
	v_mul_f64 v[28:29], v[16:17], -v[3:4]
	v_mul_f64 v[16:17], v[1:2], v[16:17]
	v_mul_f64 v[30:31], v[14:15], -v[3:4]
	v_mul_f64 v[14:15], v[1:2], v[14:15]
	v_fma_f64 v[28:29], v[1:2], v[10:11], v[28:29]
	v_fma_f64 v[9:10], v[3:4], v[10:11], v[16:17]
	;; [unrolled: 1-line block ×4, first 2 shown]
	s_waitcnt vmcnt(1)
	v_fma_f64 v[11:12], v[5:6], v[18:19], v[28:29]
	v_fma_f64 v[9:10], v[7:8], v[18:19], v[9:10]
	s_waitcnt vmcnt(0)
	v_fma_f64 v[13:14], v[5:6], v[22:23], v[0:1]
	v_fma_f64 v[15:16], v[7:8], v[22:23], v[2:3]
	v_fma_f64 v[0:1], -v[7:8], v[20:21], v[11:12]
	v_fma_f64 v[2:3], v[5:6], v[20:21], v[9:10]
	v_fma_f64 v[7:8], -v[7:8], v[24:25], v[13:14]
	v_fma_f64 v[9:10], v[5:6], v[24:25], v[15:16]
	global_store_dwordx4 v[26:27], v[0:3], off
	global_store_dwordx4 v[26:27], v[7:10], off offset:16
.LBB248_21:
	s_endpgm
	.section	.rodata,"a",@progbits
	.p2align	6, 0x0
	.amdhsa_kernel _ZN9rocsparseL19gebsrmvn_2xn_kernelILj128ELj6ELj4E21rocsparse_complex_numIdEEEvi20rocsparse_direction_NS_24const_host_device_scalarIT2_EEPKiS8_PKS5_SA_S6_PS5_21rocsparse_index_base_b
		.amdhsa_group_segment_fixed_size 0
		.amdhsa_private_segment_fixed_size 0
		.amdhsa_kernarg_size 88
		.amdhsa_user_sgpr_count 6
		.amdhsa_user_sgpr_private_segment_buffer 1
		.amdhsa_user_sgpr_dispatch_ptr 0
		.amdhsa_user_sgpr_queue_ptr 0
		.amdhsa_user_sgpr_kernarg_segment_ptr 1
		.amdhsa_user_sgpr_dispatch_id 0
		.amdhsa_user_sgpr_flat_scratch_init 0
		.amdhsa_user_sgpr_private_segment_size 0
		.amdhsa_uses_dynamic_stack 0
		.amdhsa_system_sgpr_private_segment_wavefront_offset 0
		.amdhsa_system_sgpr_workgroup_id_x 1
		.amdhsa_system_sgpr_workgroup_id_y 0
		.amdhsa_system_sgpr_workgroup_id_z 0
		.amdhsa_system_sgpr_workgroup_info 0
		.amdhsa_system_vgpr_workitem_id 0
		.amdhsa_next_free_vgpr 58
		.amdhsa_next_free_sgpr 20
		.amdhsa_reserve_vcc 1
		.amdhsa_reserve_flat_scratch 0
		.amdhsa_float_round_mode_32 0
		.amdhsa_float_round_mode_16_64 0
		.amdhsa_float_denorm_mode_32 3
		.amdhsa_float_denorm_mode_16_64 3
		.amdhsa_dx10_clamp 1
		.amdhsa_ieee_mode 1
		.amdhsa_fp16_overflow 0
		.amdhsa_exception_fp_ieee_invalid_op 0
		.amdhsa_exception_fp_denorm_src 0
		.amdhsa_exception_fp_ieee_div_zero 0
		.amdhsa_exception_fp_ieee_overflow 0
		.amdhsa_exception_fp_ieee_underflow 0
		.amdhsa_exception_fp_ieee_inexact 0
		.amdhsa_exception_int_div_zero 0
	.end_amdhsa_kernel
	.section	.text._ZN9rocsparseL19gebsrmvn_2xn_kernelILj128ELj6ELj4E21rocsparse_complex_numIdEEEvi20rocsparse_direction_NS_24const_host_device_scalarIT2_EEPKiS8_PKS5_SA_S6_PS5_21rocsparse_index_base_b,"axG",@progbits,_ZN9rocsparseL19gebsrmvn_2xn_kernelILj128ELj6ELj4E21rocsparse_complex_numIdEEEvi20rocsparse_direction_NS_24const_host_device_scalarIT2_EEPKiS8_PKS5_SA_S6_PS5_21rocsparse_index_base_b,comdat
.Lfunc_end248:
	.size	_ZN9rocsparseL19gebsrmvn_2xn_kernelILj128ELj6ELj4E21rocsparse_complex_numIdEEEvi20rocsparse_direction_NS_24const_host_device_scalarIT2_EEPKiS8_PKS5_SA_S6_PS5_21rocsparse_index_base_b, .Lfunc_end248-_ZN9rocsparseL19gebsrmvn_2xn_kernelILj128ELj6ELj4E21rocsparse_complex_numIdEEEvi20rocsparse_direction_NS_24const_host_device_scalarIT2_EEPKiS8_PKS5_SA_S6_PS5_21rocsparse_index_base_b
                                        ; -- End function
	.set _ZN9rocsparseL19gebsrmvn_2xn_kernelILj128ELj6ELj4E21rocsparse_complex_numIdEEEvi20rocsparse_direction_NS_24const_host_device_scalarIT2_EEPKiS8_PKS5_SA_S6_PS5_21rocsparse_index_base_b.num_vgpr, 58
	.set _ZN9rocsparseL19gebsrmvn_2xn_kernelILj128ELj6ELj4E21rocsparse_complex_numIdEEEvi20rocsparse_direction_NS_24const_host_device_scalarIT2_EEPKiS8_PKS5_SA_S6_PS5_21rocsparse_index_base_b.num_agpr, 0
	.set _ZN9rocsparseL19gebsrmvn_2xn_kernelILj128ELj6ELj4E21rocsparse_complex_numIdEEEvi20rocsparse_direction_NS_24const_host_device_scalarIT2_EEPKiS8_PKS5_SA_S6_PS5_21rocsparse_index_base_b.numbered_sgpr, 20
	.set _ZN9rocsparseL19gebsrmvn_2xn_kernelILj128ELj6ELj4E21rocsparse_complex_numIdEEEvi20rocsparse_direction_NS_24const_host_device_scalarIT2_EEPKiS8_PKS5_SA_S6_PS5_21rocsparse_index_base_b.num_named_barrier, 0
	.set _ZN9rocsparseL19gebsrmvn_2xn_kernelILj128ELj6ELj4E21rocsparse_complex_numIdEEEvi20rocsparse_direction_NS_24const_host_device_scalarIT2_EEPKiS8_PKS5_SA_S6_PS5_21rocsparse_index_base_b.private_seg_size, 0
	.set _ZN9rocsparseL19gebsrmvn_2xn_kernelILj128ELj6ELj4E21rocsparse_complex_numIdEEEvi20rocsparse_direction_NS_24const_host_device_scalarIT2_EEPKiS8_PKS5_SA_S6_PS5_21rocsparse_index_base_b.uses_vcc, 1
	.set _ZN9rocsparseL19gebsrmvn_2xn_kernelILj128ELj6ELj4E21rocsparse_complex_numIdEEEvi20rocsparse_direction_NS_24const_host_device_scalarIT2_EEPKiS8_PKS5_SA_S6_PS5_21rocsparse_index_base_b.uses_flat_scratch, 0
	.set _ZN9rocsparseL19gebsrmvn_2xn_kernelILj128ELj6ELj4E21rocsparse_complex_numIdEEEvi20rocsparse_direction_NS_24const_host_device_scalarIT2_EEPKiS8_PKS5_SA_S6_PS5_21rocsparse_index_base_b.has_dyn_sized_stack, 0
	.set _ZN9rocsparseL19gebsrmvn_2xn_kernelILj128ELj6ELj4E21rocsparse_complex_numIdEEEvi20rocsparse_direction_NS_24const_host_device_scalarIT2_EEPKiS8_PKS5_SA_S6_PS5_21rocsparse_index_base_b.has_recursion, 0
	.set _ZN9rocsparseL19gebsrmvn_2xn_kernelILj128ELj6ELj4E21rocsparse_complex_numIdEEEvi20rocsparse_direction_NS_24const_host_device_scalarIT2_EEPKiS8_PKS5_SA_S6_PS5_21rocsparse_index_base_b.has_indirect_call, 0
	.section	.AMDGPU.csdata,"",@progbits
; Kernel info:
; codeLenInByte = 2752
; TotalNumSgprs: 24
; NumVgprs: 58
; ScratchSize: 0
; MemoryBound: 0
; FloatMode: 240
; IeeeMode: 1
; LDSByteSize: 0 bytes/workgroup (compile time only)
; SGPRBlocks: 2
; VGPRBlocks: 14
; NumSGPRsForWavesPerEU: 24
; NumVGPRsForWavesPerEU: 58
; Occupancy: 4
; WaveLimiterHint : 1
; COMPUTE_PGM_RSRC2:SCRATCH_EN: 0
; COMPUTE_PGM_RSRC2:USER_SGPR: 6
; COMPUTE_PGM_RSRC2:TRAP_HANDLER: 0
; COMPUTE_PGM_RSRC2:TGID_X_EN: 1
; COMPUTE_PGM_RSRC2:TGID_Y_EN: 0
; COMPUTE_PGM_RSRC2:TGID_Z_EN: 0
; COMPUTE_PGM_RSRC2:TIDIG_COMP_CNT: 0
	.section	.text._ZN9rocsparseL19gebsrmvn_2xn_kernelILj128ELj6ELj8E21rocsparse_complex_numIdEEEvi20rocsparse_direction_NS_24const_host_device_scalarIT2_EEPKiS8_PKS5_SA_S6_PS5_21rocsparse_index_base_b,"axG",@progbits,_ZN9rocsparseL19gebsrmvn_2xn_kernelILj128ELj6ELj8E21rocsparse_complex_numIdEEEvi20rocsparse_direction_NS_24const_host_device_scalarIT2_EEPKiS8_PKS5_SA_S6_PS5_21rocsparse_index_base_b,comdat
	.globl	_ZN9rocsparseL19gebsrmvn_2xn_kernelILj128ELj6ELj8E21rocsparse_complex_numIdEEEvi20rocsparse_direction_NS_24const_host_device_scalarIT2_EEPKiS8_PKS5_SA_S6_PS5_21rocsparse_index_base_b ; -- Begin function _ZN9rocsparseL19gebsrmvn_2xn_kernelILj128ELj6ELj8E21rocsparse_complex_numIdEEEvi20rocsparse_direction_NS_24const_host_device_scalarIT2_EEPKiS8_PKS5_SA_S6_PS5_21rocsparse_index_base_b
	.p2align	8
	.type	_ZN9rocsparseL19gebsrmvn_2xn_kernelILj128ELj6ELj8E21rocsparse_complex_numIdEEEvi20rocsparse_direction_NS_24const_host_device_scalarIT2_EEPKiS8_PKS5_SA_S6_PS5_21rocsparse_index_base_b,@function
_ZN9rocsparseL19gebsrmvn_2xn_kernelILj128ELj6ELj8E21rocsparse_complex_numIdEEEvi20rocsparse_direction_NS_24const_host_device_scalarIT2_EEPKiS8_PKS5_SA_S6_PS5_21rocsparse_index_base_b: ; @_ZN9rocsparseL19gebsrmvn_2xn_kernelILj128ELj6ELj8E21rocsparse_complex_numIdEEEvi20rocsparse_direction_NS_24const_host_device_scalarIT2_EEPKiS8_PKS5_SA_S6_PS5_21rocsparse_index_base_b
; %bb.0:
	s_load_dwordx2 s[0:1], s[4:5], 0x8
	s_load_dwordx2 s[2:3], s[4:5], 0x38
	;; [unrolled: 1-line block ×3, first 2 shown]
	s_add_u32 s7, s4, 8
	s_addc_u32 s8, s5, 0
	s_add_u32 s9, s4, 56
	s_addc_u32 s10, s5, 0
	s_waitcnt lgkmcnt(0)
	s_bitcmp1_b32 s17, 0
	s_cselect_b32 s1, s8, s1
	s_cselect_b32 s0, s7, s0
	v_mov_b32_e32 v1, s0
	v_mov_b32_e32 v2, s1
	flat_load_dwordx4 v[1:4], v[1:2]
	s_cselect_b32 s0, s10, s3
	s_cselect_b32 s1, s9, s2
	v_mov_b32_e32 v5, s1
	v_mov_b32_e32 v6, s0
	flat_load_dwordx4 v[5:8], v[5:6]
	s_waitcnt vmcnt(0) lgkmcnt(0)
	v_cmp_eq_f64_e32 vcc, 0, v[1:2]
	v_cmp_eq_f64_e64 s[0:1], 0, v[3:4]
	s_and_b64 s[8:9], vcc, s[0:1]
	s_mov_b64 s[0:1], -1
	s_and_saveexec_b64 s[2:3], s[8:9]
	s_cbranch_execz .LBB249_2
; %bb.1:
	v_cmp_neq_f64_e32 vcc, 1.0, v[5:6]
	v_cmp_neq_f64_e64 s[0:1], 0, v[7:8]
	s_or_b64 s[0:1], vcc, s[0:1]
	s_orn2_b64 s[0:1], s[0:1], exec
.LBB249_2:
	s_or_b64 exec, exec, s[2:3]
	s_and_saveexec_b64 s[2:3], s[0:1]
	s_cbranch_execz .LBB249_21
; %bb.3:
	s_load_dwordx2 s[0:1], s[4:5], 0x0
	v_lshrrev_b32_e32 v9, 3, v0
	v_lshl_or_b32 v9, s6, 4, v9
	s_waitcnt lgkmcnt(0)
	v_cmp_gt_i32_e32 vcc, s0, v9
	s_and_b64 exec, exec, vcc
	s_cbranch_execz .LBB249_21
; %bb.4:
	s_load_dwordx8 s[8:15], s[4:5], 0x18
	v_ashrrev_i32_e32 v10, 31, v9
	v_lshlrev_b64 v[10:11], 2, v[9:10]
	v_and_b32_e32 v0, 7, v0
	s_cmp_lg_u32 s1, 0
	s_waitcnt lgkmcnt(0)
	v_mov_b32_e32 v12, s9
	v_add_co_u32_e32 v10, vcc, s8, v10
	v_addc_co_u32_e32 v11, vcc, v12, v11, vcc
	global_load_dwordx2 v[10:11], v[10:11], off
	s_waitcnt vmcnt(0)
	v_subrev_u32_e32 v10, s16, v10
	v_subrev_u32_e32 v26, s16, v11
	v_add_u32_e32 v10, v10, v0
	v_cmp_lt_i32_e64 s[0:1], v10, v26
	s_cbranch_scc0 .LBB249_10
; %bb.5:
	v_mov_b32_e32 v14, 0
	v_mov_b32_e32 v18, 0
	;; [unrolled: 1-line block ×8, first 2 shown]
	s_and_saveexec_b64 s[8:9], s[0:1]
	s_cbranch_execz .LBB249_9
; %bb.6:
	v_mad_u64_u32 v[20:21], s[2:3], v10, 12, 10
	v_mov_b32_e32 v14, 0
	v_mov_b32_e32 v18, 0
	;; [unrolled: 1-line block ×5, first 2 shown]
	s_mov_b64 s[18:19], 0
	v_mov_b32_e32 v11, s11
	v_mov_b32_e32 v23, 0
	;; [unrolled: 1-line block ×8, first 2 shown]
.LBB249_7:                              ; =>This Inner Loop Header: Depth=1
	v_ashrrev_i32_e32 v25, 31, v24
	v_add_u32_e32 v22, -10, v20
	v_lshlrev_b64 v[29:30], 2, v[24:25]
	v_lshlrev_b64 v[31:32], 4, v[22:23]
	v_add_co_u32_e32 v35, vcc, s10, v29
	v_add_co_u32_e64 v39, s[2:3], s12, v31
	v_addc_co_u32_e32 v36, vcc, v11, v30, vcc
	v_addc_co_u32_e64 v40, vcc, v27, v32, s[2:3]
	global_load_dword v25, v[35:36], off
	global_load_dwordx4 v[29:32], v[39:40], off
	v_mov_b32_e32 v21, v23
	v_lshlrev_b64 v[33:34], 4, v[20:21]
	v_mov_b32_e32 v38, v23
	v_add_co_u32_e64 v41, s[6:7], s12, v33
	v_addc_co_u32_e64 v42, vcc, v27, v34, s[6:7]
	v_add_u32_e32 v22, -6, v20
	v_lshlrev_b64 v[21:22], 4, v[22:23]
	v_add_u32_e32 v24, 8, v24
	s_waitcnt vmcnt(1)
	v_subrev_u32_e32 v25, s16, v25
	v_mul_lo_u32 v37, v25, 6
	v_lshlrev_b64 v[33:34], 4, v[37:38]
	v_add_co_u32_e32 v43, vcc, s14, v33
	v_addc_co_u32_e32 v44, vcc, v28, v34, vcc
	global_load_dwordx4 v[33:36], v[43:44], off
	v_add_co_u32_e32 v21, vcc, s12, v21
	v_addc_co_u32_e32 v22, vcc, v27, v22, vcc
	s_waitcnt vmcnt(0)
	v_fma_f64 v[18:19], v[29:30], v[33:34], v[18:19]
	v_fma_f64 v[14:15], v[31:32], v[33:34], v[14:15]
	v_fma_f64 v[45:46], -v[31:32], v[35:36], v[18:19]
	v_fma_f64 v[47:48], v[29:30], v[35:36], v[14:15]
	global_load_dwordx4 v[29:32], v[39:40], off offset:16
	s_waitcnt vmcnt(0)
	v_fma_f64 v[14:15], v[29:30], v[33:34], v[16:17]
	v_fma_f64 v[12:13], v[31:32], v[33:34], v[12:13]
	v_fma_f64 v[33:34], -v[31:32], v[35:36], v[14:15]
	v_fma_f64 v[35:36], v[29:30], v[35:36], v[12:13]
	global_load_dwordx4 v[12:15], v[39:40], off offset:48
	global_load_dwordx4 v[16:19], v[39:40], off offset:32
	;; [unrolled: 1-line block ×3, first 2 shown]
	s_waitcnt vmcnt(0)
	v_fma_f64 v[38:39], v[16:17], v[29:30], v[45:46]
	v_fma_f64 v[43:44], v[18:19], v[29:30], v[47:48]
	v_fma_f64 v[33:34], v[12:13], v[29:30], v[33:34]
	v_fma_f64 v[29:30], v[14:15], v[29:30], v[35:36]
	v_fma_f64 v[38:39], -v[18:19], v[31:32], v[38:39]
	v_fma_f64 v[43:44], v[16:17], v[31:32], v[43:44]
	global_load_dwordx4 v[16:19], v[21:22], off offset:16
	v_fma_f64 v[33:34], -v[14:15], v[31:32], v[33:34]
	v_fma_f64 v[35:36], v[12:13], v[31:32], v[29:30]
	global_load_dwordx4 v[12:15], v[21:22], off
	v_add_u32_e32 v22, 2, v37
	v_lshlrev_b64 v[29:30], 4, v[22:23]
	v_add_u32_e32 v22, -4, v20
	v_add_co_u32_e32 v45, vcc, s14, v29
	v_addc_co_u32_e32 v46, vcc, v28, v30, vcc
	global_load_dwordx4 v[29:32], v[45:46], off
	v_lshlrev_b64 v[47:48], 4, v[22:23]
	v_add_u32_e32 v22, -2, v20
	v_lshlrev_b64 v[49:50], 4, v[22:23]
	v_add_u32_e32 v22, 4, v37
	v_add_co_u32_e32 v21, vcc, s12, v47
	v_lshlrev_b64 v[51:52], 4, v[22:23]
	v_addc_co_u32_e32 v22, vcc, v27, v48, vcc
	v_add_u32_e32 v20, 0x60, v20
	s_waitcnt vmcnt(0)
	v_fma_f64 v[38:39], v[12:13], v[29:30], v[38:39]
	v_fma_f64 v[43:44], v[14:15], v[29:30], v[43:44]
	v_fma_f64 v[38:39], -v[14:15], v[31:32], v[38:39]
	v_fma_f64 v[43:44], v[12:13], v[31:32], v[43:44]
	v_fma_f64 v[12:13], v[16:17], v[29:30], v[33:34]
	;; [unrolled: 1-line block ×3, first 2 shown]
	v_fma_f64 v[33:34], -v[18:19], v[31:32], v[12:13]
	v_fma_f64 v[35:36], v[16:17], v[31:32], v[14:15]
	global_load_dwordx4 v[12:15], v[45:46], off offset:16
	global_load_dwordx4 v[16:19], v[21:22], off
	global_load_dwordx4 v[29:32], v[21:22], off offset:16
	v_add_co_u32_e32 v45, vcc, s12, v49
	v_addc_co_u32_e32 v46, vcc, v27, v50, vcc
	s_waitcnt vmcnt(1)
	v_fma_f64 v[21:22], v[16:17], v[12:13], v[38:39]
	v_fma_f64 v[37:38], v[18:19], v[12:13], v[43:44]
	v_add_co_u32_e32 v39, vcc, s14, v51
	v_addc_co_u32_e32 v40, vcc, v28, v52, vcc
	v_cmp_ge_i32_e32 vcc, v24, v26
	s_or_b64 s[18:19], vcc, s[18:19]
	v_fma_f64 v[21:22], -v[18:19], v[14:15], v[21:22]
	v_fma_f64 v[37:38], v[16:17], v[14:15], v[37:38]
	s_waitcnt vmcnt(0)
	v_fma_f64 v[16:17], v[29:30], v[12:13], v[33:34]
	v_fma_f64 v[12:13], v[31:32], v[12:13], v[35:36]
	v_fma_f64 v[43:44], -v[31:32], v[14:15], v[16:17]
	v_fma_f64 v[47:48], v[29:30], v[14:15], v[12:13]
	global_load_dwordx4 v[12:15], v[45:46], off offset:16
	global_load_dwordx4 v[16:19], v[45:46], off
	global_load_dwordx4 v[29:32], v[39:40], off
	s_waitcnt vmcnt(0)
	v_fma_f64 v[21:22], v[16:17], v[29:30], v[21:22]
	v_fma_f64 v[33:34], v[18:19], v[29:30], v[37:38]
	v_fma_f64 v[21:22], -v[18:19], v[31:32], v[21:22]
	v_fma_f64 v[37:38], v[16:17], v[31:32], v[33:34]
	global_load_dwordx4 v[16:19], v[41:42], off
	global_load_dwordx4 v[33:36], v[41:42], off offset:16
	v_fma_f64 v[41:42], v[12:13], v[29:30], v[43:44]
	v_fma_f64 v[29:30], v[14:15], v[29:30], v[47:48]
	v_fma_f64 v[14:15], -v[14:15], v[31:32], v[41:42]
	v_fma_f64 v[12:13], v[12:13], v[31:32], v[29:30]
	global_load_dwordx4 v[29:32], v[39:40], off offset:16
	s_waitcnt vmcnt(0)
	v_fma_f64 v[21:22], v[16:17], v[29:30], v[21:22]
	v_fma_f64 v[37:38], v[18:19], v[29:30], v[37:38]
	;; [unrolled: 1-line block ×4, first 2 shown]
	v_fma_f64 v[18:19], -v[18:19], v[31:32], v[21:22]
	v_fma_f64 v[14:15], v[16:17], v[31:32], v[37:38]
	v_fma_f64 v[16:17], -v[35:36], v[31:32], v[39:40]
	v_fma_f64 v[12:13], v[33:34], v[31:32], v[12:13]
	s_andn2_b64 exec, exec, s[18:19]
	s_cbranch_execnz .LBB249_7
; %bb.8:
	s_or_b64 exec, exec, s[18:19]
.LBB249_9:
	s_or_b64 exec, exec, s[8:9]
	s_cbranch_execz .LBB249_11
	s_branch .LBB249_16
.LBB249_10:
                                        ; implicit-def: $vgpr14_vgpr15
                                        ; implicit-def: $vgpr18_vgpr19
                                        ; implicit-def: $vgpr16_vgpr17
                                        ; implicit-def: $vgpr12_vgpr13
.LBB249_11:
	v_mov_b32_e32 v14, 0
	v_mov_b32_e32 v18, 0
	;; [unrolled: 1-line block ×8, first 2 shown]
	s_and_saveexec_b64 s[2:3], s[0:1]
	s_cbranch_execz .LBB249_15
; %bb.12:
	v_mad_u64_u32 v[20:21], s[0:1], v10, 12, 11
	v_mov_b32_e32 v14, 0
	v_mov_b32_e32 v18, 0
	;; [unrolled: 1-line block ×5, first 2 shown]
	s_mov_b64 s[0:1], 0
	v_mov_b32_e32 v24, s11
	v_mov_b32_e32 v23, 0
	;; [unrolled: 1-line block ×7, first 2 shown]
.LBB249_13:                             ; =>This Inner Loop Header: Depth=1
	v_ashrrev_i32_e32 v11, 31, v10
	v_lshlrev_b64 v[30:31], 2, v[10:11]
	v_add_u32_e32 v22, -11, v20
	v_lshlrev_b64 v[32:33], 4, v[22:23]
	v_add_co_u32_e32 v36, vcc, s10, v30
	v_add_u32_e32 v28, -5, v20
	v_mov_b32_e32 v29, v23
	v_addc_co_u32_e32 v37, vcc, v24, v31, vcc
	v_lshlrev_b64 v[28:29], 4, v[28:29]
	v_add_co_u32_e32 v50, vcc, s12, v32
	v_mov_b32_e32 v21, v23
	v_addc_co_u32_e32 v51, vcc, v25, v33, vcc
	v_lshlrev_b64 v[34:35], 4, v[20:21]
	v_add_co_u32_e32 v44, vcc, s12, v28
	v_addc_co_u32_e32 v45, vcc, v25, v29, vcc
	v_add_co_u32_e32 v52, vcc, s12, v34
	v_addc_co_u32_e32 v53, vcc, v25, v35, vcc
	global_load_dword v11, v[36:37], off
	global_load_dwordx4 v[28:31], v[50:51], off
	global_load_dwordx4 v[32:35], v[50:51], off offset:16
	v_mov_b32_e32 v49, v23
	v_add_u32_e32 v22, -4, v20
	v_lshlrev_b64 v[21:22], 4, v[22:23]
	v_add_u32_e32 v10, 8, v10
	s_waitcnt vmcnt(2)
	v_subrev_u32_e32 v11, s16, v11
	v_mul_lo_u32 v48, v11, 6
	v_lshlrev_b64 v[36:37], 4, v[48:49]
	v_add_co_u32_e32 v46, vcc, s14, v36
	v_addc_co_u32_e32 v47, vcc, v27, v37, vcc
	global_load_dwordx4 v[36:39], v[46:47], off
	global_load_dwordx4 v[40:43], v[46:47], off offset:16
	s_waitcnt vmcnt(1)
	v_fma_f64 v[18:19], v[28:29], v[36:37], v[18:19]
	v_fma_f64 v[14:15], v[30:31], v[36:37], v[14:15]
	v_fma_f64 v[54:55], -v[30:31], v[38:39], v[18:19]
	v_fma_f64 v[56:57], v[28:29], v[38:39], v[14:15]
	global_load_dwordx4 v[28:31], v[44:45], off
	v_add_co_u32_e32 v14, vcc, s12, v21
	v_addc_co_u32_e32 v15, vcc, v25, v22, vcc
	global_load_dwordx4 v[44:47], v[14:15], off
	v_add_u32_e32 v22, 2, v48
	s_waitcnt vmcnt(1)
	v_fma_f64 v[14:15], v[28:29], v[36:37], v[16:17]
	v_fma_f64 v[11:12], v[30:31], v[36:37], v[12:13]
	v_fma_f64 v[36:37], -v[30:31], v[38:39], v[14:15]
	v_fma_f64 v[38:39], v[28:29], v[38:39], v[11:12]
	global_load_dwordx4 v[11:14], v[50:51], off offset:32
	global_load_dwordx4 v[15:18], v[50:51], off offset:48
	global_load_dwordx4 v[28:31], v[52:53], off
	v_fma_f64 v[51:52], v[34:35], v[40:41], v[56:57]
	v_fma_f64 v[49:50], v[32:33], v[40:41], v[54:55]
	;; [unrolled: 1-line block ×3, first 2 shown]
	v_lshlrev_b64 v[32:33], 4, v[22:23]
	v_fma_f64 v[49:50], -v[34:35], v[42:43], v[49:50]
	v_add_co_u32_e32 v53, vcc, s14, v32
	v_addc_co_u32_e32 v54, vcc, v27, v33, vcc
	s_waitcnt vmcnt(3)
	v_fma_f64 v[32:33], v[44:45], v[40:41], v[36:37]
	v_fma_f64 v[34:35], v[46:47], v[40:41], v[38:39]
	v_add_u32_e32 v22, -3, v20
	v_lshlrev_b64 v[55:56], 4, v[22:23]
	v_add_u32_e32 v22, -2, v20
	v_lshlrev_b64 v[40:41], 4, v[22:23]
	v_add_u32_e32 v22, -7, v20
	global_load_dwordx4 v[36:39], v[53:54], off offset:16
	v_fma_f64 v[46:47], -v[46:47], v[42:43], v[32:33]
	v_fma_f64 v[44:45], v[44:45], v[42:43], v[34:35]
	global_load_dwordx4 v[32:35], v[53:54], off
	v_add_co_u32_e32 v42, vcc, s12, v55
	v_addc_co_u32_e32 v43, vcc, v25, v56, vcc
	v_lshlrev_b64 v[55:56], 4, v[22:23]
	v_add_u32_e32 v22, 4, v48
	v_add_co_u32_e32 v40, vcc, s12, v40
	v_addc_co_u32_e32 v41, vcc, v25, v41, vcc
	s_waitcnt vmcnt(0)
	v_fma_f64 v[48:49], v[11:12], v[32:33], v[49:50]
	v_fma_f64 v[50:51], v[13:14], v[32:33], v[51:52]
	v_fma_f64 v[48:49], -v[13:14], v[34:35], v[48:49]
	v_fma_f64 v[50:51], v[11:12], v[34:35], v[50:51]
	global_load_dwordx4 v[11:14], v[42:43], off
	s_waitcnt vmcnt(0)
	v_fma_f64 v[46:47], v[11:12], v[32:33], v[46:47]
	global_load_dwordx4 v[40:43], v[40:41], off
	v_fma_f64 v[32:33], v[13:14], v[32:33], v[44:45]
	v_fma_f64 v[44:45], -v[13:14], v[34:35], v[46:47]
	v_add_co_u32_e32 v13, vcc, s12, v55
	v_fma_f64 v[46:47], v[11:12], v[34:35], v[32:33]
	v_fma_f64 v[34:35], v[15:16], v[36:37], v[48:49]
	;; [unrolled: 1-line block ×3, first 2 shown]
	v_lshlrev_b64 v[11:12], 4, v[22:23]
	v_add_u32_e32 v22, -1, v20
	v_addc_co_u32_e32 v14, vcc, v25, v56, vcc
	v_lshlrev_b64 v[32:33], 4, v[22:23]
	v_add_co_u32_e32 v52, vcc, s14, v11
	v_addc_co_u32_e32 v53, vcc, v27, v12, vcc
	v_add_co_u32_e32 v32, vcc, s12, v32
	v_addc_co_u32_e32 v33, vcc, v25, v33, vcc
	global_load_dwordx4 v[11:14], v[13:14], off
	v_fma_f64 v[50:51], -v[17:18], v[38:39], v[34:35]
	v_fma_f64 v[48:49], v[15:16], v[38:39], v[48:49]
	global_load_dwordx4 v[15:18], v[52:53], off
	v_add_u32_e32 v22, -6, v20
	global_load_dwordx4 v[32:35], v[32:33], off
	v_lshlrev_b64 v[21:22], 4, v[22:23]
	v_add_u32_e32 v20, 0x60, v20
	v_add_co_u32_e32 v21, vcc, s12, v21
	v_addc_co_u32_e32 v22, vcc, v25, v22, vcc
	v_cmp_ge_i32_e32 vcc, v10, v26
	s_or_b64 s[0:1], vcc, s[0:1]
	s_waitcnt vmcnt(3)
	v_fma_f64 v[44:45], v[40:41], v[36:37], v[44:45]
	v_fma_f64 v[36:37], v[42:43], v[36:37], v[46:47]
	v_fma_f64 v[44:45], -v[42:43], v[38:39], v[44:45]
	v_fma_f64 v[46:47], v[40:41], v[38:39], v[36:37]
	global_load_dwordx4 v[36:39], v[52:53], off offset:16
	global_load_dwordx4 v[40:43], v[21:22], off
	s_waitcnt vmcnt(3)
	v_fma_f64 v[21:22], v[11:12], v[15:16], v[50:51]
	v_fma_f64 v[48:49], v[13:14], v[15:16], v[48:49]
	s_waitcnt vmcnt(2)
	v_fma_f64 v[44:45], v[32:33], v[15:16], v[44:45]
	v_fma_f64 v[15:16], v[34:35], v[15:16], v[46:47]
	v_fma_f64 v[13:14], -v[13:14], v[17:18], v[21:22]
	v_fma_f64 v[11:12], v[11:12], v[17:18], v[48:49]
	v_fma_f64 v[21:22], -v[34:35], v[17:18], v[44:45]
	v_fma_f64 v[15:16], v[32:33], v[17:18], v[15:16]
	s_waitcnt vmcnt(1)
	v_fma_f64 v[21:22], v[28:29], v[36:37], v[21:22]
	s_waitcnt vmcnt(0)
	v_fma_f64 v[13:14], v[40:41], v[36:37], v[13:14]
	v_fma_f64 v[11:12], v[42:43], v[36:37], v[11:12]
	;; [unrolled: 1-line block ×3, first 2 shown]
	v_fma_f64 v[16:17], -v[30:31], v[38:39], v[21:22]
	v_fma_f64 v[18:19], -v[42:43], v[38:39], v[13:14]
	v_fma_f64 v[14:15], v[40:41], v[38:39], v[11:12]
	v_fma_f64 v[12:13], v[28:29], v[38:39], v[32:33]
	s_andn2_b64 exec, exec, s[0:1]
	s_cbranch_execnz .LBB249_13
; %bb.14:
	s_or_b64 exec, exec, s[0:1]
.LBB249_15:
	s_or_b64 exec, exec, s[2:3]
.LBB249_16:
	v_mov_b32_dpp v10, v18 row_shr:1 row_mask:0xf bank_mask:0xf
	v_mov_b32_dpp v11, v19 row_shr:1 row_mask:0xf bank_mask:0xf
	v_add_f64 v[10:11], v[18:19], v[10:11]
	v_mov_b32_dpp v18, v14 row_shr:1 row_mask:0xf bank_mask:0xf
	v_mov_b32_dpp v19, v15 row_shr:1 row_mask:0xf bank_mask:0xf
	;; [unrolled: 1-line block ×4, first 2 shown]
	v_add_f64 v[14:15], v[14:15], v[18:19]
	v_add_f64 v[16:17], v[16:17], v[20:21]
	v_mov_b32_dpp v20, v12 row_shr:1 row_mask:0xf bank_mask:0xf
	v_mov_b32_dpp v21, v13 row_shr:1 row_mask:0xf bank_mask:0xf
	v_add_f64 v[20:21], v[12:13], v[20:21]
	v_mov_b32_dpp v18, v10 row_shr:2 row_mask:0xf bank_mask:0xf
	v_mov_b32_dpp v19, v11 row_shr:2 row_mask:0xf bank_mask:0xf
	;; [unrolled: 3-line block ×6, first 2 shown]
	v_mov_b32_dpp v16, v12 row_shr:4 row_mask:0xf bank_mask:0xe
	v_mov_b32_dpp v17, v13 row_shr:4 row_mask:0xf bank_mask:0xe
	;; [unrolled: 1-line block ×4, first 2 shown]
	v_cmp_eq_u32_e32 vcc, 7, v0
	v_mov_b32_dpp v20, v14 row_shr:4 row_mask:0xf bank_mask:0xe
	v_mov_b32_dpp v21, v15 row_shr:4 row_mask:0xf bank_mask:0xe
	s_and_b64 exec, exec, vcc
	s_cbranch_execz .LBB249_21
; %bb.17:
	v_cmp_eq_f64_e32 vcc, 0, v[5:6]
	v_cmp_eq_f64_e64 s[0:1], 0, v[7:8]
	v_add_f64 v[10:11], v[10:11], v[24:25]
	v_add_f64 v[16:17], v[12:13], v[16:17]
	;; [unrolled: 1-line block ×4, first 2 shown]
	s_load_dwordx2 s[2:3], s[4:5], 0x48
	s_and_b64 s[0:1], vcc, s[0:1]
	s_and_saveexec_b64 s[4:5], s[0:1]
	s_xor_b64 s[0:1], exec, s[4:5]
	s_cbranch_execz .LBB249_19
; %bb.18:
	v_mul_f64 v[5:6], v[16:17], -v[3:4]
	v_mul_f64 v[7:8], v[1:2], v[16:17]
	v_mul_f64 v[16:17], v[14:15], -v[3:4]
	v_mul_f64 v[14:15], v[1:2], v[14:15]
	v_lshlrev_b32_e32 v9, 1, v9
	s_waitcnt lgkmcnt(0)
	v_mov_b32_e32 v18, s3
	v_fma_f64 v[5:6], v[1:2], v[10:11], v[5:6]
	v_fma_f64 v[7:8], v[3:4], v[10:11], v[7:8]
	;; [unrolled: 1-line block ×4, first 2 shown]
	v_ashrrev_i32_e32 v10, 31, v9
	v_lshlrev_b64 v[9:10], 4, v[9:10]
                                        ; implicit-def: $vgpr16_vgpr17
                                        ; implicit-def: $vgpr12_vgpr13
                                        ; implicit-def: $vgpr14_vgpr15
	v_add_co_u32_e32 v9, vcc, s2, v9
	v_addc_co_u32_e32 v10, vcc, v18, v10, vcc
	global_store_dwordx4 v[9:10], v[5:8], off
	global_store_dwordx4 v[9:10], v[0:3], off offset:16
                                        ; implicit-def: $vgpr9
                                        ; implicit-def: $vgpr10_vgpr11
                                        ; implicit-def: $vgpr7_vgpr8
                                        ; implicit-def: $vgpr3_vgpr4
.LBB249_19:
	s_andn2_saveexec_b64 s[0:1], s[0:1]
	s_cbranch_execz .LBB249_21
; %bb.20:
	v_lshlrev_b32_e32 v18, 1, v9
	v_ashrrev_i32_e32 v19, 31, v18
	v_lshlrev_b64 v[18:19], 4, v[18:19]
	s_waitcnt lgkmcnt(0)
	v_mov_b32_e32 v0, s3
	v_add_co_u32_e32 v26, vcc, s2, v18
	v_addc_co_u32_e32 v27, vcc, v0, v19, vcc
	global_load_dwordx4 v[18:21], v[26:27], off
	global_load_dwordx4 v[22:25], v[26:27], off offset:16
	v_mul_f64 v[28:29], v[16:17], -v[3:4]
	v_mul_f64 v[16:17], v[1:2], v[16:17]
	v_mul_f64 v[30:31], v[14:15], -v[3:4]
	v_mul_f64 v[14:15], v[1:2], v[14:15]
	v_fma_f64 v[28:29], v[1:2], v[10:11], v[28:29]
	v_fma_f64 v[9:10], v[3:4], v[10:11], v[16:17]
	;; [unrolled: 1-line block ×4, first 2 shown]
	s_waitcnt vmcnt(1)
	v_fma_f64 v[11:12], v[5:6], v[18:19], v[28:29]
	v_fma_f64 v[9:10], v[7:8], v[18:19], v[9:10]
	s_waitcnt vmcnt(0)
	v_fma_f64 v[13:14], v[5:6], v[22:23], v[0:1]
	v_fma_f64 v[15:16], v[7:8], v[22:23], v[2:3]
	v_fma_f64 v[0:1], -v[7:8], v[20:21], v[11:12]
	v_fma_f64 v[2:3], v[5:6], v[20:21], v[9:10]
	v_fma_f64 v[7:8], -v[7:8], v[24:25], v[13:14]
	v_fma_f64 v[9:10], v[5:6], v[24:25], v[15:16]
	global_store_dwordx4 v[26:27], v[0:3], off
	global_store_dwordx4 v[26:27], v[7:10], off offset:16
.LBB249_21:
	s_endpgm
	.section	.rodata,"a",@progbits
	.p2align	6, 0x0
	.amdhsa_kernel _ZN9rocsparseL19gebsrmvn_2xn_kernelILj128ELj6ELj8E21rocsparse_complex_numIdEEEvi20rocsparse_direction_NS_24const_host_device_scalarIT2_EEPKiS8_PKS5_SA_S6_PS5_21rocsparse_index_base_b
		.amdhsa_group_segment_fixed_size 0
		.amdhsa_private_segment_fixed_size 0
		.amdhsa_kernarg_size 88
		.amdhsa_user_sgpr_count 6
		.amdhsa_user_sgpr_private_segment_buffer 1
		.amdhsa_user_sgpr_dispatch_ptr 0
		.amdhsa_user_sgpr_queue_ptr 0
		.amdhsa_user_sgpr_kernarg_segment_ptr 1
		.amdhsa_user_sgpr_dispatch_id 0
		.amdhsa_user_sgpr_flat_scratch_init 0
		.amdhsa_user_sgpr_private_segment_size 0
		.amdhsa_uses_dynamic_stack 0
		.amdhsa_system_sgpr_private_segment_wavefront_offset 0
		.amdhsa_system_sgpr_workgroup_id_x 1
		.amdhsa_system_sgpr_workgroup_id_y 0
		.amdhsa_system_sgpr_workgroup_id_z 0
		.amdhsa_system_sgpr_workgroup_info 0
		.amdhsa_system_vgpr_workitem_id 0
		.amdhsa_next_free_vgpr 58
		.amdhsa_next_free_sgpr 20
		.amdhsa_reserve_vcc 1
		.amdhsa_reserve_flat_scratch 0
		.amdhsa_float_round_mode_32 0
		.amdhsa_float_round_mode_16_64 0
		.amdhsa_float_denorm_mode_32 3
		.amdhsa_float_denorm_mode_16_64 3
		.amdhsa_dx10_clamp 1
		.amdhsa_ieee_mode 1
		.amdhsa_fp16_overflow 0
		.amdhsa_exception_fp_ieee_invalid_op 0
		.amdhsa_exception_fp_denorm_src 0
		.amdhsa_exception_fp_ieee_div_zero 0
		.amdhsa_exception_fp_ieee_overflow 0
		.amdhsa_exception_fp_ieee_underflow 0
		.amdhsa_exception_fp_ieee_inexact 0
		.amdhsa_exception_int_div_zero 0
	.end_amdhsa_kernel
	.section	.text._ZN9rocsparseL19gebsrmvn_2xn_kernelILj128ELj6ELj8E21rocsparse_complex_numIdEEEvi20rocsparse_direction_NS_24const_host_device_scalarIT2_EEPKiS8_PKS5_SA_S6_PS5_21rocsparse_index_base_b,"axG",@progbits,_ZN9rocsparseL19gebsrmvn_2xn_kernelILj128ELj6ELj8E21rocsparse_complex_numIdEEEvi20rocsparse_direction_NS_24const_host_device_scalarIT2_EEPKiS8_PKS5_SA_S6_PS5_21rocsparse_index_base_b,comdat
.Lfunc_end249:
	.size	_ZN9rocsparseL19gebsrmvn_2xn_kernelILj128ELj6ELj8E21rocsparse_complex_numIdEEEvi20rocsparse_direction_NS_24const_host_device_scalarIT2_EEPKiS8_PKS5_SA_S6_PS5_21rocsparse_index_base_b, .Lfunc_end249-_ZN9rocsparseL19gebsrmvn_2xn_kernelILj128ELj6ELj8E21rocsparse_complex_numIdEEEvi20rocsparse_direction_NS_24const_host_device_scalarIT2_EEPKiS8_PKS5_SA_S6_PS5_21rocsparse_index_base_b
                                        ; -- End function
	.set _ZN9rocsparseL19gebsrmvn_2xn_kernelILj128ELj6ELj8E21rocsparse_complex_numIdEEEvi20rocsparse_direction_NS_24const_host_device_scalarIT2_EEPKiS8_PKS5_SA_S6_PS5_21rocsparse_index_base_b.num_vgpr, 58
	.set _ZN9rocsparseL19gebsrmvn_2xn_kernelILj128ELj6ELj8E21rocsparse_complex_numIdEEEvi20rocsparse_direction_NS_24const_host_device_scalarIT2_EEPKiS8_PKS5_SA_S6_PS5_21rocsparse_index_base_b.num_agpr, 0
	.set _ZN9rocsparseL19gebsrmvn_2xn_kernelILj128ELj6ELj8E21rocsparse_complex_numIdEEEvi20rocsparse_direction_NS_24const_host_device_scalarIT2_EEPKiS8_PKS5_SA_S6_PS5_21rocsparse_index_base_b.numbered_sgpr, 20
	.set _ZN9rocsparseL19gebsrmvn_2xn_kernelILj128ELj6ELj8E21rocsparse_complex_numIdEEEvi20rocsparse_direction_NS_24const_host_device_scalarIT2_EEPKiS8_PKS5_SA_S6_PS5_21rocsparse_index_base_b.num_named_barrier, 0
	.set _ZN9rocsparseL19gebsrmvn_2xn_kernelILj128ELj6ELj8E21rocsparse_complex_numIdEEEvi20rocsparse_direction_NS_24const_host_device_scalarIT2_EEPKiS8_PKS5_SA_S6_PS5_21rocsparse_index_base_b.private_seg_size, 0
	.set _ZN9rocsparseL19gebsrmvn_2xn_kernelILj128ELj6ELj8E21rocsparse_complex_numIdEEEvi20rocsparse_direction_NS_24const_host_device_scalarIT2_EEPKiS8_PKS5_SA_S6_PS5_21rocsparse_index_base_b.uses_vcc, 1
	.set _ZN9rocsparseL19gebsrmvn_2xn_kernelILj128ELj6ELj8E21rocsparse_complex_numIdEEEvi20rocsparse_direction_NS_24const_host_device_scalarIT2_EEPKiS8_PKS5_SA_S6_PS5_21rocsparse_index_base_b.uses_flat_scratch, 0
	.set _ZN9rocsparseL19gebsrmvn_2xn_kernelILj128ELj6ELj8E21rocsparse_complex_numIdEEEvi20rocsparse_direction_NS_24const_host_device_scalarIT2_EEPKiS8_PKS5_SA_S6_PS5_21rocsparse_index_base_b.has_dyn_sized_stack, 0
	.set _ZN9rocsparseL19gebsrmvn_2xn_kernelILj128ELj6ELj8E21rocsparse_complex_numIdEEEvi20rocsparse_direction_NS_24const_host_device_scalarIT2_EEPKiS8_PKS5_SA_S6_PS5_21rocsparse_index_base_b.has_recursion, 0
	.set _ZN9rocsparseL19gebsrmvn_2xn_kernelILj128ELj6ELj8E21rocsparse_complex_numIdEEEvi20rocsparse_direction_NS_24const_host_device_scalarIT2_EEPKiS8_PKS5_SA_S6_PS5_21rocsparse_index_base_b.has_indirect_call, 0
	.section	.AMDGPU.csdata,"",@progbits
; Kernel info:
; codeLenInByte = 2856
; TotalNumSgprs: 24
; NumVgprs: 58
; ScratchSize: 0
; MemoryBound: 0
; FloatMode: 240
; IeeeMode: 1
; LDSByteSize: 0 bytes/workgroup (compile time only)
; SGPRBlocks: 2
; VGPRBlocks: 14
; NumSGPRsForWavesPerEU: 24
; NumVGPRsForWavesPerEU: 58
; Occupancy: 4
; WaveLimiterHint : 1
; COMPUTE_PGM_RSRC2:SCRATCH_EN: 0
; COMPUTE_PGM_RSRC2:USER_SGPR: 6
; COMPUTE_PGM_RSRC2:TRAP_HANDLER: 0
; COMPUTE_PGM_RSRC2:TGID_X_EN: 1
; COMPUTE_PGM_RSRC2:TGID_Y_EN: 0
; COMPUTE_PGM_RSRC2:TGID_Z_EN: 0
; COMPUTE_PGM_RSRC2:TIDIG_COMP_CNT: 0
	.section	.text._ZN9rocsparseL19gebsrmvn_2xn_kernelILj128ELj6ELj16E21rocsparse_complex_numIdEEEvi20rocsparse_direction_NS_24const_host_device_scalarIT2_EEPKiS8_PKS5_SA_S6_PS5_21rocsparse_index_base_b,"axG",@progbits,_ZN9rocsparseL19gebsrmvn_2xn_kernelILj128ELj6ELj16E21rocsparse_complex_numIdEEEvi20rocsparse_direction_NS_24const_host_device_scalarIT2_EEPKiS8_PKS5_SA_S6_PS5_21rocsparse_index_base_b,comdat
	.globl	_ZN9rocsparseL19gebsrmvn_2xn_kernelILj128ELj6ELj16E21rocsparse_complex_numIdEEEvi20rocsparse_direction_NS_24const_host_device_scalarIT2_EEPKiS8_PKS5_SA_S6_PS5_21rocsparse_index_base_b ; -- Begin function _ZN9rocsparseL19gebsrmvn_2xn_kernelILj128ELj6ELj16E21rocsparse_complex_numIdEEEvi20rocsparse_direction_NS_24const_host_device_scalarIT2_EEPKiS8_PKS5_SA_S6_PS5_21rocsparse_index_base_b
	.p2align	8
	.type	_ZN9rocsparseL19gebsrmvn_2xn_kernelILj128ELj6ELj16E21rocsparse_complex_numIdEEEvi20rocsparse_direction_NS_24const_host_device_scalarIT2_EEPKiS8_PKS5_SA_S6_PS5_21rocsparse_index_base_b,@function
_ZN9rocsparseL19gebsrmvn_2xn_kernelILj128ELj6ELj16E21rocsparse_complex_numIdEEEvi20rocsparse_direction_NS_24const_host_device_scalarIT2_EEPKiS8_PKS5_SA_S6_PS5_21rocsparse_index_base_b: ; @_ZN9rocsparseL19gebsrmvn_2xn_kernelILj128ELj6ELj16E21rocsparse_complex_numIdEEEvi20rocsparse_direction_NS_24const_host_device_scalarIT2_EEPKiS8_PKS5_SA_S6_PS5_21rocsparse_index_base_b
; %bb.0:
	s_load_dwordx2 s[0:1], s[4:5], 0x8
	s_load_dwordx2 s[2:3], s[4:5], 0x38
	;; [unrolled: 1-line block ×3, first 2 shown]
	s_add_u32 s7, s4, 8
	s_addc_u32 s8, s5, 0
	s_add_u32 s9, s4, 56
	s_addc_u32 s10, s5, 0
	s_waitcnt lgkmcnt(0)
	s_bitcmp1_b32 s17, 0
	s_cselect_b32 s1, s8, s1
	s_cselect_b32 s0, s7, s0
	v_mov_b32_e32 v1, s0
	v_mov_b32_e32 v2, s1
	flat_load_dwordx4 v[1:4], v[1:2]
	s_cselect_b32 s0, s10, s3
	s_cselect_b32 s1, s9, s2
	v_mov_b32_e32 v5, s1
	v_mov_b32_e32 v6, s0
	flat_load_dwordx4 v[5:8], v[5:6]
	s_waitcnt vmcnt(0) lgkmcnt(0)
	v_cmp_eq_f64_e32 vcc, 0, v[1:2]
	v_cmp_eq_f64_e64 s[0:1], 0, v[3:4]
	s_and_b64 s[8:9], vcc, s[0:1]
	s_mov_b64 s[0:1], -1
	s_and_saveexec_b64 s[2:3], s[8:9]
	s_cbranch_execz .LBB250_2
; %bb.1:
	v_cmp_neq_f64_e32 vcc, 1.0, v[5:6]
	v_cmp_neq_f64_e64 s[0:1], 0, v[7:8]
	s_or_b64 s[0:1], vcc, s[0:1]
	s_orn2_b64 s[0:1], s[0:1], exec
.LBB250_2:
	s_or_b64 exec, exec, s[2:3]
	s_and_saveexec_b64 s[2:3], s[0:1]
	s_cbranch_execz .LBB250_21
; %bb.3:
	s_load_dwordx2 s[0:1], s[4:5], 0x0
	v_lshrrev_b32_e32 v9, 4, v0
	v_lshl_or_b32 v9, s6, 3, v9
	s_waitcnt lgkmcnt(0)
	v_cmp_gt_i32_e32 vcc, s0, v9
	s_and_b64 exec, exec, vcc
	s_cbranch_execz .LBB250_21
; %bb.4:
	s_load_dwordx8 s[8:15], s[4:5], 0x18
	v_ashrrev_i32_e32 v10, 31, v9
	v_lshlrev_b64 v[10:11], 2, v[9:10]
	v_and_b32_e32 v0, 15, v0
	s_cmp_lg_u32 s1, 0
	s_waitcnt lgkmcnt(0)
	v_mov_b32_e32 v12, s9
	v_add_co_u32_e32 v10, vcc, s8, v10
	v_addc_co_u32_e32 v11, vcc, v12, v11, vcc
	global_load_dwordx2 v[10:11], v[10:11], off
	s_waitcnt vmcnt(0)
	v_subrev_u32_e32 v10, s16, v10
	v_subrev_u32_e32 v26, s16, v11
	v_add_u32_e32 v10, v10, v0
	v_cmp_lt_i32_e64 s[0:1], v10, v26
	s_cbranch_scc0 .LBB250_10
; %bb.5:
	v_mov_b32_e32 v16, 0
	v_mov_b32_e32 v18, 0
	;; [unrolled: 1-line block ×8, first 2 shown]
	s_and_saveexec_b64 s[8:9], s[0:1]
	s_cbranch_execz .LBB250_9
; %bb.6:
	v_mad_u64_u32 v[20:21], s[2:3], v10, 12, 10
	v_mov_b32_e32 v16, 0
	v_mov_b32_e32 v18, 0
	;; [unrolled: 1-line block ×5, first 2 shown]
	s_mov_b64 s[18:19], 0
	v_mov_b32_e32 v11, s11
	v_mov_b32_e32 v23, 0
	;; [unrolled: 1-line block ×8, first 2 shown]
.LBB250_7:                              ; =>This Inner Loop Header: Depth=1
	v_ashrrev_i32_e32 v25, 31, v24
	v_add_u32_e32 v22, -10, v20
	v_lshlrev_b64 v[29:30], 2, v[24:25]
	v_lshlrev_b64 v[31:32], 4, v[22:23]
	v_add_co_u32_e32 v35, vcc, s10, v29
	v_add_co_u32_e64 v39, s[2:3], s12, v31
	v_addc_co_u32_e32 v36, vcc, v11, v30, vcc
	v_addc_co_u32_e64 v40, vcc, v27, v32, s[2:3]
	global_load_dword v25, v[35:36], off
	global_load_dwordx4 v[29:32], v[39:40], off
	v_mov_b32_e32 v21, v23
	v_lshlrev_b64 v[33:34], 4, v[20:21]
	v_mov_b32_e32 v38, v23
	v_add_co_u32_e64 v41, s[6:7], s12, v33
	v_addc_co_u32_e64 v42, vcc, v27, v34, s[6:7]
	v_add_u32_e32 v22, -6, v20
	v_lshlrev_b64 v[21:22], 4, v[22:23]
	v_add_u32_e32 v24, 16, v24
	s_waitcnt vmcnt(1)
	v_subrev_u32_e32 v25, s16, v25
	v_mul_lo_u32 v37, v25, 6
	v_lshlrev_b64 v[33:34], 4, v[37:38]
	v_add_co_u32_e32 v43, vcc, s14, v33
	v_addc_co_u32_e32 v44, vcc, v28, v34, vcc
	global_load_dwordx4 v[33:36], v[43:44], off
	v_add_co_u32_e32 v21, vcc, s12, v21
	v_addc_co_u32_e32 v22, vcc, v27, v22, vcc
	s_waitcnt vmcnt(0)
	v_fma_f64 v[18:19], v[29:30], v[33:34], v[18:19]
	v_fma_f64 v[16:17], v[31:32], v[33:34], v[16:17]
	v_fma_f64 v[45:46], -v[31:32], v[35:36], v[18:19]
	v_fma_f64 v[47:48], v[29:30], v[35:36], v[16:17]
	global_load_dwordx4 v[16:19], v[39:40], off offset:16
	s_waitcnt vmcnt(0)
	v_fma_f64 v[12:13], v[16:17], v[33:34], v[12:13]
	v_fma_f64 v[14:15], v[18:19], v[33:34], v[14:15]
	v_fma_f64 v[33:34], -v[18:19], v[35:36], v[12:13]
	v_fma_f64 v[35:36], v[16:17], v[35:36], v[14:15]
	global_load_dwordx4 v[12:15], v[39:40], off offset:48
	global_load_dwordx4 v[16:19], v[39:40], off offset:32
	;; [unrolled: 1-line block ×3, first 2 shown]
	s_waitcnt vmcnt(0)
	v_fma_f64 v[38:39], v[16:17], v[29:30], v[45:46]
	v_fma_f64 v[43:44], v[18:19], v[29:30], v[47:48]
	;; [unrolled: 1-line block ×4, first 2 shown]
	v_fma_f64 v[38:39], -v[18:19], v[31:32], v[38:39]
	v_fma_f64 v[43:44], v[16:17], v[31:32], v[43:44]
	global_load_dwordx4 v[16:19], v[21:22], off offset:16
	v_fma_f64 v[33:34], -v[14:15], v[31:32], v[33:34]
	v_fma_f64 v[35:36], v[12:13], v[31:32], v[29:30]
	global_load_dwordx4 v[12:15], v[21:22], off
	v_add_u32_e32 v22, 2, v37
	v_lshlrev_b64 v[29:30], 4, v[22:23]
	v_add_u32_e32 v22, -4, v20
	v_add_co_u32_e32 v45, vcc, s14, v29
	v_addc_co_u32_e32 v46, vcc, v28, v30, vcc
	global_load_dwordx4 v[29:32], v[45:46], off
	v_lshlrev_b64 v[47:48], 4, v[22:23]
	v_add_u32_e32 v22, -2, v20
	v_lshlrev_b64 v[49:50], 4, v[22:23]
	v_add_u32_e32 v22, 4, v37
	v_add_co_u32_e32 v21, vcc, s12, v47
	v_lshlrev_b64 v[51:52], 4, v[22:23]
	v_addc_co_u32_e32 v22, vcc, v27, v48, vcc
	v_add_u32_e32 v20, 0xc0, v20
	s_waitcnt vmcnt(0)
	v_fma_f64 v[38:39], v[12:13], v[29:30], v[38:39]
	v_fma_f64 v[43:44], v[14:15], v[29:30], v[43:44]
	v_fma_f64 v[38:39], -v[14:15], v[31:32], v[38:39]
	v_fma_f64 v[43:44], v[12:13], v[31:32], v[43:44]
	v_fma_f64 v[12:13], v[16:17], v[29:30], v[33:34]
	;; [unrolled: 1-line block ×3, first 2 shown]
	v_fma_f64 v[33:34], -v[18:19], v[31:32], v[12:13]
	v_fma_f64 v[35:36], v[16:17], v[31:32], v[14:15]
	global_load_dwordx4 v[12:15], v[45:46], off offset:16
	global_load_dwordx4 v[16:19], v[21:22], off
	global_load_dwordx4 v[29:32], v[21:22], off offset:16
	v_add_co_u32_e32 v45, vcc, s12, v49
	v_addc_co_u32_e32 v46, vcc, v27, v50, vcc
	s_waitcnt vmcnt(1)
	v_fma_f64 v[21:22], v[16:17], v[12:13], v[38:39]
	v_fma_f64 v[37:38], v[18:19], v[12:13], v[43:44]
	v_add_co_u32_e32 v39, vcc, s14, v51
	v_addc_co_u32_e32 v40, vcc, v28, v52, vcc
	v_cmp_ge_i32_e32 vcc, v24, v26
	s_or_b64 s[18:19], vcc, s[18:19]
	v_fma_f64 v[21:22], -v[18:19], v[14:15], v[21:22]
	v_fma_f64 v[37:38], v[16:17], v[14:15], v[37:38]
	s_waitcnt vmcnt(0)
	v_fma_f64 v[16:17], v[29:30], v[12:13], v[33:34]
	v_fma_f64 v[12:13], v[31:32], v[12:13], v[35:36]
	v_fma_f64 v[43:44], -v[31:32], v[14:15], v[16:17]
	v_fma_f64 v[47:48], v[29:30], v[14:15], v[12:13]
	global_load_dwordx4 v[12:15], v[45:46], off offset:16
	global_load_dwordx4 v[16:19], v[45:46], off
	global_load_dwordx4 v[29:32], v[39:40], off
	s_waitcnt vmcnt(0)
	v_fma_f64 v[21:22], v[16:17], v[29:30], v[21:22]
	v_fma_f64 v[33:34], v[18:19], v[29:30], v[37:38]
	v_fma_f64 v[21:22], -v[18:19], v[31:32], v[21:22]
	v_fma_f64 v[37:38], v[16:17], v[31:32], v[33:34]
	global_load_dwordx4 v[16:19], v[41:42], off
	global_load_dwordx4 v[33:36], v[41:42], off offset:16
	v_fma_f64 v[41:42], v[12:13], v[29:30], v[43:44]
	v_fma_f64 v[29:30], v[14:15], v[29:30], v[47:48]
	v_fma_f64 v[41:42], -v[14:15], v[31:32], v[41:42]
	v_fma_f64 v[29:30], v[12:13], v[31:32], v[29:30]
	global_load_dwordx4 v[12:15], v[39:40], off offset:16
	s_waitcnt vmcnt(0)
	v_fma_f64 v[21:22], v[16:17], v[12:13], v[21:22]
	v_fma_f64 v[31:32], v[18:19], v[12:13], v[37:38]
	;; [unrolled: 1-line block ×4, first 2 shown]
	v_fma_f64 v[18:19], -v[18:19], v[14:15], v[21:22]
	v_fma_f64 v[16:17], v[16:17], v[14:15], v[31:32]
	v_fma_f64 v[12:13], -v[35:36], v[14:15], v[37:38]
	v_fma_f64 v[14:15], v[33:34], v[14:15], v[29:30]
	s_andn2_b64 exec, exec, s[18:19]
	s_cbranch_execnz .LBB250_7
; %bb.8:
	s_or_b64 exec, exec, s[18:19]
.LBB250_9:
	s_or_b64 exec, exec, s[8:9]
	s_cbranch_execz .LBB250_11
	s_branch .LBB250_16
.LBB250_10:
                                        ; implicit-def: $vgpr16_vgpr17
                                        ; implicit-def: $vgpr18_vgpr19
                                        ; implicit-def: $vgpr12_vgpr13
                                        ; implicit-def: $vgpr14_vgpr15
.LBB250_11:
	v_mov_b32_e32 v16, 0
	v_mov_b32_e32 v18, 0
	;; [unrolled: 1-line block ×8, first 2 shown]
	s_and_saveexec_b64 s[2:3], s[0:1]
	s_cbranch_execz .LBB250_15
; %bb.12:
	v_mad_u64_u32 v[20:21], s[0:1], v10, 12, 11
	v_mov_b32_e32 v16, 0
	v_mov_b32_e32 v18, 0
	;; [unrolled: 1-line block ×5, first 2 shown]
	s_mov_b64 s[0:1], 0
	v_mov_b32_e32 v24, s11
	v_mov_b32_e32 v23, 0
	;; [unrolled: 1-line block ×7, first 2 shown]
.LBB250_13:                             ; =>This Inner Loop Header: Depth=1
	v_ashrrev_i32_e32 v11, 31, v10
	v_lshlrev_b64 v[30:31], 2, v[10:11]
	v_add_u32_e32 v22, -11, v20
	v_lshlrev_b64 v[32:33], 4, v[22:23]
	v_add_co_u32_e32 v36, vcc, s10, v30
	v_add_u32_e32 v28, -5, v20
	v_mov_b32_e32 v29, v23
	v_addc_co_u32_e32 v37, vcc, v24, v31, vcc
	v_lshlrev_b64 v[28:29], 4, v[28:29]
	v_add_co_u32_e32 v46, vcc, s12, v32
	v_mov_b32_e32 v21, v23
	v_addc_co_u32_e32 v47, vcc, v25, v33, vcc
	v_lshlrev_b64 v[34:35], 4, v[20:21]
	v_add_co_u32_e32 v48, vcc, s12, v28
	v_addc_co_u32_e32 v49, vcc, v25, v29, vcc
	v_add_co_u32_e32 v50, vcc, s12, v34
	v_addc_co_u32_e32 v51, vcc, v25, v35, vcc
	global_load_dword v11, v[36:37], off
	global_load_dwordx4 v[28:31], v[46:47], off
	global_load_dwordx4 v[32:35], v[46:47], off offset:16
	v_mov_b32_e32 v45, v23
	v_add_u32_e32 v22, -4, v20
	v_lshlrev_b64 v[21:22], 4, v[22:23]
	v_add_u32_e32 v10, 16, v10
	s_waitcnt vmcnt(2)
	v_subrev_u32_e32 v11, s16, v11
	v_mul_lo_u32 v44, v11, 6
	v_lshlrev_b64 v[36:37], 4, v[44:45]
	v_add_co_u32_e32 v52, vcc, s14, v36
	v_addc_co_u32_e32 v53, vcc, v27, v37, vcc
	global_load_dwordx4 v[36:39], v[52:53], off
	global_load_dwordx4 v[40:43], v[52:53], off offset:16
	v_add_co_u32_e32 v21, vcc, s12, v21
	v_addc_co_u32_e32 v22, vcc, v25, v22, vcc
	s_waitcnt vmcnt(1)
	v_fma_f64 v[18:19], v[28:29], v[36:37], v[18:19]
	v_fma_f64 v[16:17], v[30:31], v[36:37], v[16:17]
	v_fma_f64 v[52:53], -v[30:31], v[38:39], v[18:19]
	v_fma_f64 v[54:55], v[28:29], v[38:39], v[16:17]
	global_load_dwordx4 v[16:19], v[48:49], off
	global_load_dwordx4 v[28:31], v[21:22], off
	v_add_u32_e32 v22, 2, v44
	s_waitcnt vmcnt(1)
	v_fma_f64 v[11:12], v[16:17], v[36:37], v[12:13]
	v_fma_f64 v[13:14], v[18:19], v[36:37], v[14:15]
	v_fma_f64 v[48:49], -v[18:19], v[38:39], v[11:12]
	v_fma_f64 v[56:57], v[16:17], v[38:39], v[13:14]
	global_load_dwordx4 v[11:14], v[46:47], off offset:32
	global_load_dwordx4 v[15:18], v[46:47], off offset:48
	global_load_dwordx4 v[36:39], v[50:51], off
	v_fma_f64 v[50:51], v[34:35], v[40:41], v[54:55]
	v_fma_f64 v[45:46], v[32:33], v[40:41], v[52:53]
	s_waitcnt vmcnt(3)
	v_fma_f64 v[47:48], v[28:29], v[40:41], v[48:49]
	v_fma_f64 v[40:41], v[30:31], v[40:41], v[56:57]
	;; [unrolled: 1-line block ×3, first 2 shown]
	v_lshlrev_b64 v[32:33], 4, v[22:23]
	v_fma_f64 v[45:46], -v[34:35], v[42:43], v[45:46]
	v_add_co_u32_e32 v32, vcc, s14, v32
	v_addc_co_u32_e32 v33, vcc, v27, v33, vcc
	v_fma_f64 v[47:48], -v[30:31], v[42:43], v[47:48]
	v_fma_f64 v[52:53], v[28:29], v[42:43], v[40:41]
	global_load_dwordx4 v[28:31], v[32:33], off
	v_add_u32_e32 v22, -3, v20
	v_lshlrev_b64 v[34:35], 4, v[22:23]
	v_add_u32_e32 v22, -2, v20
	v_lshlrev_b64 v[40:41], 4, v[22:23]
	;; [unrolled: 2-line block ×3, first 2 shown]
	v_add_u32_e32 v22, 4, v44
	v_add_co_u32_e32 v42, vcc, s12, v34
	v_addc_co_u32_e32 v43, vcc, v25, v35, vcc
	global_load_dwordx4 v[32:35], v[32:33], off offset:16
	v_add_co_u32_e32 v40, vcc, s12, v40
	v_addc_co_u32_e32 v41, vcc, v25, v41, vcc
	s_waitcnt vmcnt(1)
	v_fma_f64 v[44:45], v[11:12], v[28:29], v[45:46]
	v_fma_f64 v[49:50], v[13:14], v[28:29], v[50:51]
	v_fma_f64 v[44:45], -v[13:14], v[30:31], v[44:45]
	v_fma_f64 v[49:50], v[11:12], v[30:31], v[49:50]
	global_load_dwordx4 v[11:14], v[42:43], off
	s_waitcnt vmcnt(0)
	v_fma_f64 v[46:47], v[11:12], v[28:29], v[47:48]
	global_load_dwordx4 v[40:43], v[40:41], off
	v_fma_f64 v[28:29], v[13:14], v[28:29], v[52:53]
	v_fma_f64 v[46:47], -v[13:14], v[30:31], v[46:47]
	v_add_co_u32_e32 v13, vcc, s12, v54
	v_fma_f64 v[51:52], v[11:12], v[30:31], v[28:29]
	v_fma_f64 v[30:31], v[15:16], v[32:33], v[44:45]
	;; [unrolled: 1-line block ×3, first 2 shown]
	v_lshlrev_b64 v[11:12], 4, v[22:23]
	v_add_u32_e32 v22, -1, v20
	v_addc_co_u32_e32 v14, vcc, v25, v55, vcc
	v_lshlrev_b64 v[28:29], 4, v[22:23]
	v_add_co_u32_e32 v53, vcc, s14, v11
	v_addc_co_u32_e32 v54, vcc, v27, v12, vcc
	v_add_co_u32_e32 v28, vcc, s12, v28
	v_addc_co_u32_e32 v29, vcc, v25, v29, vcc
	global_load_dwordx4 v[11:14], v[13:14], off
	v_fma_f64 v[48:49], -v[17:18], v[34:35], v[30:31]
	v_fma_f64 v[44:45], v[15:16], v[34:35], v[44:45]
	global_load_dwordx4 v[15:18], v[53:54], off
	v_add_u32_e32 v22, -6, v20
	global_load_dwordx4 v[28:31], v[28:29], off
	v_lshlrev_b64 v[21:22], 4, v[22:23]
	v_add_u32_e32 v20, 0xc0, v20
	v_add_co_u32_e32 v21, vcc, s12, v21
	v_addc_co_u32_e32 v22, vcc, v25, v22, vcc
	v_cmp_ge_i32_e32 vcc, v10, v26
	s_or_b64 s[0:1], vcc, s[0:1]
	s_waitcnt vmcnt(3)
	v_fma_f64 v[46:47], v[40:41], v[32:33], v[46:47]
	v_fma_f64 v[32:33], v[42:43], v[32:33], v[51:52]
	v_fma_f64 v[46:47], -v[42:43], v[34:35], v[46:47]
	v_fma_f64 v[50:51], v[40:41], v[34:35], v[32:33]
	global_load_dwordx4 v[32:35], v[53:54], off offset:16
	global_load_dwordx4 v[40:43], v[21:22], off
	s_waitcnt vmcnt(3)
	v_fma_f64 v[21:22], v[11:12], v[15:16], v[48:49]
	v_fma_f64 v[44:45], v[13:14], v[15:16], v[44:45]
	s_waitcnt vmcnt(2)
	v_fma_f64 v[46:47], v[28:29], v[15:16], v[46:47]
	v_fma_f64 v[15:16], v[30:31], v[15:16], v[50:51]
	v_fma_f64 v[13:14], -v[13:14], v[17:18], v[21:22]
	v_fma_f64 v[11:12], v[11:12], v[17:18], v[44:45]
	v_fma_f64 v[21:22], -v[30:31], v[17:18], v[46:47]
	v_fma_f64 v[15:16], v[28:29], v[17:18], v[15:16]
	s_waitcnt vmcnt(1)
	v_fma_f64 v[21:22], v[36:37], v[32:33], v[21:22]
	s_waitcnt vmcnt(0)
	v_fma_f64 v[13:14], v[40:41], v[32:33], v[13:14]
	v_fma_f64 v[11:12], v[42:43], v[32:33], v[11:12]
	;; [unrolled: 1-line block ×3, first 2 shown]
	v_fma_f64 v[18:19], -v[42:43], v[34:35], v[13:14]
	v_fma_f64 v[16:17], v[40:41], v[34:35], v[11:12]
	v_fma_f64 v[12:13], -v[38:39], v[34:35], v[21:22]
	v_fma_f64 v[14:15], v[36:37], v[34:35], v[28:29]
	s_andn2_b64 exec, exec, s[0:1]
	s_cbranch_execnz .LBB250_13
; %bb.14:
	s_or_b64 exec, exec, s[0:1]
.LBB250_15:
	s_or_b64 exec, exec, s[2:3]
.LBB250_16:
	v_mov_b32_dpp v10, v18 row_shr:1 row_mask:0xf bank_mask:0xf
	v_mov_b32_dpp v11, v19 row_shr:1 row_mask:0xf bank_mask:0xf
	v_add_f64 v[10:11], v[18:19], v[10:11]
	v_mov_b32_dpp v18, v16 row_shr:1 row_mask:0xf bank_mask:0xf
	v_mov_b32_dpp v19, v17 row_shr:1 row_mask:0xf bank_mask:0xf
	;; [unrolled: 1-line block ×3, first 2 shown]
	v_add_f64 v[16:17], v[16:17], v[18:19]
	v_mov_b32_dpp v21, v13 row_shr:1 row_mask:0xf bank_mask:0xf
	v_add_f64 v[12:13], v[12:13], v[20:21]
	v_cmp_eq_u32_e32 vcc, 15, v0
	v_mov_b32_dpp v18, v10 row_shr:2 row_mask:0xf bank_mask:0xf
	v_mov_b32_dpp v19, v11 row_shr:2 row_mask:0xf bank_mask:0xf
	v_add_f64 v[10:11], v[10:11], v[18:19]
	v_mov_b32_dpp v18, v14 row_shr:1 row_mask:0xf bank_mask:0xf
	v_mov_b32_dpp v19, v15 row_shr:1 row_mask:0xf bank_mask:0xf
	v_add_f64 v[14:15], v[14:15], v[18:19]
	;; [unrolled: 3-line block ×4, first 2 shown]
	v_mov_b32_dpp v20, v10 row_shr:4 row_mask:0xf bank_mask:0xe
	v_mov_b32_dpp v12, v14 row_shr:2 row_mask:0xf bank_mask:0xf
	;; [unrolled: 1-line block ×3, first 2 shown]
	v_add_f64 v[14:15], v[14:15], v[12:13]
	v_mov_b32_dpp v12, v16 row_shr:4 row_mask:0xf bank_mask:0xe
	v_mov_b32_dpp v13, v17 row_shr:4 row_mask:0xf bank_mask:0xe
	v_add_f64 v[12:13], v[16:17], v[12:13]
	v_mov_b32_dpp v16, v18 row_shr:4 row_mask:0xf bank_mask:0xe
	v_mov_b32_dpp v17, v19 row_shr:4 row_mask:0xf bank_mask:0xe
	v_mov_b32_dpp v21, v11 row_shr:4 row_mask:0xf bank_mask:0xe
	v_add_f64 v[18:19], v[18:19], v[16:17]
	v_mov_b32_dpp v16, v14 row_shr:4 row_mask:0xf bank_mask:0xe
	v_mov_b32_dpp v17, v15 row_shr:4 row_mask:0xf bank_mask:0xe
	v_add_f64 v[10:11], v[10:11], v[20:21]
	v_add_f64 v[14:15], v[14:15], v[16:17]
	v_mov_b32_dpp v16, v12 row_shr:8 row_mask:0xf bank_mask:0xc
	v_mov_b32_dpp v17, v13 row_shr:8 row_mask:0xf bank_mask:0xc
	;; [unrolled: 1-line block ×8, first 2 shown]
	s_and_b64 exec, exec, vcc
	s_cbranch_execz .LBB250_21
; %bb.17:
	v_cmp_eq_f64_e32 vcc, 0, v[5:6]
	v_cmp_eq_f64_e64 s[0:1], 0, v[7:8]
	v_add_f64 v[10:11], v[10:11], v[24:25]
	v_add_f64 v[16:17], v[12:13], v[16:17]
	;; [unrolled: 1-line block ×4, first 2 shown]
	s_load_dwordx2 s[2:3], s[4:5], 0x48
	s_and_b64 s[0:1], vcc, s[0:1]
	s_and_saveexec_b64 s[4:5], s[0:1]
	s_xor_b64 s[0:1], exec, s[4:5]
	s_cbranch_execz .LBB250_19
; %bb.18:
	v_mul_f64 v[5:6], v[16:17], -v[3:4]
	v_mul_f64 v[7:8], v[1:2], v[16:17]
	v_mul_f64 v[16:17], v[14:15], -v[3:4]
	v_mul_f64 v[14:15], v[1:2], v[14:15]
	v_lshlrev_b32_e32 v9, 1, v9
	s_waitcnt lgkmcnt(0)
	v_mov_b32_e32 v18, s3
	v_fma_f64 v[5:6], v[1:2], v[10:11], v[5:6]
	v_fma_f64 v[7:8], v[3:4], v[10:11], v[7:8]
	;; [unrolled: 1-line block ×4, first 2 shown]
	v_ashrrev_i32_e32 v10, 31, v9
	v_lshlrev_b64 v[9:10], 4, v[9:10]
                                        ; implicit-def: $vgpr16_vgpr17
                                        ; implicit-def: $vgpr12_vgpr13
                                        ; implicit-def: $vgpr14_vgpr15
	v_add_co_u32_e32 v9, vcc, s2, v9
	v_addc_co_u32_e32 v10, vcc, v18, v10, vcc
	global_store_dwordx4 v[9:10], v[5:8], off
	global_store_dwordx4 v[9:10], v[0:3], off offset:16
                                        ; implicit-def: $vgpr9
                                        ; implicit-def: $vgpr10_vgpr11
                                        ; implicit-def: $vgpr7_vgpr8
                                        ; implicit-def: $vgpr3_vgpr4
.LBB250_19:
	s_andn2_saveexec_b64 s[0:1], s[0:1]
	s_cbranch_execz .LBB250_21
; %bb.20:
	v_lshlrev_b32_e32 v18, 1, v9
	v_ashrrev_i32_e32 v19, 31, v18
	v_lshlrev_b64 v[18:19], 4, v[18:19]
	s_waitcnt lgkmcnt(0)
	v_mov_b32_e32 v0, s3
	v_add_co_u32_e32 v26, vcc, s2, v18
	v_addc_co_u32_e32 v27, vcc, v0, v19, vcc
	global_load_dwordx4 v[18:21], v[26:27], off
	global_load_dwordx4 v[22:25], v[26:27], off offset:16
	v_mul_f64 v[28:29], v[16:17], -v[3:4]
	v_mul_f64 v[16:17], v[1:2], v[16:17]
	v_mul_f64 v[30:31], v[14:15], -v[3:4]
	v_mul_f64 v[14:15], v[1:2], v[14:15]
	v_fma_f64 v[28:29], v[1:2], v[10:11], v[28:29]
	v_fma_f64 v[9:10], v[3:4], v[10:11], v[16:17]
	;; [unrolled: 1-line block ×4, first 2 shown]
	s_waitcnt vmcnt(1)
	v_fma_f64 v[11:12], v[5:6], v[18:19], v[28:29]
	v_fma_f64 v[9:10], v[7:8], v[18:19], v[9:10]
	s_waitcnt vmcnt(0)
	v_fma_f64 v[13:14], v[5:6], v[22:23], v[0:1]
	v_fma_f64 v[15:16], v[7:8], v[22:23], v[2:3]
	v_fma_f64 v[0:1], -v[7:8], v[20:21], v[11:12]
	v_fma_f64 v[2:3], v[5:6], v[20:21], v[9:10]
	v_fma_f64 v[7:8], -v[7:8], v[24:25], v[13:14]
	v_fma_f64 v[9:10], v[5:6], v[24:25], v[15:16]
	global_store_dwordx4 v[26:27], v[0:3], off
	global_store_dwordx4 v[26:27], v[7:10], off offset:16
.LBB250_21:
	s_endpgm
	.section	.rodata,"a",@progbits
	.p2align	6, 0x0
	.amdhsa_kernel _ZN9rocsparseL19gebsrmvn_2xn_kernelILj128ELj6ELj16E21rocsparse_complex_numIdEEEvi20rocsparse_direction_NS_24const_host_device_scalarIT2_EEPKiS8_PKS5_SA_S6_PS5_21rocsparse_index_base_b
		.amdhsa_group_segment_fixed_size 0
		.amdhsa_private_segment_fixed_size 0
		.amdhsa_kernarg_size 88
		.amdhsa_user_sgpr_count 6
		.amdhsa_user_sgpr_private_segment_buffer 1
		.amdhsa_user_sgpr_dispatch_ptr 0
		.amdhsa_user_sgpr_queue_ptr 0
		.amdhsa_user_sgpr_kernarg_segment_ptr 1
		.amdhsa_user_sgpr_dispatch_id 0
		.amdhsa_user_sgpr_flat_scratch_init 0
		.amdhsa_user_sgpr_private_segment_size 0
		.amdhsa_uses_dynamic_stack 0
		.amdhsa_system_sgpr_private_segment_wavefront_offset 0
		.amdhsa_system_sgpr_workgroup_id_x 1
		.amdhsa_system_sgpr_workgroup_id_y 0
		.amdhsa_system_sgpr_workgroup_id_z 0
		.amdhsa_system_sgpr_workgroup_info 0
		.amdhsa_system_vgpr_workitem_id 0
		.amdhsa_next_free_vgpr 58
		.amdhsa_next_free_sgpr 20
		.amdhsa_reserve_vcc 1
		.amdhsa_reserve_flat_scratch 0
		.amdhsa_float_round_mode_32 0
		.amdhsa_float_round_mode_16_64 0
		.amdhsa_float_denorm_mode_32 3
		.amdhsa_float_denorm_mode_16_64 3
		.amdhsa_dx10_clamp 1
		.amdhsa_ieee_mode 1
		.amdhsa_fp16_overflow 0
		.amdhsa_exception_fp_ieee_invalid_op 0
		.amdhsa_exception_fp_denorm_src 0
		.amdhsa_exception_fp_ieee_div_zero 0
		.amdhsa_exception_fp_ieee_overflow 0
		.amdhsa_exception_fp_ieee_underflow 0
		.amdhsa_exception_fp_ieee_inexact 0
		.amdhsa_exception_int_div_zero 0
	.end_amdhsa_kernel
	.section	.text._ZN9rocsparseL19gebsrmvn_2xn_kernelILj128ELj6ELj16E21rocsparse_complex_numIdEEEvi20rocsparse_direction_NS_24const_host_device_scalarIT2_EEPKiS8_PKS5_SA_S6_PS5_21rocsparse_index_base_b,"axG",@progbits,_ZN9rocsparseL19gebsrmvn_2xn_kernelILj128ELj6ELj16E21rocsparse_complex_numIdEEEvi20rocsparse_direction_NS_24const_host_device_scalarIT2_EEPKiS8_PKS5_SA_S6_PS5_21rocsparse_index_base_b,comdat
.Lfunc_end250:
	.size	_ZN9rocsparseL19gebsrmvn_2xn_kernelILj128ELj6ELj16E21rocsparse_complex_numIdEEEvi20rocsparse_direction_NS_24const_host_device_scalarIT2_EEPKiS8_PKS5_SA_S6_PS5_21rocsparse_index_base_b, .Lfunc_end250-_ZN9rocsparseL19gebsrmvn_2xn_kernelILj128ELj6ELj16E21rocsparse_complex_numIdEEEvi20rocsparse_direction_NS_24const_host_device_scalarIT2_EEPKiS8_PKS5_SA_S6_PS5_21rocsparse_index_base_b
                                        ; -- End function
	.set _ZN9rocsparseL19gebsrmvn_2xn_kernelILj128ELj6ELj16E21rocsparse_complex_numIdEEEvi20rocsparse_direction_NS_24const_host_device_scalarIT2_EEPKiS8_PKS5_SA_S6_PS5_21rocsparse_index_base_b.num_vgpr, 58
	.set _ZN9rocsparseL19gebsrmvn_2xn_kernelILj128ELj6ELj16E21rocsparse_complex_numIdEEEvi20rocsparse_direction_NS_24const_host_device_scalarIT2_EEPKiS8_PKS5_SA_S6_PS5_21rocsparse_index_base_b.num_agpr, 0
	.set _ZN9rocsparseL19gebsrmvn_2xn_kernelILj128ELj6ELj16E21rocsparse_complex_numIdEEEvi20rocsparse_direction_NS_24const_host_device_scalarIT2_EEPKiS8_PKS5_SA_S6_PS5_21rocsparse_index_base_b.numbered_sgpr, 20
	.set _ZN9rocsparseL19gebsrmvn_2xn_kernelILj128ELj6ELj16E21rocsparse_complex_numIdEEEvi20rocsparse_direction_NS_24const_host_device_scalarIT2_EEPKiS8_PKS5_SA_S6_PS5_21rocsparse_index_base_b.num_named_barrier, 0
	.set _ZN9rocsparseL19gebsrmvn_2xn_kernelILj128ELj6ELj16E21rocsparse_complex_numIdEEEvi20rocsparse_direction_NS_24const_host_device_scalarIT2_EEPKiS8_PKS5_SA_S6_PS5_21rocsparse_index_base_b.private_seg_size, 0
	.set _ZN9rocsparseL19gebsrmvn_2xn_kernelILj128ELj6ELj16E21rocsparse_complex_numIdEEEvi20rocsparse_direction_NS_24const_host_device_scalarIT2_EEPKiS8_PKS5_SA_S6_PS5_21rocsparse_index_base_b.uses_vcc, 1
	.set _ZN9rocsparseL19gebsrmvn_2xn_kernelILj128ELj6ELj16E21rocsparse_complex_numIdEEEvi20rocsparse_direction_NS_24const_host_device_scalarIT2_EEPKiS8_PKS5_SA_S6_PS5_21rocsparse_index_base_b.uses_flat_scratch, 0
	.set _ZN9rocsparseL19gebsrmvn_2xn_kernelILj128ELj6ELj16E21rocsparse_complex_numIdEEEvi20rocsparse_direction_NS_24const_host_device_scalarIT2_EEPKiS8_PKS5_SA_S6_PS5_21rocsparse_index_base_b.has_dyn_sized_stack, 0
	.set _ZN9rocsparseL19gebsrmvn_2xn_kernelILj128ELj6ELj16E21rocsparse_complex_numIdEEEvi20rocsparse_direction_NS_24const_host_device_scalarIT2_EEPKiS8_PKS5_SA_S6_PS5_21rocsparse_index_base_b.has_recursion, 0
	.set _ZN9rocsparseL19gebsrmvn_2xn_kernelILj128ELj6ELj16E21rocsparse_complex_numIdEEEvi20rocsparse_direction_NS_24const_host_device_scalarIT2_EEPKiS8_PKS5_SA_S6_PS5_21rocsparse_index_base_b.has_indirect_call, 0
	.section	.AMDGPU.csdata,"",@progbits
; Kernel info:
; codeLenInByte = 2952
; TotalNumSgprs: 24
; NumVgprs: 58
; ScratchSize: 0
; MemoryBound: 0
; FloatMode: 240
; IeeeMode: 1
; LDSByteSize: 0 bytes/workgroup (compile time only)
; SGPRBlocks: 2
; VGPRBlocks: 14
; NumSGPRsForWavesPerEU: 24
; NumVGPRsForWavesPerEU: 58
; Occupancy: 4
; WaveLimiterHint : 1
; COMPUTE_PGM_RSRC2:SCRATCH_EN: 0
; COMPUTE_PGM_RSRC2:USER_SGPR: 6
; COMPUTE_PGM_RSRC2:TRAP_HANDLER: 0
; COMPUTE_PGM_RSRC2:TGID_X_EN: 1
; COMPUTE_PGM_RSRC2:TGID_Y_EN: 0
; COMPUTE_PGM_RSRC2:TGID_Z_EN: 0
; COMPUTE_PGM_RSRC2:TIDIG_COMP_CNT: 0
	.section	.text._ZN9rocsparseL19gebsrmvn_2xn_kernelILj128ELj6ELj32E21rocsparse_complex_numIdEEEvi20rocsparse_direction_NS_24const_host_device_scalarIT2_EEPKiS8_PKS5_SA_S6_PS5_21rocsparse_index_base_b,"axG",@progbits,_ZN9rocsparseL19gebsrmvn_2xn_kernelILj128ELj6ELj32E21rocsparse_complex_numIdEEEvi20rocsparse_direction_NS_24const_host_device_scalarIT2_EEPKiS8_PKS5_SA_S6_PS5_21rocsparse_index_base_b,comdat
	.globl	_ZN9rocsparseL19gebsrmvn_2xn_kernelILj128ELj6ELj32E21rocsparse_complex_numIdEEEvi20rocsparse_direction_NS_24const_host_device_scalarIT2_EEPKiS8_PKS5_SA_S6_PS5_21rocsparse_index_base_b ; -- Begin function _ZN9rocsparseL19gebsrmvn_2xn_kernelILj128ELj6ELj32E21rocsparse_complex_numIdEEEvi20rocsparse_direction_NS_24const_host_device_scalarIT2_EEPKiS8_PKS5_SA_S6_PS5_21rocsparse_index_base_b
	.p2align	8
	.type	_ZN9rocsparseL19gebsrmvn_2xn_kernelILj128ELj6ELj32E21rocsparse_complex_numIdEEEvi20rocsparse_direction_NS_24const_host_device_scalarIT2_EEPKiS8_PKS5_SA_S6_PS5_21rocsparse_index_base_b,@function
_ZN9rocsparseL19gebsrmvn_2xn_kernelILj128ELj6ELj32E21rocsparse_complex_numIdEEEvi20rocsparse_direction_NS_24const_host_device_scalarIT2_EEPKiS8_PKS5_SA_S6_PS5_21rocsparse_index_base_b: ; @_ZN9rocsparseL19gebsrmvn_2xn_kernelILj128ELj6ELj32E21rocsparse_complex_numIdEEEvi20rocsparse_direction_NS_24const_host_device_scalarIT2_EEPKiS8_PKS5_SA_S6_PS5_21rocsparse_index_base_b
; %bb.0:
	s_load_dwordx2 s[0:1], s[4:5], 0x8
	s_load_dwordx2 s[2:3], s[4:5], 0x38
	;; [unrolled: 1-line block ×3, first 2 shown]
	s_add_u32 s7, s4, 8
	s_addc_u32 s8, s5, 0
	s_add_u32 s9, s4, 56
	s_addc_u32 s10, s5, 0
	s_waitcnt lgkmcnt(0)
	s_bitcmp1_b32 s17, 0
	s_cselect_b32 s1, s8, s1
	s_cselect_b32 s0, s7, s0
	v_mov_b32_e32 v1, s0
	v_mov_b32_e32 v2, s1
	flat_load_dwordx4 v[1:4], v[1:2]
	s_cselect_b32 s0, s10, s3
	s_cselect_b32 s1, s9, s2
	v_mov_b32_e32 v5, s1
	v_mov_b32_e32 v6, s0
	flat_load_dwordx4 v[5:8], v[5:6]
	s_waitcnt vmcnt(0) lgkmcnt(0)
	v_cmp_eq_f64_e32 vcc, 0, v[1:2]
	v_cmp_eq_f64_e64 s[0:1], 0, v[3:4]
	s_and_b64 s[8:9], vcc, s[0:1]
	s_mov_b64 s[0:1], -1
	s_and_saveexec_b64 s[2:3], s[8:9]
	s_cbranch_execz .LBB251_2
; %bb.1:
	v_cmp_neq_f64_e32 vcc, 1.0, v[5:6]
	v_cmp_neq_f64_e64 s[0:1], 0, v[7:8]
	s_or_b64 s[0:1], vcc, s[0:1]
	s_orn2_b64 s[0:1], s[0:1], exec
.LBB251_2:
	s_or_b64 exec, exec, s[2:3]
	s_and_saveexec_b64 s[2:3], s[0:1]
	s_cbranch_execz .LBB251_21
; %bb.3:
	s_load_dwordx2 s[0:1], s[4:5], 0x0
	v_lshrrev_b32_e32 v9, 5, v0
	v_lshl_or_b32 v9, s6, 2, v9
	s_waitcnt lgkmcnt(0)
	v_cmp_gt_i32_e32 vcc, s0, v9
	s_and_b64 exec, exec, vcc
	s_cbranch_execz .LBB251_21
; %bb.4:
	s_load_dwordx8 s[8:15], s[4:5], 0x18
	v_ashrrev_i32_e32 v10, 31, v9
	v_lshlrev_b64 v[10:11], 2, v[9:10]
	v_and_b32_e32 v0, 31, v0
	s_cmp_lg_u32 s1, 0
	s_waitcnt lgkmcnt(0)
	v_mov_b32_e32 v12, s9
	v_add_co_u32_e32 v10, vcc, s8, v10
	v_addc_co_u32_e32 v11, vcc, v12, v11, vcc
	global_load_dwordx2 v[10:11], v[10:11], off
	s_waitcnt vmcnt(0)
	v_subrev_u32_e32 v10, s16, v10
	v_subrev_u32_e32 v26, s16, v11
	v_add_u32_e32 v10, v10, v0
	v_cmp_lt_i32_e64 s[0:1], v10, v26
	s_cbranch_scc0 .LBB251_10
; %bb.5:
	v_mov_b32_e32 v16, 0
	v_mov_b32_e32 v18, 0
	;; [unrolled: 1-line block ×8, first 2 shown]
	s_and_saveexec_b64 s[8:9], s[0:1]
	s_cbranch_execz .LBB251_9
; %bb.6:
	v_mad_u64_u32 v[20:21], s[2:3], v10, 12, 10
	v_mov_b32_e32 v16, 0
	v_mov_b32_e32 v18, 0
	;; [unrolled: 1-line block ×5, first 2 shown]
	s_mov_b64 s[18:19], 0
	v_mov_b32_e32 v11, s11
	v_mov_b32_e32 v23, 0
	;; [unrolled: 1-line block ×8, first 2 shown]
.LBB251_7:                              ; =>This Inner Loop Header: Depth=1
	v_ashrrev_i32_e32 v25, 31, v24
	v_add_u32_e32 v22, -10, v20
	v_lshlrev_b64 v[29:30], 2, v[24:25]
	v_lshlrev_b64 v[31:32], 4, v[22:23]
	v_add_co_u32_e32 v35, vcc, s10, v29
	v_add_co_u32_e64 v39, s[2:3], s12, v31
	v_addc_co_u32_e32 v36, vcc, v11, v30, vcc
	v_addc_co_u32_e64 v40, vcc, v27, v32, s[2:3]
	global_load_dword v25, v[35:36], off
	global_load_dwordx4 v[29:32], v[39:40], off
	v_mov_b32_e32 v21, v23
	v_lshlrev_b64 v[33:34], 4, v[20:21]
	v_mov_b32_e32 v38, v23
	v_add_co_u32_e64 v41, s[6:7], s12, v33
	v_addc_co_u32_e64 v42, vcc, v27, v34, s[6:7]
	v_add_u32_e32 v22, -6, v20
	v_lshlrev_b64 v[21:22], 4, v[22:23]
	v_add_u32_e32 v24, 32, v24
	s_waitcnt vmcnt(1)
	v_subrev_u32_e32 v25, s16, v25
	v_mul_lo_u32 v37, v25, 6
	v_lshlrev_b64 v[33:34], 4, v[37:38]
	v_add_co_u32_e32 v43, vcc, s14, v33
	v_addc_co_u32_e32 v44, vcc, v28, v34, vcc
	global_load_dwordx4 v[33:36], v[43:44], off
	v_add_co_u32_e32 v21, vcc, s12, v21
	v_addc_co_u32_e32 v22, vcc, v27, v22, vcc
	s_waitcnt vmcnt(0)
	v_fma_f64 v[18:19], v[29:30], v[33:34], v[18:19]
	v_fma_f64 v[16:17], v[31:32], v[33:34], v[16:17]
	v_fma_f64 v[45:46], -v[31:32], v[35:36], v[18:19]
	v_fma_f64 v[47:48], v[29:30], v[35:36], v[16:17]
	global_load_dwordx4 v[16:19], v[39:40], off offset:16
	s_waitcnt vmcnt(0)
	v_fma_f64 v[12:13], v[16:17], v[33:34], v[12:13]
	v_fma_f64 v[14:15], v[18:19], v[33:34], v[14:15]
	v_fma_f64 v[33:34], -v[18:19], v[35:36], v[12:13]
	v_fma_f64 v[35:36], v[16:17], v[35:36], v[14:15]
	global_load_dwordx4 v[12:15], v[39:40], off offset:48
	global_load_dwordx4 v[16:19], v[39:40], off offset:32
	;; [unrolled: 1-line block ×3, first 2 shown]
	s_waitcnt vmcnt(0)
	v_fma_f64 v[38:39], v[16:17], v[29:30], v[45:46]
	v_fma_f64 v[43:44], v[18:19], v[29:30], v[47:48]
	;; [unrolled: 1-line block ×4, first 2 shown]
	v_fma_f64 v[38:39], -v[18:19], v[31:32], v[38:39]
	v_fma_f64 v[43:44], v[16:17], v[31:32], v[43:44]
	global_load_dwordx4 v[16:19], v[21:22], off offset:16
	v_fma_f64 v[33:34], -v[14:15], v[31:32], v[33:34]
	v_fma_f64 v[35:36], v[12:13], v[31:32], v[29:30]
	global_load_dwordx4 v[12:15], v[21:22], off
	v_add_u32_e32 v22, 2, v37
	v_lshlrev_b64 v[29:30], 4, v[22:23]
	v_add_u32_e32 v22, -4, v20
	v_add_co_u32_e32 v45, vcc, s14, v29
	v_addc_co_u32_e32 v46, vcc, v28, v30, vcc
	global_load_dwordx4 v[29:32], v[45:46], off
	v_lshlrev_b64 v[47:48], 4, v[22:23]
	v_add_u32_e32 v22, -2, v20
	v_lshlrev_b64 v[49:50], 4, v[22:23]
	v_add_u32_e32 v22, 4, v37
	v_add_co_u32_e32 v21, vcc, s12, v47
	v_lshlrev_b64 v[51:52], 4, v[22:23]
	v_addc_co_u32_e32 v22, vcc, v27, v48, vcc
	v_add_u32_e32 v20, 0x180, v20
	s_waitcnt vmcnt(0)
	v_fma_f64 v[38:39], v[12:13], v[29:30], v[38:39]
	v_fma_f64 v[43:44], v[14:15], v[29:30], v[43:44]
	v_fma_f64 v[38:39], -v[14:15], v[31:32], v[38:39]
	v_fma_f64 v[43:44], v[12:13], v[31:32], v[43:44]
	v_fma_f64 v[12:13], v[16:17], v[29:30], v[33:34]
	;; [unrolled: 1-line block ×3, first 2 shown]
	v_fma_f64 v[33:34], -v[18:19], v[31:32], v[12:13]
	v_fma_f64 v[35:36], v[16:17], v[31:32], v[14:15]
	global_load_dwordx4 v[12:15], v[45:46], off offset:16
	global_load_dwordx4 v[16:19], v[21:22], off
	global_load_dwordx4 v[29:32], v[21:22], off offset:16
	v_add_co_u32_e32 v45, vcc, s12, v49
	v_addc_co_u32_e32 v46, vcc, v27, v50, vcc
	s_waitcnt vmcnt(1)
	v_fma_f64 v[21:22], v[16:17], v[12:13], v[38:39]
	v_fma_f64 v[37:38], v[18:19], v[12:13], v[43:44]
	v_add_co_u32_e32 v39, vcc, s14, v51
	v_addc_co_u32_e32 v40, vcc, v28, v52, vcc
	v_cmp_ge_i32_e32 vcc, v24, v26
	s_or_b64 s[18:19], vcc, s[18:19]
	v_fma_f64 v[21:22], -v[18:19], v[14:15], v[21:22]
	v_fma_f64 v[37:38], v[16:17], v[14:15], v[37:38]
	s_waitcnt vmcnt(0)
	v_fma_f64 v[16:17], v[29:30], v[12:13], v[33:34]
	v_fma_f64 v[12:13], v[31:32], v[12:13], v[35:36]
	v_fma_f64 v[43:44], -v[31:32], v[14:15], v[16:17]
	v_fma_f64 v[47:48], v[29:30], v[14:15], v[12:13]
	global_load_dwordx4 v[12:15], v[45:46], off offset:16
	global_load_dwordx4 v[16:19], v[45:46], off
	global_load_dwordx4 v[29:32], v[39:40], off
	s_waitcnt vmcnt(0)
	v_fma_f64 v[21:22], v[16:17], v[29:30], v[21:22]
	v_fma_f64 v[33:34], v[18:19], v[29:30], v[37:38]
	v_fma_f64 v[21:22], -v[18:19], v[31:32], v[21:22]
	v_fma_f64 v[37:38], v[16:17], v[31:32], v[33:34]
	global_load_dwordx4 v[16:19], v[41:42], off
	global_load_dwordx4 v[33:36], v[41:42], off offset:16
	v_fma_f64 v[41:42], v[12:13], v[29:30], v[43:44]
	v_fma_f64 v[29:30], v[14:15], v[29:30], v[47:48]
	v_fma_f64 v[41:42], -v[14:15], v[31:32], v[41:42]
	v_fma_f64 v[29:30], v[12:13], v[31:32], v[29:30]
	global_load_dwordx4 v[12:15], v[39:40], off offset:16
	s_waitcnt vmcnt(0)
	v_fma_f64 v[21:22], v[16:17], v[12:13], v[21:22]
	v_fma_f64 v[31:32], v[18:19], v[12:13], v[37:38]
	;; [unrolled: 1-line block ×4, first 2 shown]
	v_fma_f64 v[18:19], -v[18:19], v[14:15], v[21:22]
	v_fma_f64 v[16:17], v[16:17], v[14:15], v[31:32]
	v_fma_f64 v[12:13], -v[35:36], v[14:15], v[37:38]
	v_fma_f64 v[14:15], v[33:34], v[14:15], v[29:30]
	s_andn2_b64 exec, exec, s[18:19]
	s_cbranch_execnz .LBB251_7
; %bb.8:
	s_or_b64 exec, exec, s[18:19]
.LBB251_9:
	s_or_b64 exec, exec, s[8:9]
	s_cbranch_execz .LBB251_11
	s_branch .LBB251_16
.LBB251_10:
                                        ; implicit-def: $vgpr16_vgpr17
                                        ; implicit-def: $vgpr18_vgpr19
                                        ; implicit-def: $vgpr12_vgpr13
                                        ; implicit-def: $vgpr14_vgpr15
.LBB251_11:
	v_mov_b32_e32 v16, 0
	v_mov_b32_e32 v18, 0
	;; [unrolled: 1-line block ×8, first 2 shown]
	s_and_saveexec_b64 s[2:3], s[0:1]
	s_cbranch_execz .LBB251_15
; %bb.12:
	v_mad_u64_u32 v[20:21], s[0:1], v10, 12, 11
	v_mov_b32_e32 v16, 0
	v_mov_b32_e32 v18, 0
	;; [unrolled: 1-line block ×5, first 2 shown]
	s_mov_b64 s[0:1], 0
	v_mov_b32_e32 v24, s11
	v_mov_b32_e32 v23, 0
	;; [unrolled: 1-line block ×7, first 2 shown]
.LBB251_13:                             ; =>This Inner Loop Header: Depth=1
	v_ashrrev_i32_e32 v11, 31, v10
	v_lshlrev_b64 v[30:31], 2, v[10:11]
	v_add_u32_e32 v22, -11, v20
	v_lshlrev_b64 v[32:33], 4, v[22:23]
	v_add_co_u32_e32 v36, vcc, s10, v30
	v_add_u32_e32 v28, -5, v20
	v_mov_b32_e32 v29, v23
	v_addc_co_u32_e32 v37, vcc, v24, v31, vcc
	v_lshlrev_b64 v[28:29], 4, v[28:29]
	v_add_co_u32_e32 v46, vcc, s12, v32
	v_mov_b32_e32 v21, v23
	v_addc_co_u32_e32 v47, vcc, v25, v33, vcc
	v_lshlrev_b64 v[34:35], 4, v[20:21]
	v_add_co_u32_e32 v48, vcc, s12, v28
	v_addc_co_u32_e32 v49, vcc, v25, v29, vcc
	v_add_co_u32_e32 v50, vcc, s12, v34
	v_addc_co_u32_e32 v51, vcc, v25, v35, vcc
	global_load_dword v11, v[36:37], off
	global_load_dwordx4 v[28:31], v[46:47], off
	global_load_dwordx4 v[32:35], v[46:47], off offset:16
	v_mov_b32_e32 v45, v23
	v_add_u32_e32 v22, -4, v20
	v_lshlrev_b64 v[21:22], 4, v[22:23]
	v_add_u32_e32 v10, 32, v10
	s_waitcnt vmcnt(2)
	v_subrev_u32_e32 v11, s16, v11
	v_mul_lo_u32 v44, v11, 6
	v_lshlrev_b64 v[36:37], 4, v[44:45]
	v_add_co_u32_e32 v52, vcc, s14, v36
	v_addc_co_u32_e32 v53, vcc, v27, v37, vcc
	global_load_dwordx4 v[36:39], v[52:53], off
	global_load_dwordx4 v[40:43], v[52:53], off offset:16
	v_add_co_u32_e32 v21, vcc, s12, v21
	v_addc_co_u32_e32 v22, vcc, v25, v22, vcc
	s_waitcnt vmcnt(1)
	v_fma_f64 v[18:19], v[28:29], v[36:37], v[18:19]
	v_fma_f64 v[16:17], v[30:31], v[36:37], v[16:17]
	v_fma_f64 v[52:53], -v[30:31], v[38:39], v[18:19]
	v_fma_f64 v[54:55], v[28:29], v[38:39], v[16:17]
	global_load_dwordx4 v[16:19], v[48:49], off
	global_load_dwordx4 v[28:31], v[21:22], off
	v_add_u32_e32 v22, 2, v44
	s_waitcnt vmcnt(1)
	v_fma_f64 v[11:12], v[16:17], v[36:37], v[12:13]
	v_fma_f64 v[13:14], v[18:19], v[36:37], v[14:15]
	v_fma_f64 v[48:49], -v[18:19], v[38:39], v[11:12]
	v_fma_f64 v[56:57], v[16:17], v[38:39], v[13:14]
	global_load_dwordx4 v[11:14], v[46:47], off offset:32
	global_load_dwordx4 v[15:18], v[46:47], off offset:48
	global_load_dwordx4 v[36:39], v[50:51], off
	v_fma_f64 v[50:51], v[34:35], v[40:41], v[54:55]
	v_fma_f64 v[45:46], v[32:33], v[40:41], v[52:53]
	s_waitcnt vmcnt(3)
	v_fma_f64 v[47:48], v[28:29], v[40:41], v[48:49]
	v_fma_f64 v[40:41], v[30:31], v[40:41], v[56:57]
	v_fma_f64 v[50:51], v[32:33], v[42:43], v[50:51]
	v_lshlrev_b64 v[32:33], 4, v[22:23]
	v_fma_f64 v[45:46], -v[34:35], v[42:43], v[45:46]
	v_add_co_u32_e32 v32, vcc, s14, v32
	v_addc_co_u32_e32 v33, vcc, v27, v33, vcc
	v_fma_f64 v[47:48], -v[30:31], v[42:43], v[47:48]
	v_fma_f64 v[52:53], v[28:29], v[42:43], v[40:41]
	global_load_dwordx4 v[28:31], v[32:33], off
	v_add_u32_e32 v22, -3, v20
	v_lshlrev_b64 v[34:35], 4, v[22:23]
	v_add_u32_e32 v22, -2, v20
	v_lshlrev_b64 v[40:41], 4, v[22:23]
	;; [unrolled: 2-line block ×3, first 2 shown]
	v_add_u32_e32 v22, 4, v44
	v_add_co_u32_e32 v42, vcc, s12, v34
	v_addc_co_u32_e32 v43, vcc, v25, v35, vcc
	global_load_dwordx4 v[32:35], v[32:33], off offset:16
	v_add_co_u32_e32 v40, vcc, s12, v40
	v_addc_co_u32_e32 v41, vcc, v25, v41, vcc
	s_waitcnt vmcnt(1)
	v_fma_f64 v[44:45], v[11:12], v[28:29], v[45:46]
	v_fma_f64 v[49:50], v[13:14], v[28:29], v[50:51]
	v_fma_f64 v[44:45], -v[13:14], v[30:31], v[44:45]
	v_fma_f64 v[49:50], v[11:12], v[30:31], v[49:50]
	global_load_dwordx4 v[11:14], v[42:43], off
	s_waitcnt vmcnt(0)
	v_fma_f64 v[46:47], v[11:12], v[28:29], v[47:48]
	global_load_dwordx4 v[40:43], v[40:41], off
	v_fma_f64 v[28:29], v[13:14], v[28:29], v[52:53]
	v_fma_f64 v[46:47], -v[13:14], v[30:31], v[46:47]
	v_add_co_u32_e32 v13, vcc, s12, v54
	v_fma_f64 v[51:52], v[11:12], v[30:31], v[28:29]
	v_fma_f64 v[30:31], v[15:16], v[32:33], v[44:45]
	;; [unrolled: 1-line block ×3, first 2 shown]
	v_lshlrev_b64 v[11:12], 4, v[22:23]
	v_add_u32_e32 v22, -1, v20
	v_addc_co_u32_e32 v14, vcc, v25, v55, vcc
	v_lshlrev_b64 v[28:29], 4, v[22:23]
	v_add_co_u32_e32 v53, vcc, s14, v11
	v_addc_co_u32_e32 v54, vcc, v27, v12, vcc
	v_add_co_u32_e32 v28, vcc, s12, v28
	v_addc_co_u32_e32 v29, vcc, v25, v29, vcc
	global_load_dwordx4 v[11:14], v[13:14], off
	v_fma_f64 v[48:49], -v[17:18], v[34:35], v[30:31]
	v_fma_f64 v[44:45], v[15:16], v[34:35], v[44:45]
	global_load_dwordx4 v[15:18], v[53:54], off
	v_add_u32_e32 v22, -6, v20
	global_load_dwordx4 v[28:31], v[28:29], off
	v_lshlrev_b64 v[21:22], 4, v[22:23]
	v_add_u32_e32 v20, 0x180, v20
	v_add_co_u32_e32 v21, vcc, s12, v21
	v_addc_co_u32_e32 v22, vcc, v25, v22, vcc
	v_cmp_ge_i32_e32 vcc, v10, v26
	s_or_b64 s[0:1], vcc, s[0:1]
	s_waitcnt vmcnt(3)
	v_fma_f64 v[46:47], v[40:41], v[32:33], v[46:47]
	v_fma_f64 v[32:33], v[42:43], v[32:33], v[51:52]
	v_fma_f64 v[46:47], -v[42:43], v[34:35], v[46:47]
	v_fma_f64 v[50:51], v[40:41], v[34:35], v[32:33]
	global_load_dwordx4 v[32:35], v[53:54], off offset:16
	global_load_dwordx4 v[40:43], v[21:22], off
	s_waitcnt vmcnt(3)
	v_fma_f64 v[21:22], v[11:12], v[15:16], v[48:49]
	v_fma_f64 v[44:45], v[13:14], v[15:16], v[44:45]
	s_waitcnt vmcnt(2)
	v_fma_f64 v[46:47], v[28:29], v[15:16], v[46:47]
	v_fma_f64 v[15:16], v[30:31], v[15:16], v[50:51]
	v_fma_f64 v[13:14], -v[13:14], v[17:18], v[21:22]
	v_fma_f64 v[11:12], v[11:12], v[17:18], v[44:45]
	v_fma_f64 v[21:22], -v[30:31], v[17:18], v[46:47]
	v_fma_f64 v[15:16], v[28:29], v[17:18], v[15:16]
	s_waitcnt vmcnt(1)
	v_fma_f64 v[21:22], v[36:37], v[32:33], v[21:22]
	s_waitcnt vmcnt(0)
	v_fma_f64 v[13:14], v[40:41], v[32:33], v[13:14]
	v_fma_f64 v[11:12], v[42:43], v[32:33], v[11:12]
	;; [unrolled: 1-line block ×3, first 2 shown]
	v_fma_f64 v[18:19], -v[42:43], v[34:35], v[13:14]
	v_fma_f64 v[16:17], v[40:41], v[34:35], v[11:12]
	v_fma_f64 v[12:13], -v[38:39], v[34:35], v[21:22]
	v_fma_f64 v[14:15], v[36:37], v[34:35], v[28:29]
	s_andn2_b64 exec, exec, s[0:1]
	s_cbranch_execnz .LBB251_13
; %bb.14:
	s_or_b64 exec, exec, s[0:1]
.LBB251_15:
	s_or_b64 exec, exec, s[2:3]
.LBB251_16:
	v_mov_b32_dpp v10, v18 row_shr:1 row_mask:0xf bank_mask:0xf
	v_mov_b32_dpp v11, v19 row_shr:1 row_mask:0xf bank_mask:0xf
	v_add_f64 v[10:11], v[18:19], v[10:11]
	v_mov_b32_dpp v18, v16 row_shr:1 row_mask:0xf bank_mask:0xf
	v_mov_b32_dpp v19, v17 row_shr:1 row_mask:0xf bank_mask:0xf
	v_add_f64 v[16:17], v[16:17], v[18:19]
	;; [unrolled: 3-line block ×3, first 2 shown]
	v_cmp_eq_u32_e32 vcc, 31, v0
	v_mov_b32_dpp v18, v10 row_shr:2 row_mask:0xf bank_mask:0xf
	v_mov_b32_dpp v19, v11 row_shr:2 row_mask:0xf bank_mask:0xf
	v_add_f64 v[10:11], v[10:11], v[18:19]
	v_mov_b32_dpp v18, v14 row_shr:1 row_mask:0xf bank_mask:0xf
	v_mov_b32_dpp v19, v15 row_shr:1 row_mask:0xf bank_mask:0xf
	v_add_f64 v[14:15], v[14:15], v[18:19]
	v_mov_b32_dpp v18, v16 row_shr:2 row_mask:0xf bank_mask:0xf
	v_mov_b32_dpp v19, v17 row_shr:2 row_mask:0xf bank_mask:0xf
	v_add_f64 v[16:17], v[16:17], v[18:19]
	v_mov_b32_dpp v20, v10 row_shr:4 row_mask:0xf bank_mask:0xe
	v_mov_b32_dpp v21, v11 row_shr:4 row_mask:0xf bank_mask:0xe
	v_add_f64 v[10:11], v[10:11], v[20:21]
	v_mov_b32_dpp v20, v12 row_shr:2 row_mask:0xf bank_mask:0xf
	v_mov_b32_dpp v21, v13 row_shr:2 row_mask:0xf bank_mask:0xf
	v_mov_b32_dpp v18, v14 row_shr:2 row_mask:0xf bank_mask:0xf
	v_add_f64 v[12:13], v[12:13], v[20:21]
	v_mov_b32_dpp v19, v15 row_shr:2 row_mask:0xf bank_mask:0xf
	v_add_f64 v[14:15], v[14:15], v[18:19]
	v_mov_b32_dpp v20, v16 row_shr:4 row_mask:0xf bank_mask:0xe
	v_mov_b32_dpp v21, v17 row_shr:4 row_mask:0xf bank_mask:0xe
	v_add_f64 v[16:17], v[16:17], v[20:21]
	v_mov_b32_dpp v18, v10 row_shr:8 row_mask:0xf bank_mask:0xc
	v_mov_b32_dpp v19, v11 row_shr:8 row_mask:0xf bank_mask:0xc
	;; [unrolled: 1-line block ×4, first 2 shown]
	v_add_f64 v[20:21], v[12:13], v[20:21]
	v_mov_b32_dpp v12, v14 row_shr:4 row_mask:0xf bank_mask:0xe
	v_mov_b32_dpp v13, v15 row_shr:4 row_mask:0xf bank_mask:0xe
	v_add_f64 v[14:15], v[14:15], v[12:13]
	v_mov_b32_dpp v12, v16 row_shr:8 row_mask:0xf bank_mask:0xc
	v_mov_b32_dpp v13, v17 row_shr:8 row_mask:0xf bank_mask:0xc
	v_add_f64 v[12:13], v[16:17], v[12:13]
	v_add_f64 v[10:11], v[10:11], v[18:19]
	v_mov_b32_dpp v16, v20 row_shr:8 row_mask:0xf bank_mask:0xc
	v_mov_b32_dpp v17, v21 row_shr:8 row_mask:0xf bank_mask:0xc
	v_add_f64 v[18:19], v[20:21], v[16:17]
	v_mov_b32_dpp v16, v14 row_shr:8 row_mask:0xf bank_mask:0xc
	v_mov_b32_dpp v17, v15 row_shr:8 row_mask:0xf bank_mask:0xc
	v_add_f64 v[14:15], v[14:15], v[16:17]
	v_mov_b32_dpp v16, v12 row_bcast:15 row_mask:0xa bank_mask:0xf
	v_mov_b32_dpp v24, v10 row_bcast:15 row_mask:0xa bank_mask:0xf
	;; [unrolled: 1-line block ×8, first 2 shown]
	s_and_b64 exec, exec, vcc
	s_cbranch_execz .LBB251_21
; %bb.17:
	v_cmp_eq_f64_e32 vcc, 0, v[5:6]
	v_cmp_eq_f64_e64 s[0:1], 0, v[7:8]
	v_add_f64 v[10:11], v[10:11], v[24:25]
	v_add_f64 v[16:17], v[12:13], v[16:17]
	;; [unrolled: 1-line block ×4, first 2 shown]
	s_load_dwordx2 s[2:3], s[4:5], 0x48
	s_and_b64 s[0:1], vcc, s[0:1]
	s_and_saveexec_b64 s[4:5], s[0:1]
	s_xor_b64 s[0:1], exec, s[4:5]
	s_cbranch_execz .LBB251_19
; %bb.18:
	v_mul_f64 v[5:6], v[16:17], -v[3:4]
	v_mul_f64 v[7:8], v[1:2], v[16:17]
	v_mul_f64 v[16:17], v[14:15], -v[3:4]
	v_mul_f64 v[14:15], v[1:2], v[14:15]
	v_lshlrev_b32_e32 v9, 1, v9
	s_waitcnt lgkmcnt(0)
	v_mov_b32_e32 v18, s3
	v_fma_f64 v[5:6], v[1:2], v[10:11], v[5:6]
	v_fma_f64 v[7:8], v[3:4], v[10:11], v[7:8]
	;; [unrolled: 1-line block ×4, first 2 shown]
	v_ashrrev_i32_e32 v10, 31, v9
	v_lshlrev_b64 v[9:10], 4, v[9:10]
                                        ; implicit-def: $vgpr16_vgpr17
                                        ; implicit-def: $vgpr12_vgpr13
                                        ; implicit-def: $vgpr14_vgpr15
	v_add_co_u32_e32 v9, vcc, s2, v9
	v_addc_co_u32_e32 v10, vcc, v18, v10, vcc
	global_store_dwordx4 v[9:10], v[5:8], off
	global_store_dwordx4 v[9:10], v[0:3], off offset:16
                                        ; implicit-def: $vgpr9
                                        ; implicit-def: $vgpr10_vgpr11
                                        ; implicit-def: $vgpr7_vgpr8
                                        ; implicit-def: $vgpr3_vgpr4
.LBB251_19:
	s_andn2_saveexec_b64 s[0:1], s[0:1]
	s_cbranch_execz .LBB251_21
; %bb.20:
	v_lshlrev_b32_e32 v18, 1, v9
	v_ashrrev_i32_e32 v19, 31, v18
	v_lshlrev_b64 v[18:19], 4, v[18:19]
	s_waitcnt lgkmcnt(0)
	v_mov_b32_e32 v0, s3
	v_add_co_u32_e32 v26, vcc, s2, v18
	v_addc_co_u32_e32 v27, vcc, v0, v19, vcc
	global_load_dwordx4 v[18:21], v[26:27], off
	global_load_dwordx4 v[22:25], v[26:27], off offset:16
	v_mul_f64 v[28:29], v[16:17], -v[3:4]
	v_mul_f64 v[16:17], v[1:2], v[16:17]
	v_mul_f64 v[30:31], v[14:15], -v[3:4]
	v_mul_f64 v[14:15], v[1:2], v[14:15]
	v_fma_f64 v[28:29], v[1:2], v[10:11], v[28:29]
	v_fma_f64 v[9:10], v[3:4], v[10:11], v[16:17]
	;; [unrolled: 1-line block ×4, first 2 shown]
	s_waitcnt vmcnt(1)
	v_fma_f64 v[11:12], v[5:6], v[18:19], v[28:29]
	v_fma_f64 v[9:10], v[7:8], v[18:19], v[9:10]
	s_waitcnt vmcnt(0)
	v_fma_f64 v[13:14], v[5:6], v[22:23], v[0:1]
	v_fma_f64 v[15:16], v[7:8], v[22:23], v[2:3]
	v_fma_f64 v[0:1], -v[7:8], v[20:21], v[11:12]
	v_fma_f64 v[2:3], v[5:6], v[20:21], v[9:10]
	v_fma_f64 v[7:8], -v[7:8], v[24:25], v[13:14]
	v_fma_f64 v[9:10], v[5:6], v[24:25], v[15:16]
	global_store_dwordx4 v[26:27], v[0:3], off
	global_store_dwordx4 v[26:27], v[7:10], off offset:16
.LBB251_21:
	s_endpgm
	.section	.rodata,"a",@progbits
	.p2align	6, 0x0
	.amdhsa_kernel _ZN9rocsparseL19gebsrmvn_2xn_kernelILj128ELj6ELj32E21rocsparse_complex_numIdEEEvi20rocsparse_direction_NS_24const_host_device_scalarIT2_EEPKiS8_PKS5_SA_S6_PS5_21rocsparse_index_base_b
		.amdhsa_group_segment_fixed_size 0
		.amdhsa_private_segment_fixed_size 0
		.amdhsa_kernarg_size 88
		.amdhsa_user_sgpr_count 6
		.amdhsa_user_sgpr_private_segment_buffer 1
		.amdhsa_user_sgpr_dispatch_ptr 0
		.amdhsa_user_sgpr_queue_ptr 0
		.amdhsa_user_sgpr_kernarg_segment_ptr 1
		.amdhsa_user_sgpr_dispatch_id 0
		.amdhsa_user_sgpr_flat_scratch_init 0
		.amdhsa_user_sgpr_private_segment_size 0
		.amdhsa_uses_dynamic_stack 0
		.amdhsa_system_sgpr_private_segment_wavefront_offset 0
		.amdhsa_system_sgpr_workgroup_id_x 1
		.amdhsa_system_sgpr_workgroup_id_y 0
		.amdhsa_system_sgpr_workgroup_id_z 0
		.amdhsa_system_sgpr_workgroup_info 0
		.amdhsa_system_vgpr_workitem_id 0
		.amdhsa_next_free_vgpr 58
		.amdhsa_next_free_sgpr 20
		.amdhsa_reserve_vcc 1
		.amdhsa_reserve_flat_scratch 0
		.amdhsa_float_round_mode_32 0
		.amdhsa_float_round_mode_16_64 0
		.amdhsa_float_denorm_mode_32 3
		.amdhsa_float_denorm_mode_16_64 3
		.amdhsa_dx10_clamp 1
		.amdhsa_ieee_mode 1
		.amdhsa_fp16_overflow 0
		.amdhsa_exception_fp_ieee_invalid_op 0
		.amdhsa_exception_fp_denorm_src 0
		.amdhsa_exception_fp_ieee_div_zero 0
		.amdhsa_exception_fp_ieee_overflow 0
		.amdhsa_exception_fp_ieee_underflow 0
		.amdhsa_exception_fp_ieee_inexact 0
		.amdhsa_exception_int_div_zero 0
	.end_amdhsa_kernel
	.section	.text._ZN9rocsparseL19gebsrmvn_2xn_kernelILj128ELj6ELj32E21rocsparse_complex_numIdEEEvi20rocsparse_direction_NS_24const_host_device_scalarIT2_EEPKiS8_PKS5_SA_S6_PS5_21rocsparse_index_base_b,"axG",@progbits,_ZN9rocsparseL19gebsrmvn_2xn_kernelILj128ELj6ELj32E21rocsparse_complex_numIdEEEvi20rocsparse_direction_NS_24const_host_device_scalarIT2_EEPKiS8_PKS5_SA_S6_PS5_21rocsparse_index_base_b,comdat
.Lfunc_end251:
	.size	_ZN9rocsparseL19gebsrmvn_2xn_kernelILj128ELj6ELj32E21rocsparse_complex_numIdEEEvi20rocsparse_direction_NS_24const_host_device_scalarIT2_EEPKiS8_PKS5_SA_S6_PS5_21rocsparse_index_base_b, .Lfunc_end251-_ZN9rocsparseL19gebsrmvn_2xn_kernelILj128ELj6ELj32E21rocsparse_complex_numIdEEEvi20rocsparse_direction_NS_24const_host_device_scalarIT2_EEPKiS8_PKS5_SA_S6_PS5_21rocsparse_index_base_b
                                        ; -- End function
	.set _ZN9rocsparseL19gebsrmvn_2xn_kernelILj128ELj6ELj32E21rocsparse_complex_numIdEEEvi20rocsparse_direction_NS_24const_host_device_scalarIT2_EEPKiS8_PKS5_SA_S6_PS5_21rocsparse_index_base_b.num_vgpr, 58
	.set _ZN9rocsparseL19gebsrmvn_2xn_kernelILj128ELj6ELj32E21rocsparse_complex_numIdEEEvi20rocsparse_direction_NS_24const_host_device_scalarIT2_EEPKiS8_PKS5_SA_S6_PS5_21rocsparse_index_base_b.num_agpr, 0
	.set _ZN9rocsparseL19gebsrmvn_2xn_kernelILj128ELj6ELj32E21rocsparse_complex_numIdEEEvi20rocsparse_direction_NS_24const_host_device_scalarIT2_EEPKiS8_PKS5_SA_S6_PS5_21rocsparse_index_base_b.numbered_sgpr, 20
	.set _ZN9rocsparseL19gebsrmvn_2xn_kernelILj128ELj6ELj32E21rocsparse_complex_numIdEEEvi20rocsparse_direction_NS_24const_host_device_scalarIT2_EEPKiS8_PKS5_SA_S6_PS5_21rocsparse_index_base_b.num_named_barrier, 0
	.set _ZN9rocsparseL19gebsrmvn_2xn_kernelILj128ELj6ELj32E21rocsparse_complex_numIdEEEvi20rocsparse_direction_NS_24const_host_device_scalarIT2_EEPKiS8_PKS5_SA_S6_PS5_21rocsparse_index_base_b.private_seg_size, 0
	.set _ZN9rocsparseL19gebsrmvn_2xn_kernelILj128ELj6ELj32E21rocsparse_complex_numIdEEEvi20rocsparse_direction_NS_24const_host_device_scalarIT2_EEPKiS8_PKS5_SA_S6_PS5_21rocsparse_index_base_b.uses_vcc, 1
	.set _ZN9rocsparseL19gebsrmvn_2xn_kernelILj128ELj6ELj32E21rocsparse_complex_numIdEEEvi20rocsparse_direction_NS_24const_host_device_scalarIT2_EEPKiS8_PKS5_SA_S6_PS5_21rocsparse_index_base_b.uses_flat_scratch, 0
	.set _ZN9rocsparseL19gebsrmvn_2xn_kernelILj128ELj6ELj32E21rocsparse_complex_numIdEEEvi20rocsparse_direction_NS_24const_host_device_scalarIT2_EEPKiS8_PKS5_SA_S6_PS5_21rocsparse_index_base_b.has_dyn_sized_stack, 0
	.set _ZN9rocsparseL19gebsrmvn_2xn_kernelILj128ELj6ELj32E21rocsparse_complex_numIdEEEvi20rocsparse_direction_NS_24const_host_device_scalarIT2_EEPKiS8_PKS5_SA_S6_PS5_21rocsparse_index_base_b.has_recursion, 0
	.set _ZN9rocsparseL19gebsrmvn_2xn_kernelILj128ELj6ELj32E21rocsparse_complex_numIdEEEvi20rocsparse_direction_NS_24const_host_device_scalarIT2_EEPKiS8_PKS5_SA_S6_PS5_21rocsparse_index_base_b.has_indirect_call, 0
	.section	.AMDGPU.csdata,"",@progbits
; Kernel info:
; codeLenInByte = 3048
; TotalNumSgprs: 24
; NumVgprs: 58
; ScratchSize: 0
; MemoryBound: 0
; FloatMode: 240
; IeeeMode: 1
; LDSByteSize: 0 bytes/workgroup (compile time only)
; SGPRBlocks: 2
; VGPRBlocks: 14
; NumSGPRsForWavesPerEU: 24
; NumVGPRsForWavesPerEU: 58
; Occupancy: 4
; WaveLimiterHint : 1
; COMPUTE_PGM_RSRC2:SCRATCH_EN: 0
; COMPUTE_PGM_RSRC2:USER_SGPR: 6
; COMPUTE_PGM_RSRC2:TRAP_HANDLER: 0
; COMPUTE_PGM_RSRC2:TGID_X_EN: 1
; COMPUTE_PGM_RSRC2:TGID_Y_EN: 0
; COMPUTE_PGM_RSRC2:TGID_Z_EN: 0
; COMPUTE_PGM_RSRC2:TIDIG_COMP_CNT: 0
	.section	.text._ZN9rocsparseL19gebsrmvn_2xn_kernelILj128ELj6ELj64E21rocsparse_complex_numIdEEEvi20rocsparse_direction_NS_24const_host_device_scalarIT2_EEPKiS8_PKS5_SA_S6_PS5_21rocsparse_index_base_b,"axG",@progbits,_ZN9rocsparseL19gebsrmvn_2xn_kernelILj128ELj6ELj64E21rocsparse_complex_numIdEEEvi20rocsparse_direction_NS_24const_host_device_scalarIT2_EEPKiS8_PKS5_SA_S6_PS5_21rocsparse_index_base_b,comdat
	.globl	_ZN9rocsparseL19gebsrmvn_2xn_kernelILj128ELj6ELj64E21rocsparse_complex_numIdEEEvi20rocsparse_direction_NS_24const_host_device_scalarIT2_EEPKiS8_PKS5_SA_S6_PS5_21rocsparse_index_base_b ; -- Begin function _ZN9rocsparseL19gebsrmvn_2xn_kernelILj128ELj6ELj64E21rocsparse_complex_numIdEEEvi20rocsparse_direction_NS_24const_host_device_scalarIT2_EEPKiS8_PKS5_SA_S6_PS5_21rocsparse_index_base_b
	.p2align	8
	.type	_ZN9rocsparseL19gebsrmvn_2xn_kernelILj128ELj6ELj64E21rocsparse_complex_numIdEEEvi20rocsparse_direction_NS_24const_host_device_scalarIT2_EEPKiS8_PKS5_SA_S6_PS5_21rocsparse_index_base_b,@function
_ZN9rocsparseL19gebsrmvn_2xn_kernelILj128ELj6ELj64E21rocsparse_complex_numIdEEEvi20rocsparse_direction_NS_24const_host_device_scalarIT2_EEPKiS8_PKS5_SA_S6_PS5_21rocsparse_index_base_b: ; @_ZN9rocsparseL19gebsrmvn_2xn_kernelILj128ELj6ELj64E21rocsparse_complex_numIdEEEvi20rocsparse_direction_NS_24const_host_device_scalarIT2_EEPKiS8_PKS5_SA_S6_PS5_21rocsparse_index_base_b
; %bb.0:
	s_load_dwordx2 s[0:1], s[4:5], 0x8
	s_load_dwordx2 s[2:3], s[4:5], 0x38
	;; [unrolled: 1-line block ×3, first 2 shown]
	s_add_u32 s7, s4, 8
	s_addc_u32 s8, s5, 0
	s_add_u32 s9, s4, 56
	s_addc_u32 s10, s5, 0
	s_waitcnt lgkmcnt(0)
	s_bitcmp1_b32 s17, 0
	s_cselect_b32 s1, s8, s1
	s_cselect_b32 s0, s7, s0
	v_mov_b32_e32 v1, s0
	v_mov_b32_e32 v2, s1
	flat_load_dwordx4 v[1:4], v[1:2]
	s_cselect_b32 s0, s10, s3
	s_cselect_b32 s1, s9, s2
	v_mov_b32_e32 v5, s1
	v_mov_b32_e32 v6, s0
	flat_load_dwordx4 v[5:8], v[5:6]
	s_waitcnt vmcnt(0) lgkmcnt(0)
	v_cmp_eq_f64_e32 vcc, 0, v[1:2]
	v_cmp_eq_f64_e64 s[0:1], 0, v[3:4]
	s_and_b64 s[8:9], vcc, s[0:1]
	s_mov_b64 s[0:1], -1
	s_and_saveexec_b64 s[2:3], s[8:9]
	s_cbranch_execz .LBB252_2
; %bb.1:
	v_cmp_neq_f64_e32 vcc, 1.0, v[5:6]
	v_cmp_neq_f64_e64 s[0:1], 0, v[7:8]
	s_or_b64 s[0:1], vcc, s[0:1]
	s_orn2_b64 s[0:1], s[0:1], exec
.LBB252_2:
	s_or_b64 exec, exec, s[2:3]
	s_and_saveexec_b64 s[2:3], s[0:1]
	s_cbranch_execz .LBB252_21
; %bb.3:
	s_load_dwordx2 s[0:1], s[4:5], 0x0
	v_lshrrev_b32_e32 v9, 6, v0
	v_lshl_or_b32 v9, s6, 1, v9
	s_waitcnt lgkmcnt(0)
	v_cmp_gt_i32_e32 vcc, s0, v9
	s_and_b64 exec, exec, vcc
	s_cbranch_execz .LBB252_21
; %bb.4:
	s_load_dwordx8 s[8:15], s[4:5], 0x18
	v_ashrrev_i32_e32 v10, 31, v9
	v_lshlrev_b64 v[10:11], 2, v[9:10]
	v_and_b32_e32 v0, 63, v0
	s_cmp_lg_u32 s1, 0
	s_waitcnt lgkmcnt(0)
	v_mov_b32_e32 v12, s9
	v_add_co_u32_e32 v10, vcc, s8, v10
	v_addc_co_u32_e32 v11, vcc, v12, v11, vcc
	global_load_dwordx2 v[10:11], v[10:11], off
	s_waitcnt vmcnt(0)
	v_subrev_u32_e32 v10, s16, v10
	v_subrev_u32_e32 v26, s16, v11
	v_add_u32_e32 v10, v10, v0
	v_cmp_lt_i32_e64 s[0:1], v10, v26
	s_cbranch_scc0 .LBB252_10
; %bb.5:
	v_mov_b32_e32 v16, 0
	v_mov_b32_e32 v18, 0
	;; [unrolled: 1-line block ×8, first 2 shown]
	s_and_saveexec_b64 s[8:9], s[0:1]
	s_cbranch_execz .LBB252_9
; %bb.6:
	v_mad_u64_u32 v[20:21], s[2:3], v10, 12, 10
	v_mov_b32_e32 v16, 0
	v_mov_b32_e32 v18, 0
	;; [unrolled: 1-line block ×5, first 2 shown]
	s_mov_b64 s[18:19], 0
	v_mov_b32_e32 v11, s11
	v_mov_b32_e32 v23, 0
	;; [unrolled: 1-line block ×8, first 2 shown]
.LBB252_7:                              ; =>This Inner Loop Header: Depth=1
	v_ashrrev_i32_e32 v25, 31, v24
	v_add_u32_e32 v22, -10, v20
	v_lshlrev_b64 v[29:30], 2, v[24:25]
	v_lshlrev_b64 v[31:32], 4, v[22:23]
	v_add_co_u32_e32 v35, vcc, s10, v29
	v_add_co_u32_e64 v39, s[2:3], s12, v31
	v_addc_co_u32_e32 v36, vcc, v11, v30, vcc
	v_addc_co_u32_e64 v40, vcc, v27, v32, s[2:3]
	global_load_dword v25, v[35:36], off
	global_load_dwordx4 v[29:32], v[39:40], off
	v_mov_b32_e32 v21, v23
	v_lshlrev_b64 v[33:34], 4, v[20:21]
	v_mov_b32_e32 v38, v23
	v_add_co_u32_e64 v41, s[6:7], s12, v33
	v_addc_co_u32_e64 v42, vcc, v27, v34, s[6:7]
	v_add_u32_e32 v22, -6, v20
	v_lshlrev_b64 v[21:22], 4, v[22:23]
	v_add_u32_e32 v24, 64, v24
	s_waitcnt vmcnt(1)
	v_subrev_u32_e32 v25, s16, v25
	v_mul_lo_u32 v37, v25, 6
	v_lshlrev_b64 v[33:34], 4, v[37:38]
	v_add_co_u32_e32 v43, vcc, s14, v33
	v_addc_co_u32_e32 v44, vcc, v28, v34, vcc
	global_load_dwordx4 v[33:36], v[43:44], off
	v_add_co_u32_e32 v21, vcc, s12, v21
	v_addc_co_u32_e32 v22, vcc, v27, v22, vcc
	s_waitcnt vmcnt(0)
	v_fma_f64 v[18:19], v[29:30], v[33:34], v[18:19]
	v_fma_f64 v[16:17], v[31:32], v[33:34], v[16:17]
	v_fma_f64 v[45:46], -v[31:32], v[35:36], v[18:19]
	v_fma_f64 v[47:48], v[29:30], v[35:36], v[16:17]
	global_load_dwordx4 v[16:19], v[39:40], off offset:16
	s_waitcnt vmcnt(0)
	v_fma_f64 v[12:13], v[16:17], v[33:34], v[12:13]
	v_fma_f64 v[14:15], v[18:19], v[33:34], v[14:15]
	v_fma_f64 v[33:34], -v[18:19], v[35:36], v[12:13]
	v_fma_f64 v[35:36], v[16:17], v[35:36], v[14:15]
	global_load_dwordx4 v[12:15], v[39:40], off offset:48
	global_load_dwordx4 v[16:19], v[39:40], off offset:32
	;; [unrolled: 1-line block ×3, first 2 shown]
	s_waitcnt vmcnt(0)
	v_fma_f64 v[38:39], v[16:17], v[29:30], v[45:46]
	v_fma_f64 v[43:44], v[18:19], v[29:30], v[47:48]
	;; [unrolled: 1-line block ×4, first 2 shown]
	v_fma_f64 v[38:39], -v[18:19], v[31:32], v[38:39]
	v_fma_f64 v[43:44], v[16:17], v[31:32], v[43:44]
	global_load_dwordx4 v[16:19], v[21:22], off offset:16
	v_fma_f64 v[33:34], -v[14:15], v[31:32], v[33:34]
	v_fma_f64 v[35:36], v[12:13], v[31:32], v[29:30]
	global_load_dwordx4 v[12:15], v[21:22], off
	v_add_u32_e32 v22, 2, v37
	v_lshlrev_b64 v[29:30], 4, v[22:23]
	v_add_u32_e32 v22, -4, v20
	v_add_co_u32_e32 v45, vcc, s14, v29
	v_addc_co_u32_e32 v46, vcc, v28, v30, vcc
	global_load_dwordx4 v[29:32], v[45:46], off
	v_lshlrev_b64 v[47:48], 4, v[22:23]
	v_add_u32_e32 v22, -2, v20
	v_lshlrev_b64 v[49:50], 4, v[22:23]
	v_add_u32_e32 v22, 4, v37
	v_add_co_u32_e32 v21, vcc, s12, v47
	v_lshlrev_b64 v[51:52], 4, v[22:23]
	v_addc_co_u32_e32 v22, vcc, v27, v48, vcc
	v_add_u32_e32 v20, 0x300, v20
	s_waitcnt vmcnt(0)
	v_fma_f64 v[38:39], v[12:13], v[29:30], v[38:39]
	v_fma_f64 v[43:44], v[14:15], v[29:30], v[43:44]
	v_fma_f64 v[38:39], -v[14:15], v[31:32], v[38:39]
	v_fma_f64 v[43:44], v[12:13], v[31:32], v[43:44]
	v_fma_f64 v[12:13], v[16:17], v[29:30], v[33:34]
	;; [unrolled: 1-line block ×3, first 2 shown]
	v_fma_f64 v[33:34], -v[18:19], v[31:32], v[12:13]
	v_fma_f64 v[35:36], v[16:17], v[31:32], v[14:15]
	global_load_dwordx4 v[12:15], v[45:46], off offset:16
	global_load_dwordx4 v[16:19], v[21:22], off
	global_load_dwordx4 v[29:32], v[21:22], off offset:16
	v_add_co_u32_e32 v45, vcc, s12, v49
	v_addc_co_u32_e32 v46, vcc, v27, v50, vcc
	s_waitcnt vmcnt(1)
	v_fma_f64 v[21:22], v[16:17], v[12:13], v[38:39]
	v_fma_f64 v[37:38], v[18:19], v[12:13], v[43:44]
	v_add_co_u32_e32 v39, vcc, s14, v51
	v_addc_co_u32_e32 v40, vcc, v28, v52, vcc
	v_cmp_ge_i32_e32 vcc, v24, v26
	s_or_b64 s[18:19], vcc, s[18:19]
	v_fma_f64 v[21:22], -v[18:19], v[14:15], v[21:22]
	v_fma_f64 v[37:38], v[16:17], v[14:15], v[37:38]
	s_waitcnt vmcnt(0)
	v_fma_f64 v[16:17], v[29:30], v[12:13], v[33:34]
	v_fma_f64 v[12:13], v[31:32], v[12:13], v[35:36]
	v_fma_f64 v[43:44], -v[31:32], v[14:15], v[16:17]
	v_fma_f64 v[47:48], v[29:30], v[14:15], v[12:13]
	global_load_dwordx4 v[12:15], v[45:46], off offset:16
	global_load_dwordx4 v[16:19], v[45:46], off
	global_load_dwordx4 v[29:32], v[39:40], off
	s_waitcnt vmcnt(0)
	v_fma_f64 v[21:22], v[16:17], v[29:30], v[21:22]
	v_fma_f64 v[33:34], v[18:19], v[29:30], v[37:38]
	v_fma_f64 v[21:22], -v[18:19], v[31:32], v[21:22]
	v_fma_f64 v[37:38], v[16:17], v[31:32], v[33:34]
	global_load_dwordx4 v[16:19], v[41:42], off
	global_load_dwordx4 v[33:36], v[41:42], off offset:16
	v_fma_f64 v[41:42], v[12:13], v[29:30], v[43:44]
	v_fma_f64 v[29:30], v[14:15], v[29:30], v[47:48]
	v_fma_f64 v[41:42], -v[14:15], v[31:32], v[41:42]
	v_fma_f64 v[29:30], v[12:13], v[31:32], v[29:30]
	global_load_dwordx4 v[12:15], v[39:40], off offset:16
	s_waitcnt vmcnt(0)
	v_fma_f64 v[21:22], v[16:17], v[12:13], v[21:22]
	v_fma_f64 v[31:32], v[18:19], v[12:13], v[37:38]
	;; [unrolled: 1-line block ×4, first 2 shown]
	v_fma_f64 v[18:19], -v[18:19], v[14:15], v[21:22]
	v_fma_f64 v[16:17], v[16:17], v[14:15], v[31:32]
	v_fma_f64 v[12:13], -v[35:36], v[14:15], v[37:38]
	v_fma_f64 v[14:15], v[33:34], v[14:15], v[29:30]
	s_andn2_b64 exec, exec, s[18:19]
	s_cbranch_execnz .LBB252_7
; %bb.8:
	s_or_b64 exec, exec, s[18:19]
.LBB252_9:
	s_or_b64 exec, exec, s[8:9]
	s_cbranch_execz .LBB252_11
	s_branch .LBB252_16
.LBB252_10:
                                        ; implicit-def: $vgpr16_vgpr17
                                        ; implicit-def: $vgpr18_vgpr19
                                        ; implicit-def: $vgpr12_vgpr13
                                        ; implicit-def: $vgpr14_vgpr15
.LBB252_11:
	v_mov_b32_e32 v16, 0
	v_mov_b32_e32 v18, 0
	v_mov_b32_e32 v12, 0
	v_mov_b32_e32 v14, 0
	v_mov_b32_e32 v17, 0
	v_mov_b32_e32 v19, 0
	v_mov_b32_e32 v13, 0
	v_mov_b32_e32 v15, 0
	s_and_saveexec_b64 s[2:3], s[0:1]
	s_cbranch_execz .LBB252_15
; %bb.12:
	v_mad_u64_u32 v[20:21], s[0:1], v10, 12, 11
	v_mov_b32_e32 v16, 0
	v_mov_b32_e32 v18, 0
	;; [unrolled: 1-line block ×5, first 2 shown]
	s_mov_b64 s[0:1], 0
	v_mov_b32_e32 v24, s11
	v_mov_b32_e32 v23, 0
	;; [unrolled: 1-line block ×7, first 2 shown]
.LBB252_13:                             ; =>This Inner Loop Header: Depth=1
	v_ashrrev_i32_e32 v11, 31, v10
	v_lshlrev_b64 v[30:31], 2, v[10:11]
	v_add_u32_e32 v22, -11, v20
	v_lshlrev_b64 v[32:33], 4, v[22:23]
	v_add_co_u32_e32 v36, vcc, s10, v30
	v_add_u32_e32 v28, -5, v20
	v_mov_b32_e32 v29, v23
	v_addc_co_u32_e32 v37, vcc, v24, v31, vcc
	v_lshlrev_b64 v[28:29], 4, v[28:29]
	v_add_co_u32_e32 v46, vcc, s12, v32
	v_mov_b32_e32 v21, v23
	v_addc_co_u32_e32 v47, vcc, v25, v33, vcc
	v_lshlrev_b64 v[34:35], 4, v[20:21]
	v_add_co_u32_e32 v48, vcc, s12, v28
	v_addc_co_u32_e32 v49, vcc, v25, v29, vcc
	v_add_co_u32_e32 v50, vcc, s12, v34
	v_addc_co_u32_e32 v51, vcc, v25, v35, vcc
	global_load_dword v11, v[36:37], off
	global_load_dwordx4 v[28:31], v[46:47], off
	global_load_dwordx4 v[32:35], v[46:47], off offset:16
	v_mov_b32_e32 v45, v23
	v_add_u32_e32 v22, -4, v20
	v_lshlrev_b64 v[21:22], 4, v[22:23]
	v_add_u32_e32 v10, 64, v10
	s_waitcnt vmcnt(2)
	v_subrev_u32_e32 v11, s16, v11
	v_mul_lo_u32 v44, v11, 6
	v_lshlrev_b64 v[36:37], 4, v[44:45]
	v_add_co_u32_e32 v52, vcc, s14, v36
	v_addc_co_u32_e32 v53, vcc, v27, v37, vcc
	global_load_dwordx4 v[36:39], v[52:53], off
	global_load_dwordx4 v[40:43], v[52:53], off offset:16
	v_add_co_u32_e32 v21, vcc, s12, v21
	v_addc_co_u32_e32 v22, vcc, v25, v22, vcc
	s_waitcnt vmcnt(1)
	v_fma_f64 v[18:19], v[28:29], v[36:37], v[18:19]
	v_fma_f64 v[16:17], v[30:31], v[36:37], v[16:17]
	v_fma_f64 v[52:53], -v[30:31], v[38:39], v[18:19]
	v_fma_f64 v[54:55], v[28:29], v[38:39], v[16:17]
	global_load_dwordx4 v[16:19], v[48:49], off
	global_load_dwordx4 v[28:31], v[21:22], off
	v_add_u32_e32 v22, 2, v44
	s_waitcnt vmcnt(1)
	v_fma_f64 v[11:12], v[16:17], v[36:37], v[12:13]
	v_fma_f64 v[13:14], v[18:19], v[36:37], v[14:15]
	v_fma_f64 v[48:49], -v[18:19], v[38:39], v[11:12]
	v_fma_f64 v[56:57], v[16:17], v[38:39], v[13:14]
	global_load_dwordx4 v[11:14], v[46:47], off offset:32
	global_load_dwordx4 v[15:18], v[46:47], off offset:48
	global_load_dwordx4 v[36:39], v[50:51], off
	v_fma_f64 v[50:51], v[34:35], v[40:41], v[54:55]
	v_fma_f64 v[45:46], v[32:33], v[40:41], v[52:53]
	s_waitcnt vmcnt(3)
	v_fma_f64 v[47:48], v[28:29], v[40:41], v[48:49]
	v_fma_f64 v[40:41], v[30:31], v[40:41], v[56:57]
	;; [unrolled: 1-line block ×3, first 2 shown]
	v_lshlrev_b64 v[32:33], 4, v[22:23]
	v_fma_f64 v[45:46], -v[34:35], v[42:43], v[45:46]
	v_add_co_u32_e32 v32, vcc, s14, v32
	v_addc_co_u32_e32 v33, vcc, v27, v33, vcc
	v_fma_f64 v[47:48], -v[30:31], v[42:43], v[47:48]
	v_fma_f64 v[52:53], v[28:29], v[42:43], v[40:41]
	global_load_dwordx4 v[28:31], v[32:33], off
	v_add_u32_e32 v22, -3, v20
	v_lshlrev_b64 v[34:35], 4, v[22:23]
	v_add_u32_e32 v22, -2, v20
	v_lshlrev_b64 v[40:41], 4, v[22:23]
	;; [unrolled: 2-line block ×3, first 2 shown]
	v_add_u32_e32 v22, 4, v44
	v_add_co_u32_e32 v42, vcc, s12, v34
	v_addc_co_u32_e32 v43, vcc, v25, v35, vcc
	global_load_dwordx4 v[32:35], v[32:33], off offset:16
	v_add_co_u32_e32 v40, vcc, s12, v40
	v_addc_co_u32_e32 v41, vcc, v25, v41, vcc
	s_waitcnt vmcnt(1)
	v_fma_f64 v[44:45], v[11:12], v[28:29], v[45:46]
	v_fma_f64 v[49:50], v[13:14], v[28:29], v[50:51]
	v_fma_f64 v[44:45], -v[13:14], v[30:31], v[44:45]
	v_fma_f64 v[49:50], v[11:12], v[30:31], v[49:50]
	global_load_dwordx4 v[11:14], v[42:43], off
	s_waitcnt vmcnt(0)
	v_fma_f64 v[46:47], v[11:12], v[28:29], v[47:48]
	global_load_dwordx4 v[40:43], v[40:41], off
	v_fma_f64 v[28:29], v[13:14], v[28:29], v[52:53]
	v_fma_f64 v[46:47], -v[13:14], v[30:31], v[46:47]
	v_add_co_u32_e32 v13, vcc, s12, v54
	v_fma_f64 v[51:52], v[11:12], v[30:31], v[28:29]
	v_fma_f64 v[30:31], v[15:16], v[32:33], v[44:45]
	;; [unrolled: 1-line block ×3, first 2 shown]
	v_lshlrev_b64 v[11:12], 4, v[22:23]
	v_add_u32_e32 v22, -1, v20
	v_addc_co_u32_e32 v14, vcc, v25, v55, vcc
	v_lshlrev_b64 v[28:29], 4, v[22:23]
	v_add_co_u32_e32 v53, vcc, s14, v11
	v_addc_co_u32_e32 v54, vcc, v27, v12, vcc
	v_add_co_u32_e32 v28, vcc, s12, v28
	v_addc_co_u32_e32 v29, vcc, v25, v29, vcc
	global_load_dwordx4 v[11:14], v[13:14], off
	v_fma_f64 v[48:49], -v[17:18], v[34:35], v[30:31]
	v_fma_f64 v[44:45], v[15:16], v[34:35], v[44:45]
	global_load_dwordx4 v[15:18], v[53:54], off
	v_add_u32_e32 v22, -6, v20
	global_load_dwordx4 v[28:31], v[28:29], off
	v_lshlrev_b64 v[21:22], 4, v[22:23]
	v_add_u32_e32 v20, 0x300, v20
	v_add_co_u32_e32 v21, vcc, s12, v21
	v_addc_co_u32_e32 v22, vcc, v25, v22, vcc
	v_cmp_ge_i32_e32 vcc, v10, v26
	s_or_b64 s[0:1], vcc, s[0:1]
	s_waitcnt vmcnt(3)
	v_fma_f64 v[46:47], v[40:41], v[32:33], v[46:47]
	v_fma_f64 v[32:33], v[42:43], v[32:33], v[51:52]
	v_fma_f64 v[46:47], -v[42:43], v[34:35], v[46:47]
	v_fma_f64 v[50:51], v[40:41], v[34:35], v[32:33]
	global_load_dwordx4 v[32:35], v[53:54], off offset:16
	global_load_dwordx4 v[40:43], v[21:22], off
	s_waitcnt vmcnt(3)
	v_fma_f64 v[21:22], v[11:12], v[15:16], v[48:49]
	v_fma_f64 v[44:45], v[13:14], v[15:16], v[44:45]
	s_waitcnt vmcnt(2)
	v_fma_f64 v[46:47], v[28:29], v[15:16], v[46:47]
	v_fma_f64 v[15:16], v[30:31], v[15:16], v[50:51]
	v_fma_f64 v[13:14], -v[13:14], v[17:18], v[21:22]
	v_fma_f64 v[11:12], v[11:12], v[17:18], v[44:45]
	v_fma_f64 v[21:22], -v[30:31], v[17:18], v[46:47]
	v_fma_f64 v[15:16], v[28:29], v[17:18], v[15:16]
	s_waitcnt vmcnt(1)
	v_fma_f64 v[21:22], v[36:37], v[32:33], v[21:22]
	s_waitcnt vmcnt(0)
	v_fma_f64 v[13:14], v[40:41], v[32:33], v[13:14]
	v_fma_f64 v[11:12], v[42:43], v[32:33], v[11:12]
	;; [unrolled: 1-line block ×3, first 2 shown]
	v_fma_f64 v[18:19], -v[42:43], v[34:35], v[13:14]
	v_fma_f64 v[16:17], v[40:41], v[34:35], v[11:12]
	v_fma_f64 v[12:13], -v[38:39], v[34:35], v[21:22]
	v_fma_f64 v[14:15], v[36:37], v[34:35], v[28:29]
	s_andn2_b64 exec, exec, s[0:1]
	s_cbranch_execnz .LBB252_13
; %bb.14:
	s_or_b64 exec, exec, s[0:1]
.LBB252_15:
	s_or_b64 exec, exec, s[2:3]
.LBB252_16:
	v_mov_b32_dpp v10, v18 row_shr:1 row_mask:0xf bank_mask:0xf
	v_mov_b32_dpp v11, v19 row_shr:1 row_mask:0xf bank_mask:0xf
	v_add_f64 v[10:11], v[18:19], v[10:11]
	v_mov_b32_dpp v18, v16 row_shr:1 row_mask:0xf bank_mask:0xf
	v_mov_b32_dpp v19, v17 row_shr:1 row_mask:0xf bank_mask:0xf
	v_add_f64 v[16:17], v[16:17], v[18:19]
	;; [unrolled: 3-line block ×3, first 2 shown]
	v_cmp_eq_u32_e32 vcc, 63, v0
	v_mov_b32_dpp v18, v10 row_shr:2 row_mask:0xf bank_mask:0xf
	v_mov_b32_dpp v19, v11 row_shr:2 row_mask:0xf bank_mask:0xf
	v_add_f64 v[10:11], v[10:11], v[18:19]
	v_mov_b32_dpp v18, v12 row_shr:1 row_mask:0xf bank_mask:0xf
	v_mov_b32_dpp v19, v13 row_shr:1 row_mask:0xf bank_mask:0xf
	v_add_f64 v[12:13], v[12:13], v[18:19]
	v_mov_b32_dpp v18, v16 row_shr:2 row_mask:0xf bank_mask:0xf
	v_mov_b32_dpp v19, v10 row_shr:4 row_mask:0xf bank_mask:0xe
	v_mov_b32_dpp v20, v11 row_shr:4 row_mask:0xf bank_mask:0xe
	v_add_f64 v[10:11], v[10:11], v[19:20]
	v_mov_b32_dpp v19, v17 row_shr:2 row_mask:0xf bank_mask:0xf
	;; [unrolled: 4-line block ×3, first 2 shown]
	v_add_f64 v[12:13], v[12:13], v[20:21]
	v_mov_b32_dpp v19, v15 row_shr:2 row_mask:0xf bank_mask:0xf
	v_add_f64 v[14:15], v[14:15], v[18:19]
	v_mov_b32_dpp v20, v10 row_shr:8 row_mask:0xf bank_mask:0xc
	v_mov_b32_dpp v21, v11 row_shr:8 row_mask:0xf bank_mask:0xc
	v_add_f64 v[10:11], v[10:11], v[20:21]
	v_mov_b32_dpp v18, v16 row_shr:4 row_mask:0xf bank_mask:0xe
	v_mov_b32_dpp v19, v17 row_shr:4 row_mask:0xf bank_mask:0xe
	v_mov_b32_dpp v20, v12 row_shr:4 row_mask:0xf bank_mask:0xe
	v_add_f64 v[16:17], v[16:17], v[18:19]
	v_mov_b32_dpp v21, v13 row_shr:4 row_mask:0xf bank_mask:0xe
	v_add_f64 v[12:13], v[12:13], v[20:21]
	v_mov_b32_dpp v19, v14 row_shr:4 row_mask:0xf bank_mask:0xe
	v_mov_b32_dpp v20, v15 row_shr:4 row_mask:0xf bank_mask:0xe
	v_add_f64 v[14:15], v[14:15], v[19:20]
	v_mov_b32_dpp v18, v10 row_bcast:15 row_mask:0xa bank_mask:0xf
	v_mov_b32_dpp v19, v11 row_bcast:15 row_mask:0xa bank_mask:0xf
	v_mov_b32_dpp v20, v16 row_shr:8 row_mask:0xf bank_mask:0xc
	v_mov_b32_dpp v21, v17 row_shr:8 row_mask:0xf bank_mask:0xc
	v_add_f64 v[16:17], v[16:17], v[20:21]
	v_mov_b32_dpp v20, v12 row_shr:8 row_mask:0xf bank_mask:0xc
	v_mov_b32_dpp v21, v13 row_shr:8 row_mask:0xf bank_mask:0xc
	v_add_f64 v[20:21], v[12:13], v[20:21]
	;; [unrolled: 3-line block ×3, first 2 shown]
	v_add_f64 v[10:11], v[10:11], v[18:19]
	v_mov_b32_dpp v12, v16 row_bcast:15 row_mask:0xa bank_mask:0xf
	v_mov_b32_dpp v13, v17 row_bcast:15 row_mask:0xa bank_mask:0xf
	v_add_f64 v[12:13], v[16:17], v[12:13]
	v_mov_b32_dpp v16, v20 row_bcast:15 row_mask:0xa bank_mask:0xf
	v_mov_b32_dpp v17, v21 row_bcast:15 row_mask:0xa bank_mask:0xf
	;; [unrolled: 3-line block ×4, first 2 shown]
	v_mov_b32_dpp v16, v12 row_bcast:31 row_mask:0xc bank_mask:0xf
	v_mov_b32_dpp v17, v13 row_bcast:31 row_mask:0xc bank_mask:0xf
	;; [unrolled: 1-line block ×6, first 2 shown]
	s_and_b64 exec, exec, vcc
	s_cbranch_execz .LBB252_21
; %bb.17:
	v_cmp_eq_f64_e32 vcc, 0, v[5:6]
	v_cmp_eq_f64_e64 s[0:1], 0, v[7:8]
	v_add_f64 v[10:11], v[10:11], v[24:25]
	v_add_f64 v[16:17], v[12:13], v[16:17]
	;; [unrolled: 1-line block ×4, first 2 shown]
	s_load_dwordx2 s[2:3], s[4:5], 0x48
	s_and_b64 s[0:1], vcc, s[0:1]
	s_and_saveexec_b64 s[4:5], s[0:1]
	s_xor_b64 s[0:1], exec, s[4:5]
	s_cbranch_execz .LBB252_19
; %bb.18:
	v_mul_f64 v[5:6], v[16:17], -v[3:4]
	v_mul_f64 v[7:8], v[1:2], v[16:17]
	v_mul_f64 v[16:17], v[14:15], -v[3:4]
	v_mul_f64 v[14:15], v[1:2], v[14:15]
	v_lshlrev_b32_e32 v9, 1, v9
	s_waitcnt lgkmcnt(0)
	v_mov_b32_e32 v18, s3
	v_fma_f64 v[5:6], v[1:2], v[10:11], v[5:6]
	v_fma_f64 v[7:8], v[3:4], v[10:11], v[7:8]
	;; [unrolled: 1-line block ×4, first 2 shown]
	v_ashrrev_i32_e32 v10, 31, v9
	v_lshlrev_b64 v[9:10], 4, v[9:10]
                                        ; implicit-def: $vgpr16_vgpr17
                                        ; implicit-def: $vgpr12_vgpr13
                                        ; implicit-def: $vgpr14_vgpr15
	v_add_co_u32_e32 v9, vcc, s2, v9
	v_addc_co_u32_e32 v10, vcc, v18, v10, vcc
	global_store_dwordx4 v[9:10], v[5:8], off
	global_store_dwordx4 v[9:10], v[0:3], off offset:16
                                        ; implicit-def: $vgpr9
                                        ; implicit-def: $vgpr10_vgpr11
                                        ; implicit-def: $vgpr7_vgpr8
                                        ; implicit-def: $vgpr3_vgpr4
.LBB252_19:
	s_andn2_saveexec_b64 s[0:1], s[0:1]
	s_cbranch_execz .LBB252_21
; %bb.20:
	v_lshlrev_b32_e32 v18, 1, v9
	v_ashrrev_i32_e32 v19, 31, v18
	v_lshlrev_b64 v[18:19], 4, v[18:19]
	s_waitcnt lgkmcnt(0)
	v_mov_b32_e32 v0, s3
	v_add_co_u32_e32 v26, vcc, s2, v18
	v_addc_co_u32_e32 v27, vcc, v0, v19, vcc
	global_load_dwordx4 v[18:21], v[26:27], off
	global_load_dwordx4 v[22:25], v[26:27], off offset:16
	v_mul_f64 v[28:29], v[16:17], -v[3:4]
	v_mul_f64 v[16:17], v[1:2], v[16:17]
	v_mul_f64 v[30:31], v[14:15], -v[3:4]
	v_mul_f64 v[14:15], v[1:2], v[14:15]
	v_fma_f64 v[28:29], v[1:2], v[10:11], v[28:29]
	v_fma_f64 v[9:10], v[3:4], v[10:11], v[16:17]
	;; [unrolled: 1-line block ×4, first 2 shown]
	s_waitcnt vmcnt(1)
	v_fma_f64 v[11:12], v[5:6], v[18:19], v[28:29]
	v_fma_f64 v[9:10], v[7:8], v[18:19], v[9:10]
	s_waitcnt vmcnt(0)
	v_fma_f64 v[13:14], v[5:6], v[22:23], v[0:1]
	v_fma_f64 v[15:16], v[7:8], v[22:23], v[2:3]
	v_fma_f64 v[0:1], -v[7:8], v[20:21], v[11:12]
	v_fma_f64 v[2:3], v[5:6], v[20:21], v[9:10]
	v_fma_f64 v[7:8], -v[7:8], v[24:25], v[13:14]
	v_fma_f64 v[9:10], v[5:6], v[24:25], v[15:16]
	global_store_dwordx4 v[26:27], v[0:3], off
	global_store_dwordx4 v[26:27], v[7:10], off offset:16
.LBB252_21:
	s_endpgm
	.section	.rodata,"a",@progbits
	.p2align	6, 0x0
	.amdhsa_kernel _ZN9rocsparseL19gebsrmvn_2xn_kernelILj128ELj6ELj64E21rocsparse_complex_numIdEEEvi20rocsparse_direction_NS_24const_host_device_scalarIT2_EEPKiS8_PKS5_SA_S6_PS5_21rocsparse_index_base_b
		.amdhsa_group_segment_fixed_size 0
		.amdhsa_private_segment_fixed_size 0
		.amdhsa_kernarg_size 88
		.amdhsa_user_sgpr_count 6
		.amdhsa_user_sgpr_private_segment_buffer 1
		.amdhsa_user_sgpr_dispatch_ptr 0
		.amdhsa_user_sgpr_queue_ptr 0
		.amdhsa_user_sgpr_kernarg_segment_ptr 1
		.amdhsa_user_sgpr_dispatch_id 0
		.amdhsa_user_sgpr_flat_scratch_init 0
		.amdhsa_user_sgpr_private_segment_size 0
		.amdhsa_uses_dynamic_stack 0
		.amdhsa_system_sgpr_private_segment_wavefront_offset 0
		.amdhsa_system_sgpr_workgroup_id_x 1
		.amdhsa_system_sgpr_workgroup_id_y 0
		.amdhsa_system_sgpr_workgroup_id_z 0
		.amdhsa_system_sgpr_workgroup_info 0
		.amdhsa_system_vgpr_workitem_id 0
		.amdhsa_next_free_vgpr 58
		.amdhsa_next_free_sgpr 20
		.amdhsa_reserve_vcc 1
		.amdhsa_reserve_flat_scratch 0
		.amdhsa_float_round_mode_32 0
		.amdhsa_float_round_mode_16_64 0
		.amdhsa_float_denorm_mode_32 3
		.amdhsa_float_denorm_mode_16_64 3
		.amdhsa_dx10_clamp 1
		.amdhsa_ieee_mode 1
		.amdhsa_fp16_overflow 0
		.amdhsa_exception_fp_ieee_invalid_op 0
		.amdhsa_exception_fp_denorm_src 0
		.amdhsa_exception_fp_ieee_div_zero 0
		.amdhsa_exception_fp_ieee_overflow 0
		.amdhsa_exception_fp_ieee_underflow 0
		.amdhsa_exception_fp_ieee_inexact 0
		.amdhsa_exception_int_div_zero 0
	.end_amdhsa_kernel
	.section	.text._ZN9rocsparseL19gebsrmvn_2xn_kernelILj128ELj6ELj64E21rocsparse_complex_numIdEEEvi20rocsparse_direction_NS_24const_host_device_scalarIT2_EEPKiS8_PKS5_SA_S6_PS5_21rocsparse_index_base_b,"axG",@progbits,_ZN9rocsparseL19gebsrmvn_2xn_kernelILj128ELj6ELj64E21rocsparse_complex_numIdEEEvi20rocsparse_direction_NS_24const_host_device_scalarIT2_EEPKiS8_PKS5_SA_S6_PS5_21rocsparse_index_base_b,comdat
.Lfunc_end252:
	.size	_ZN9rocsparseL19gebsrmvn_2xn_kernelILj128ELj6ELj64E21rocsparse_complex_numIdEEEvi20rocsparse_direction_NS_24const_host_device_scalarIT2_EEPKiS8_PKS5_SA_S6_PS5_21rocsparse_index_base_b, .Lfunc_end252-_ZN9rocsparseL19gebsrmvn_2xn_kernelILj128ELj6ELj64E21rocsparse_complex_numIdEEEvi20rocsparse_direction_NS_24const_host_device_scalarIT2_EEPKiS8_PKS5_SA_S6_PS5_21rocsparse_index_base_b
                                        ; -- End function
	.set _ZN9rocsparseL19gebsrmvn_2xn_kernelILj128ELj6ELj64E21rocsparse_complex_numIdEEEvi20rocsparse_direction_NS_24const_host_device_scalarIT2_EEPKiS8_PKS5_SA_S6_PS5_21rocsparse_index_base_b.num_vgpr, 58
	.set _ZN9rocsparseL19gebsrmvn_2xn_kernelILj128ELj6ELj64E21rocsparse_complex_numIdEEEvi20rocsparse_direction_NS_24const_host_device_scalarIT2_EEPKiS8_PKS5_SA_S6_PS5_21rocsparse_index_base_b.num_agpr, 0
	.set _ZN9rocsparseL19gebsrmvn_2xn_kernelILj128ELj6ELj64E21rocsparse_complex_numIdEEEvi20rocsparse_direction_NS_24const_host_device_scalarIT2_EEPKiS8_PKS5_SA_S6_PS5_21rocsparse_index_base_b.numbered_sgpr, 20
	.set _ZN9rocsparseL19gebsrmvn_2xn_kernelILj128ELj6ELj64E21rocsparse_complex_numIdEEEvi20rocsparse_direction_NS_24const_host_device_scalarIT2_EEPKiS8_PKS5_SA_S6_PS5_21rocsparse_index_base_b.num_named_barrier, 0
	.set _ZN9rocsparseL19gebsrmvn_2xn_kernelILj128ELj6ELj64E21rocsparse_complex_numIdEEEvi20rocsparse_direction_NS_24const_host_device_scalarIT2_EEPKiS8_PKS5_SA_S6_PS5_21rocsparse_index_base_b.private_seg_size, 0
	.set _ZN9rocsparseL19gebsrmvn_2xn_kernelILj128ELj6ELj64E21rocsparse_complex_numIdEEEvi20rocsparse_direction_NS_24const_host_device_scalarIT2_EEPKiS8_PKS5_SA_S6_PS5_21rocsparse_index_base_b.uses_vcc, 1
	.set _ZN9rocsparseL19gebsrmvn_2xn_kernelILj128ELj6ELj64E21rocsparse_complex_numIdEEEvi20rocsparse_direction_NS_24const_host_device_scalarIT2_EEPKiS8_PKS5_SA_S6_PS5_21rocsparse_index_base_b.uses_flat_scratch, 0
	.set _ZN9rocsparseL19gebsrmvn_2xn_kernelILj128ELj6ELj64E21rocsparse_complex_numIdEEEvi20rocsparse_direction_NS_24const_host_device_scalarIT2_EEPKiS8_PKS5_SA_S6_PS5_21rocsparse_index_base_b.has_dyn_sized_stack, 0
	.set _ZN9rocsparseL19gebsrmvn_2xn_kernelILj128ELj6ELj64E21rocsparse_complex_numIdEEEvi20rocsparse_direction_NS_24const_host_device_scalarIT2_EEPKiS8_PKS5_SA_S6_PS5_21rocsparse_index_base_b.has_recursion, 0
	.set _ZN9rocsparseL19gebsrmvn_2xn_kernelILj128ELj6ELj64E21rocsparse_complex_numIdEEEvi20rocsparse_direction_NS_24const_host_device_scalarIT2_EEPKiS8_PKS5_SA_S6_PS5_21rocsparse_index_base_b.has_indirect_call, 0
	.section	.AMDGPU.csdata,"",@progbits
; Kernel info:
; codeLenInByte = 3144
; TotalNumSgprs: 24
; NumVgprs: 58
; ScratchSize: 0
; MemoryBound: 0
; FloatMode: 240
; IeeeMode: 1
; LDSByteSize: 0 bytes/workgroup (compile time only)
; SGPRBlocks: 2
; VGPRBlocks: 14
; NumSGPRsForWavesPerEU: 24
; NumVGPRsForWavesPerEU: 58
; Occupancy: 4
; WaveLimiterHint : 1
; COMPUTE_PGM_RSRC2:SCRATCH_EN: 0
; COMPUTE_PGM_RSRC2:USER_SGPR: 6
; COMPUTE_PGM_RSRC2:TRAP_HANDLER: 0
; COMPUTE_PGM_RSRC2:TGID_X_EN: 1
; COMPUTE_PGM_RSRC2:TGID_Y_EN: 0
; COMPUTE_PGM_RSRC2:TGID_Z_EN: 0
; COMPUTE_PGM_RSRC2:TIDIG_COMP_CNT: 0
	.section	.text._ZN9rocsparseL19gebsrmvn_2xn_kernelILj128ELj7ELj4E21rocsparse_complex_numIdEEEvi20rocsparse_direction_NS_24const_host_device_scalarIT2_EEPKiS8_PKS5_SA_S6_PS5_21rocsparse_index_base_b,"axG",@progbits,_ZN9rocsparseL19gebsrmvn_2xn_kernelILj128ELj7ELj4E21rocsparse_complex_numIdEEEvi20rocsparse_direction_NS_24const_host_device_scalarIT2_EEPKiS8_PKS5_SA_S6_PS5_21rocsparse_index_base_b,comdat
	.globl	_ZN9rocsparseL19gebsrmvn_2xn_kernelILj128ELj7ELj4E21rocsparse_complex_numIdEEEvi20rocsparse_direction_NS_24const_host_device_scalarIT2_EEPKiS8_PKS5_SA_S6_PS5_21rocsparse_index_base_b ; -- Begin function _ZN9rocsparseL19gebsrmvn_2xn_kernelILj128ELj7ELj4E21rocsparse_complex_numIdEEEvi20rocsparse_direction_NS_24const_host_device_scalarIT2_EEPKiS8_PKS5_SA_S6_PS5_21rocsparse_index_base_b
	.p2align	8
	.type	_ZN9rocsparseL19gebsrmvn_2xn_kernelILj128ELj7ELj4E21rocsparse_complex_numIdEEEvi20rocsparse_direction_NS_24const_host_device_scalarIT2_EEPKiS8_PKS5_SA_S6_PS5_21rocsparse_index_base_b,@function
_ZN9rocsparseL19gebsrmvn_2xn_kernelILj128ELj7ELj4E21rocsparse_complex_numIdEEEvi20rocsparse_direction_NS_24const_host_device_scalarIT2_EEPKiS8_PKS5_SA_S6_PS5_21rocsparse_index_base_b: ; @_ZN9rocsparseL19gebsrmvn_2xn_kernelILj128ELj7ELj4E21rocsparse_complex_numIdEEEvi20rocsparse_direction_NS_24const_host_device_scalarIT2_EEPKiS8_PKS5_SA_S6_PS5_21rocsparse_index_base_b
; %bb.0:
	s_load_dwordx2 s[0:1], s[4:5], 0x8
	s_load_dwordx2 s[8:9], s[4:5], 0x38
	;; [unrolled: 1-line block ×3, first 2 shown]
	s_add_u32 s7, s4, 8
	s_addc_u32 s10, s5, 0
	s_add_u32 s11, s4, 56
	s_addc_u32 s12, s5, 0
	s_waitcnt lgkmcnt(0)
	s_bitcmp1_b32 s3, 0
	s_cselect_b32 s1, s10, s1
	s_cselect_b32 s0, s7, s0
	v_mov_b32_e32 v1, s0
	v_mov_b32_e32 v2, s1
	flat_load_dwordx4 v[1:4], v[1:2]
	s_cselect_b32 s0, s12, s9
	s_cselect_b32 s1, s11, s8
	v_mov_b32_e32 v5, s1
	v_mov_b32_e32 v6, s0
	flat_load_dwordx4 v[5:8], v[5:6]
	s_waitcnt vmcnt(0) lgkmcnt(0)
	v_cmp_eq_f64_e32 vcc, 0, v[1:2]
	v_cmp_eq_f64_e64 s[0:1], 0, v[3:4]
	s_and_b64 s[10:11], vcc, s[0:1]
	s_mov_b64 s[0:1], -1
	s_and_saveexec_b64 s[8:9], s[10:11]
	s_cbranch_execz .LBB253_2
; %bb.1:
	v_cmp_neq_f64_e32 vcc, 1.0, v[5:6]
	v_cmp_neq_f64_e64 s[0:1], 0, v[7:8]
	s_or_b64 s[0:1], vcc, s[0:1]
	s_orn2_b64 s[0:1], s[0:1], exec
.LBB253_2:
	s_or_b64 exec, exec, s[8:9]
	s_and_saveexec_b64 s[8:9], s[0:1]
	s_cbranch_execz .LBB253_21
; %bb.3:
	s_load_dwordx2 s[0:1], s[4:5], 0x0
	v_lshrrev_b32_e32 v9, 2, v0
	v_lshl_or_b32 v9, s6, 5, v9
	s_waitcnt lgkmcnt(0)
	v_cmp_gt_i32_e32 vcc, s0, v9
	s_and_b64 exec, exec, vcc
	s_cbranch_execz .LBB253_21
; %bb.4:
	s_load_dwordx8 s[8:15], s[4:5], 0x18
	v_ashrrev_i32_e32 v10, 31, v9
	v_lshlrev_b64 v[10:11], 2, v[9:10]
	v_and_b32_e32 v0, 3, v0
	s_cmp_lg_u32 s1, 0
	s_waitcnt lgkmcnt(0)
	v_mov_b32_e32 v12, s9
	v_add_co_u32_e32 v10, vcc, s8, v10
	v_addc_co_u32_e32 v11, vcc, v12, v11, vcc
	global_load_dwordx2 v[10:11], v[10:11], off
	s_waitcnt vmcnt(0)
	v_subrev_u32_e32 v10, s2, v10
	v_subrev_u32_e32 v27, s2, v11
	v_add_u32_e32 v10, v10, v0
	v_cmp_lt_i32_e64 s[0:1], v10, v27
	s_cbranch_scc0 .LBB253_10
; %bb.5:
	v_mov_b32_e32 v12, 0
	v_mov_b32_e32 v18, 0
	;; [unrolled: 1-line block ×8, first 2 shown]
	s_and_saveexec_b64 s[6:7], s[0:1]
	s_cbranch_execz .LBB253_9
; %bb.6:
	v_mad_u64_u32 v[20:21], s[8:9], v10, 14, 12
	v_mov_b32_e32 v12, 0
	v_mov_b32_e32 v18, 0
	;; [unrolled: 1-line block ×5, first 2 shown]
	s_mov_b64 s[8:9], 0
	v_mov_b32_e32 v11, s11
	v_mov_b32_e32 v23, 0
	;; [unrolled: 1-line block ×8, first 2 shown]
.LBB253_7:                              ; =>This Inner Loop Header: Depth=1
	v_ashrrev_i32_e32 v25, 31, v24
	v_lshlrev_b64 v[30:31], 2, v[24:25]
	v_add_u32_e32 v22, -12, v20
	v_lshlrev_b64 v[32:33], 4, v[22:23]
	v_add_co_u32_e32 v38, vcc, s10, v30
	v_mov_b32_e32 v21, v23
	v_addc_co_u32_e32 v39, vcc, v11, v31, vcc
	v_lshlrev_b64 v[34:35], 4, v[20:21]
	v_add_co_u32_e32 v40, vcc, s12, v32
	v_addc_co_u32_e32 v41, vcc, v28, v33, vcc
	v_add_co_u32_e32 v50, vcc, s12, v34
	v_addc_co_u32_e32 v51, vcc, v28, v35, vcc
	global_load_dword v25, v[38:39], off
	global_load_dwordx4 v[30:33], v[40:41], off
	global_load_dwordx4 v[34:37], v[40:41], off offset:16
	v_add_u32_e32 v22, -10, v20
	v_lshlrev_b64 v[21:22], 4, v[22:23]
	v_mov_b32_e32 v26, v23
	v_add_co_u32_e32 v21, vcc, s12, v21
	v_addc_co_u32_e32 v22, vcc, v28, v22, vcc
	global_load_dwordx4 v[38:41], v[21:22], off
	global_load_dwordx4 v[42:45], v[21:22], off offset:16
	v_add_u32_e32 v24, 4, v24
	s_waitcnt vmcnt(4)
	v_subrev_u32_e32 v21, s2, v25
	v_mul_lo_u32 v25, v21, 7
	v_lshlrev_b64 v[46:47], 4, v[25:26]
	v_add_u32_e32 v22, 1, v25
	v_add_co_u32_e32 v46, vcc, s14, v46
	v_addc_co_u32_e32 v47, vcc, v29, v47, vcc
	global_load_dwordx4 v[46:49], v[46:47], off
	v_lshlrev_b64 v[52:53], 4, v[22:23]
	v_add_u32_e32 v22, -8, v20
	s_waitcnt vmcnt(0)
	v_fma_f64 v[12:13], v[32:33], v[46:47], v[12:13]
	v_fma_f64 v[14:15], v[36:37], v[46:47], v[14:15]
	;; [unrolled: 1-line block ×5, first 2 shown]
	v_add_co_u32_e32 v12, vcc, s14, v52
	v_addc_co_u32_e32 v13, vcc, v29, v53, vcc
	v_fma_f64 v[34:35], v[34:35], v[48:49], v[14:15]
	global_load_dwordx4 v[12:15], v[12:13], off
	v_fma_f64 v[32:33], -v[32:33], v[48:49], v[18:19]
	v_fma_f64 v[36:37], -v[36:37], v[48:49], v[16:17]
	v_lshlrev_b64 v[18:19], 4, v[22:23]
	v_add_u32_e32 v22, 2, v25
	v_lshlrev_b64 v[52:53], 4, v[22:23]
	v_add_co_u32_e32 v46, vcc, s12, v18
	v_addc_co_u32_e32 v47, vcc, v28, v19, vcc
	v_add_co_u32_e32 v52, vcc, s14, v52
	v_addc_co_u32_e32 v53, vcc, v29, v53, vcc
	global_load_dwordx4 v[16:19], v[46:47], off
	v_add_u32_e32 v22, -6, v20
	v_lshlrev_b64 v[48:49], 4, v[22:23]
	v_add_u32_e32 v22, 3, v25
	v_add_co_u32_e32 v48, vcc, s12, v48
	v_addc_co_u32_e32 v49, vcc, v28, v49, vcc
	s_waitcnt vmcnt(1)
	v_fma_f64 v[32:33], v[38:39], v[12:13], v[32:33]
	v_fma_f64 v[30:31], v[40:41], v[12:13], v[30:31]
	;; [unrolled: 1-line block ×4, first 2 shown]
	v_fma_f64 v[40:41], -v[40:41], v[14:15], v[32:33]
	v_fma_f64 v[38:39], v[38:39], v[14:15], v[30:31]
	global_load_dwordx4 v[30:33], v[46:47], off offset:16
	v_fma_f64 v[44:45], -v[44:45], v[14:15], v[36:37]
	v_fma_f64 v[42:43], v[42:43], v[14:15], v[12:13]
	global_load_dwordx4 v[12:15], v[52:53], off
	v_lshlrev_b64 v[46:47], 4, v[22:23]
	global_load_dwordx4 v[34:37], v[48:49], off
	v_add_co_u32_e32 v46, vcc, s14, v46
	v_addc_co_u32_e32 v47, vcc, v29, v47, vcc
	v_add_u32_e32 v22, -4, v20
	v_lshlrev_b64 v[52:53], 4, v[22:23]
	v_add_u32_e32 v22, 4, v25
	s_waitcnt vmcnt(1)
	v_fma_f64 v[40:41], v[16:17], v[12:13], v[40:41]
	v_fma_f64 v[38:39], v[18:19], v[12:13], v[38:39]
	;; [unrolled: 1-line block ×4, first 2 shown]
	v_fma_f64 v[40:41], -v[18:19], v[14:15], v[40:41]
	v_fma_f64 v[38:39], v[16:17], v[14:15], v[38:39]
	v_fma_f64 v[42:43], -v[32:33], v[14:15], v[44:45]
	v_fma_f64 v[44:45], v[30:31], v[14:15], v[12:13]
	global_load_dwordx4 v[12:15], v[46:47], off
	global_load_dwordx4 v[16:19], v[48:49], off offset:16
	v_lshlrev_b64 v[48:49], 4, v[22:23]
	v_add_co_u32_e32 v46, vcc, s12, v52
	v_addc_co_u32_e32 v47, vcc, v28, v53, vcc
	v_add_co_u32_e32 v48, vcc, s14, v48
	v_addc_co_u32_e32 v49, vcc, v29, v49, vcc
	global_load_dwordx4 v[30:33], v[46:47], off
	v_add_u32_e32 v22, -2, v20
	v_lshlrev_b64 v[52:53], 4, v[22:23]
	v_add_u32_e32 v22, 5, v25
	v_lshlrev_b64 v[21:22], 4, v[22:23]
	v_add_u32_e32 v20, 56, v20
	s_waitcnt vmcnt(2)
	v_fma_f64 v[38:39], v[36:37], v[12:13], v[38:39]
	v_fma_f64 v[40:41], v[34:35], v[12:13], v[40:41]
	;; [unrolled: 1-line block ×3, first 2 shown]
	s_waitcnt vmcnt(1)
	v_fma_f64 v[38:39], v[16:17], v[12:13], v[42:43]
	v_fma_f64 v[12:13], v[18:19], v[12:13], v[44:45]
	v_fma_f64 v[54:55], -v[36:37], v[14:15], v[40:41]
	global_load_dwordx4 v[34:37], v[46:47], off offset:16
	v_add_co_u32_e32 v46, vcc, s12, v52
	v_addc_co_u32_e32 v47, vcc, v28, v53, vcc
	v_fma_f64 v[42:43], -v[18:19], v[14:15], v[38:39]
	v_fma_f64 v[44:45], v[16:17], v[14:15], v[12:13]
	global_load_dwordx4 v[12:15], v[48:49], off
	global_load_dwordx4 v[16:19], v[46:47], off
	global_load_dwordx4 v[38:41], v[46:47], off offset:16
	v_add_co_u32_e32 v21, vcc, s14, v21
	v_addc_co_u32_e32 v22, vcc, v29, v22, vcc
	s_waitcnt vmcnt(2)
	v_fma_f64 v[46:47], v[30:31], v[12:13], v[54:55]
	v_fma_f64 v[48:49], v[32:33], v[12:13], v[56:57]
	v_fma_f64 v[46:47], -v[32:33], v[14:15], v[46:47]
	v_fma_f64 v[48:49], v[30:31], v[14:15], v[48:49]
	global_load_dwordx4 v[30:33], v[21:22], off
	v_fma_f64 v[21:22], v[34:35], v[12:13], v[42:43]
	v_fma_f64 v[12:13], v[36:37], v[12:13], v[44:45]
	v_fma_f64 v[52:53], -v[36:37], v[14:15], v[21:22]
	v_add_u32_e32 v22, 6, v25
	v_lshlrev_b64 v[21:22], 4, v[22:23]
	v_fma_f64 v[54:55], v[34:35], v[14:15], v[12:13]
	v_add_co_u32_e32 v21, vcc, s14, v21
	v_addc_co_u32_e32 v22, vcc, v29, v22, vcc
	global_load_dwordx4 v[12:15], v[50:51], off
	global_load_dwordx4 v[34:37], v[50:51], off offset:16
	global_load_dwordx4 v[42:45], v[21:22], off
	v_cmp_ge_i32_e32 vcc, v24, v27
	s_or_b64 s[8:9], vcc, s[8:9]
	s_waitcnt vmcnt(3)
	v_fma_f64 v[21:22], v[16:17], v[30:31], v[46:47]
	v_fma_f64 v[25:26], v[18:19], v[30:31], v[48:49]
	;; [unrolled: 1-line block ×4, first 2 shown]
	v_fma_f64 v[18:19], -v[18:19], v[32:33], v[21:22]
	v_fma_f64 v[16:17], v[16:17], v[32:33], v[25:26]
	v_fma_f64 v[21:22], -v[40:41], v[32:33], v[46:47]
	v_fma_f64 v[25:26], v[38:39], v[32:33], v[30:31]
	s_waitcnt vmcnt(0)
	v_fma_f64 v[18:19], v[12:13], v[42:43], v[18:19]
	v_fma_f64 v[16:17], v[14:15], v[42:43], v[16:17]
	;; [unrolled: 1-line block ×4, first 2 shown]
	v_fma_f64 v[18:19], -v[14:15], v[44:45], v[18:19]
	v_fma_f64 v[12:13], v[12:13], v[44:45], v[16:17]
	v_fma_f64 v[16:17], -v[36:37], v[44:45], v[21:22]
	v_fma_f64 v[14:15], v[34:35], v[44:45], v[25:26]
	s_andn2_b64 exec, exec, s[8:9]
	s_cbranch_execnz .LBB253_7
; %bb.8:
	s_or_b64 exec, exec, s[8:9]
.LBB253_9:
	s_or_b64 exec, exec, s[6:7]
	s_cbranch_execz .LBB253_11
	s_branch .LBB253_16
.LBB253_10:
                                        ; implicit-def: $vgpr12_vgpr13
                                        ; implicit-def: $vgpr18_vgpr19
                                        ; implicit-def: $vgpr16_vgpr17
                                        ; implicit-def: $vgpr14_vgpr15
.LBB253_11:
	v_mov_b32_e32 v12, 0
	v_mov_b32_e32 v18, 0
	;; [unrolled: 1-line block ×8, first 2 shown]
	s_and_saveexec_b64 s[6:7], s[0:1]
	s_cbranch_execz .LBB253_15
; %bb.12:
	v_mad_u64_u32 v[20:21], s[0:1], v10, 14, 13
	v_mov_b32_e32 v12, 0
	v_mov_b32_e32 v18, 0
	;; [unrolled: 1-line block ×5, first 2 shown]
	s_mov_b64 s[0:1], 0
	v_mov_b32_e32 v24, s11
	v_mov_b32_e32 v23, 0
	;; [unrolled: 1-line block ×7, first 2 shown]
.LBB253_13:                             ; =>This Inner Loop Header: Depth=1
	v_ashrrev_i32_e32 v11, 31, v10
	v_lshlrev_b64 v[30:31], 2, v[10:11]
	v_add_u32_e32 v22, -13, v20
	v_lshlrev_b64 v[32:33], 4, v[22:23]
	v_add_co_u32_e32 v36, vcc, s10, v30
	v_add_u32_e32 v28, -6, v20
	v_mov_b32_e32 v29, v23
	v_addc_co_u32_e32 v37, vcc, v24, v31, vcc
	v_lshlrev_b64 v[28:29], 4, v[28:29]
	v_add_co_u32_e32 v38, vcc, s12, v32
	v_addc_co_u32_e32 v39, vcc, v25, v33, vcc
	v_add_co_u32_e32 v46, vcc, s12, v28
	v_addc_co_u32_e32 v47, vcc, v25, v29, vcc
	global_load_dword v11, v[36:37], off
	global_load_dwordx4 v[28:31], v[38:39], off
	global_load_dwordx4 v[32:35], v[38:39], off offset:16
	v_mov_b32_e32 v21, v23
	v_lshlrev_b64 v[21:22], 4, v[20:21]
	v_mov_b32_e32 v45, v23
	v_add_co_u32_e32 v21, vcc, s12, v21
	v_addc_co_u32_e32 v22, vcc, v25, v22, vcc
	v_add_u32_e32 v10, 4, v10
	s_waitcnt vmcnt(2)
	v_subrev_u32_e32 v11, s2, v11
	v_mul_lo_u32 v44, v11, 7
	v_lshlrev_b64 v[36:37], 4, v[44:45]
	v_add_co_u32_e32 v36, vcc, s14, v36
	v_addc_co_u32_e32 v37, vcc, v26, v37, vcc
	global_load_dwordx4 v[36:39], v[36:37], off
	s_waitcnt vmcnt(0)
	v_fma_f64 v[18:19], v[28:29], v[36:37], v[18:19]
	v_fma_f64 v[11:12], v[30:31], v[36:37], v[12:13]
	v_fma_f64 v[18:19], -v[30:31], v[38:39], v[18:19]
	v_fma_f64 v[48:49], v[28:29], v[38:39], v[11:12]
	global_load_dwordx4 v[28:31], v[46:47], off
	global_load_dwordx4 v[40:43], v[21:22], off
	v_add_u32_e32 v22, 1, v44
	s_waitcnt vmcnt(1)
	v_fma_f64 v[11:12], v[28:29], v[36:37], v[16:17]
	v_fma_f64 v[13:14], v[30:31], v[36:37], v[14:15]
	v_fma_f64 v[36:37], -v[30:31], v[38:39], v[11:12]
	v_lshlrev_b64 v[11:12], 4, v[22:23]
	v_add_u32_e32 v22, -5, v20
	v_fma_f64 v[38:39], v[28:29], v[38:39], v[13:14]
	v_lshlrev_b64 v[13:14], 4, v[22:23]
	v_add_co_u32_e32 v11, vcc, s14, v11
	v_addc_co_u32_e32 v12, vcc, v26, v12, vcc
	v_add_co_u32_e32 v15, vcc, s12, v13
	v_addc_co_u32_e32 v16, vcc, v25, v14, vcc
	global_load_dwordx4 v[11:14], v[11:12], off
	v_add_u32_e32 v22, -11, v20
	v_lshlrev_b64 v[28:29], 4, v[22:23]
	v_add_u32_e32 v22, 2, v44
	v_add_co_u32_e32 v28, vcc, s12, v28
	v_addc_co_u32_e32 v29, vcc, v25, v29, vcc
	s_waitcnt vmcnt(0)
	v_fma_f64 v[17:18], v[32:33], v[11:12], v[18:19]
	v_fma_f64 v[30:31], v[34:35], v[11:12], v[48:49]
	v_fma_f64 v[34:35], -v[34:35], v[13:14], v[17:18]
	global_load_dwordx4 v[15:18], v[15:16], off
	v_fma_f64 v[32:33], v[32:33], v[13:14], v[30:31]
	global_load_dwordx4 v[28:31], v[28:29], off
	s_waitcnt vmcnt(1)
	v_fma_f64 v[36:37], v[15:16], v[11:12], v[36:37]
	v_fma_f64 v[11:12], v[17:18], v[11:12], v[38:39]
	v_fma_f64 v[36:37], -v[17:18], v[13:14], v[36:37]
	v_fma_f64 v[38:39], v[15:16], v[13:14], v[11:12]
	v_lshlrev_b64 v[11:12], 4, v[22:23]
	v_add_u32_e32 v22, -4, v20
	v_lshlrev_b64 v[13:14], 4, v[22:23]
	v_add_co_u32_e32 v11, vcc, s14, v11
	v_addc_co_u32_e32 v12, vcc, v26, v12, vcc
	v_add_co_u32_e32 v15, vcc, s12, v13
	v_addc_co_u32_e32 v16, vcc, v25, v14, vcc
	global_load_dwordx4 v[11:14], v[11:12], off
	v_add_u32_e32 v22, -10, v20
	v_lshlrev_b64 v[45:46], 4, v[22:23]
	v_add_u32_e32 v22, 3, v44
	s_waitcnt vmcnt(0)
	v_fma_f64 v[17:18], v[28:29], v[11:12], v[34:35]
	v_fma_f64 v[32:33], v[30:31], v[11:12], v[32:33]
	v_fma_f64 v[34:35], -v[30:31], v[13:14], v[17:18]
	global_load_dwordx4 v[15:18], v[15:16], off
	v_fma_f64 v[32:33], v[28:29], v[13:14], v[32:33]
	v_add_co_u32_e32 v28, vcc, s12, v45
	v_addc_co_u32_e32 v29, vcc, v25, v46, vcc
	global_load_dwordx4 v[28:31], v[28:29], off
	s_waitcnt vmcnt(1)
	v_fma_f64 v[36:37], v[15:16], v[11:12], v[36:37]
	v_fma_f64 v[11:12], v[17:18], v[11:12], v[38:39]
	v_fma_f64 v[36:37], -v[17:18], v[13:14], v[36:37]
	v_fma_f64 v[38:39], v[15:16], v[13:14], v[11:12]
	v_lshlrev_b64 v[11:12], 4, v[22:23]
	v_add_u32_e32 v22, -3, v20
	v_lshlrev_b64 v[13:14], 4, v[22:23]
	v_add_co_u32_e32 v11, vcc, s14, v11
	v_addc_co_u32_e32 v12, vcc, v26, v12, vcc
	v_add_co_u32_e32 v15, vcc, s12, v13
	v_addc_co_u32_e32 v16, vcc, v25, v14, vcc
	global_load_dwordx4 v[11:14], v[11:12], off
	v_add_u32_e32 v22, -9, v20
	v_lshlrev_b64 v[45:46], 4, v[22:23]
	v_add_u32_e32 v22, 4, v44
	s_waitcnt vmcnt(0)
	v_fma_f64 v[17:18], v[28:29], v[11:12], v[34:35]
	v_fma_f64 v[32:33], v[30:31], v[11:12], v[32:33]
	v_fma_f64 v[34:35], -v[30:31], v[13:14], v[17:18]
	global_load_dwordx4 v[15:18], v[15:16], off
	v_fma_f64 v[32:33], v[28:29], v[13:14], v[32:33]
	v_add_co_u32_e32 v28, vcc, s12, v45
	v_addc_co_u32_e32 v29, vcc, v25, v46, vcc
	;; [unrolled: 25-line block ×3, first 2 shown]
	global_load_dwordx4 v[28:31], v[28:29], off
	s_waitcnt vmcnt(1)
	v_fma_f64 v[36:37], v[15:16], v[11:12], v[36:37]
	v_fma_f64 v[11:12], v[17:18], v[11:12], v[38:39]
	v_fma_f64 v[36:37], -v[17:18], v[13:14], v[36:37]
	v_fma_f64 v[38:39], v[15:16], v[13:14], v[11:12]
	v_lshlrev_b64 v[11:12], 4, v[22:23]
	v_add_u32_e32 v22, -1, v20
	v_add_co_u32_e32 v11, vcc, s14, v11
	v_addc_co_u32_e32 v12, vcc, v26, v12, vcc
	global_load_dwordx4 v[11:14], v[11:12], off
	v_lshlrev_b64 v[15:16], 4, v[22:23]
	v_add_u32_e32 v22, -7, v20
	v_add_co_u32_e32 v15, vcc, s12, v15
	v_addc_co_u32_e32 v16, vcc, v25, v16, vcc
	v_lshlrev_b64 v[45:46], 4, v[22:23]
	v_add_u32_e32 v22, 6, v44
	v_lshlrev_b64 v[21:22], 4, v[22:23]
	v_add_u32_e32 v20, 56, v20
	s_waitcnt vmcnt(0)
	v_fma_f64 v[17:18], v[28:29], v[11:12], v[34:35]
	v_fma_f64 v[32:33], v[30:31], v[11:12], v[32:33]
	v_fma_f64 v[34:35], -v[30:31], v[13:14], v[17:18]
	global_load_dwordx4 v[15:18], v[15:16], off
	v_fma_f64 v[32:33], v[28:29], v[13:14], v[32:33]
	v_add_co_u32_e32 v28, vcc, s12, v45
	v_addc_co_u32_e32 v29, vcc, v25, v46, vcc
	global_load_dwordx4 v[28:31], v[28:29], off
	v_add_co_u32_e32 v21, vcc, s14, v21
	v_addc_co_u32_e32 v22, vcc, v26, v22, vcc
	v_cmp_ge_i32_e32 vcc, v10, v27
	s_or_b64 s[0:1], vcc, s[0:1]
	s_waitcnt vmcnt(1)
	v_fma_f64 v[36:37], v[15:16], v[11:12], v[36:37]
	v_fma_f64 v[11:12], v[17:18], v[11:12], v[38:39]
	v_fma_f64 v[17:18], -v[17:18], v[13:14], v[36:37]
	v_fma_f64 v[36:37], v[15:16], v[13:14], v[11:12]
	global_load_dwordx4 v[12:15], v[21:22], off
	s_waitcnt vmcnt(0)
	v_fma_f64 v[21:22], v[28:29], v[12:13], v[34:35]
	v_fma_f64 v[32:33], v[30:31], v[12:13], v[32:33]
	;; [unrolled: 1-line block ×4, first 2 shown]
	v_fma_f64 v[18:19], -v[30:31], v[14:15], v[21:22]
	v_fma_f64 v[12:13], v[28:29], v[14:15], v[32:33]
	v_fma_f64 v[16:17], -v[42:43], v[14:15], v[16:17]
	v_fma_f64 v[14:15], v[40:41], v[14:15], v[34:35]
	s_andn2_b64 exec, exec, s[0:1]
	s_cbranch_execnz .LBB253_13
; %bb.14:
	s_or_b64 exec, exec, s[0:1]
.LBB253_15:
	s_or_b64 exec, exec, s[6:7]
.LBB253_16:
	v_mov_b32_dpp v10, v18 row_shr:1 row_mask:0xf bank_mask:0xf
	v_mov_b32_dpp v11, v19 row_shr:1 row_mask:0xf bank_mask:0xf
	v_add_f64 v[10:11], v[18:19], v[10:11]
	v_mov_b32_dpp v18, v12 row_shr:1 row_mask:0xf bank_mask:0xf
	v_mov_b32_dpp v19, v13 row_shr:1 row_mask:0xf bank_mask:0xf
	v_add_f64 v[12:13], v[12:13], v[18:19]
	;; [unrolled: 3-line block ×4, first 2 shown]
	v_mov_b32_dpp v24, v10 row_shr:2 row_mask:0xf bank_mask:0xf
	v_mov_b32_dpp v25, v11 row_shr:2 row_mask:0xf bank_mask:0xf
	;; [unrolled: 1-line block ×6, first 2 shown]
	v_cmp_eq_u32_e32 vcc, 3, v0
	v_mov_b32_dpp v20, v14 row_shr:2 row_mask:0xf bank_mask:0xf
	v_mov_b32_dpp v21, v15 row_shr:2 row_mask:0xf bank_mask:0xf
	s_and_b64 exec, exec, vcc
	s_cbranch_execz .LBB253_21
; %bb.17:
	v_cmp_eq_f64_e32 vcc, 0, v[5:6]
	v_cmp_eq_f64_e64 s[0:1], 0, v[7:8]
	v_add_f64 v[10:11], v[10:11], v[24:25]
	v_add_f64 v[16:17], v[12:13], v[16:17]
	;; [unrolled: 1-line block ×4, first 2 shown]
	s_load_dwordx2 s[2:3], s[4:5], 0x48
	s_and_b64 s[0:1], vcc, s[0:1]
	s_and_saveexec_b64 s[4:5], s[0:1]
	s_xor_b64 s[0:1], exec, s[4:5]
	s_cbranch_execz .LBB253_19
; %bb.18:
	v_mul_f64 v[5:6], v[16:17], -v[3:4]
	v_mul_f64 v[7:8], v[1:2], v[16:17]
	v_mul_f64 v[16:17], v[14:15], -v[3:4]
	v_mul_f64 v[14:15], v[1:2], v[14:15]
	v_lshlrev_b32_e32 v9, 1, v9
	s_waitcnt lgkmcnt(0)
	v_mov_b32_e32 v18, s3
	v_fma_f64 v[5:6], v[1:2], v[10:11], v[5:6]
	v_fma_f64 v[7:8], v[3:4], v[10:11], v[7:8]
	;; [unrolled: 1-line block ×4, first 2 shown]
	v_ashrrev_i32_e32 v10, 31, v9
	v_lshlrev_b64 v[9:10], 4, v[9:10]
                                        ; implicit-def: $vgpr16_vgpr17
                                        ; implicit-def: $vgpr12_vgpr13
                                        ; implicit-def: $vgpr14_vgpr15
	v_add_co_u32_e32 v9, vcc, s2, v9
	v_addc_co_u32_e32 v10, vcc, v18, v10, vcc
	global_store_dwordx4 v[9:10], v[5:8], off
	global_store_dwordx4 v[9:10], v[0:3], off offset:16
                                        ; implicit-def: $vgpr9
                                        ; implicit-def: $vgpr10_vgpr11
                                        ; implicit-def: $vgpr7_vgpr8
                                        ; implicit-def: $vgpr3_vgpr4
.LBB253_19:
	s_andn2_saveexec_b64 s[0:1], s[0:1]
	s_cbranch_execz .LBB253_21
; %bb.20:
	v_lshlrev_b32_e32 v18, 1, v9
	v_ashrrev_i32_e32 v19, 31, v18
	v_lshlrev_b64 v[18:19], 4, v[18:19]
	s_waitcnt lgkmcnt(0)
	v_mov_b32_e32 v0, s3
	v_add_co_u32_e32 v26, vcc, s2, v18
	v_addc_co_u32_e32 v27, vcc, v0, v19, vcc
	global_load_dwordx4 v[18:21], v[26:27], off
	global_load_dwordx4 v[22:25], v[26:27], off offset:16
	v_mul_f64 v[28:29], v[16:17], -v[3:4]
	v_mul_f64 v[16:17], v[1:2], v[16:17]
	v_mul_f64 v[30:31], v[14:15], -v[3:4]
	v_mul_f64 v[14:15], v[1:2], v[14:15]
	v_fma_f64 v[28:29], v[1:2], v[10:11], v[28:29]
	v_fma_f64 v[9:10], v[3:4], v[10:11], v[16:17]
	;; [unrolled: 1-line block ×4, first 2 shown]
	s_waitcnt vmcnt(1)
	v_fma_f64 v[11:12], v[5:6], v[18:19], v[28:29]
	v_fma_f64 v[9:10], v[7:8], v[18:19], v[9:10]
	s_waitcnt vmcnt(0)
	v_fma_f64 v[13:14], v[5:6], v[22:23], v[0:1]
	v_fma_f64 v[15:16], v[7:8], v[22:23], v[2:3]
	v_fma_f64 v[0:1], -v[7:8], v[20:21], v[11:12]
	v_fma_f64 v[2:3], v[5:6], v[20:21], v[9:10]
	v_fma_f64 v[7:8], -v[7:8], v[24:25], v[13:14]
	v_fma_f64 v[9:10], v[5:6], v[24:25], v[15:16]
	global_store_dwordx4 v[26:27], v[0:3], off
	global_store_dwordx4 v[26:27], v[7:10], off offset:16
.LBB253_21:
	s_endpgm
	.section	.rodata,"a",@progbits
	.p2align	6, 0x0
	.amdhsa_kernel _ZN9rocsparseL19gebsrmvn_2xn_kernelILj128ELj7ELj4E21rocsparse_complex_numIdEEEvi20rocsparse_direction_NS_24const_host_device_scalarIT2_EEPKiS8_PKS5_SA_S6_PS5_21rocsparse_index_base_b
		.amdhsa_group_segment_fixed_size 0
		.amdhsa_private_segment_fixed_size 0
		.amdhsa_kernarg_size 88
		.amdhsa_user_sgpr_count 6
		.amdhsa_user_sgpr_private_segment_buffer 1
		.amdhsa_user_sgpr_dispatch_ptr 0
		.amdhsa_user_sgpr_queue_ptr 0
		.amdhsa_user_sgpr_kernarg_segment_ptr 1
		.amdhsa_user_sgpr_dispatch_id 0
		.amdhsa_user_sgpr_flat_scratch_init 0
		.amdhsa_user_sgpr_private_segment_size 0
		.amdhsa_uses_dynamic_stack 0
		.amdhsa_system_sgpr_private_segment_wavefront_offset 0
		.amdhsa_system_sgpr_workgroup_id_x 1
		.amdhsa_system_sgpr_workgroup_id_y 0
		.amdhsa_system_sgpr_workgroup_id_z 0
		.amdhsa_system_sgpr_workgroup_info 0
		.amdhsa_system_vgpr_workitem_id 0
		.amdhsa_next_free_vgpr 58
		.amdhsa_next_free_sgpr 16
		.amdhsa_reserve_vcc 1
		.amdhsa_reserve_flat_scratch 0
		.amdhsa_float_round_mode_32 0
		.amdhsa_float_round_mode_16_64 0
		.amdhsa_float_denorm_mode_32 3
		.amdhsa_float_denorm_mode_16_64 3
		.amdhsa_dx10_clamp 1
		.amdhsa_ieee_mode 1
		.amdhsa_fp16_overflow 0
		.amdhsa_exception_fp_ieee_invalid_op 0
		.amdhsa_exception_fp_denorm_src 0
		.amdhsa_exception_fp_ieee_div_zero 0
		.amdhsa_exception_fp_ieee_overflow 0
		.amdhsa_exception_fp_ieee_underflow 0
		.amdhsa_exception_fp_ieee_inexact 0
		.amdhsa_exception_int_div_zero 0
	.end_amdhsa_kernel
	.section	.text._ZN9rocsparseL19gebsrmvn_2xn_kernelILj128ELj7ELj4E21rocsparse_complex_numIdEEEvi20rocsparse_direction_NS_24const_host_device_scalarIT2_EEPKiS8_PKS5_SA_S6_PS5_21rocsparse_index_base_b,"axG",@progbits,_ZN9rocsparseL19gebsrmvn_2xn_kernelILj128ELj7ELj4E21rocsparse_complex_numIdEEEvi20rocsparse_direction_NS_24const_host_device_scalarIT2_EEPKiS8_PKS5_SA_S6_PS5_21rocsparse_index_base_b,comdat
.Lfunc_end253:
	.size	_ZN9rocsparseL19gebsrmvn_2xn_kernelILj128ELj7ELj4E21rocsparse_complex_numIdEEEvi20rocsparse_direction_NS_24const_host_device_scalarIT2_EEPKiS8_PKS5_SA_S6_PS5_21rocsparse_index_base_b, .Lfunc_end253-_ZN9rocsparseL19gebsrmvn_2xn_kernelILj128ELj7ELj4E21rocsparse_complex_numIdEEEvi20rocsparse_direction_NS_24const_host_device_scalarIT2_EEPKiS8_PKS5_SA_S6_PS5_21rocsparse_index_base_b
                                        ; -- End function
	.set _ZN9rocsparseL19gebsrmvn_2xn_kernelILj128ELj7ELj4E21rocsparse_complex_numIdEEEvi20rocsparse_direction_NS_24const_host_device_scalarIT2_EEPKiS8_PKS5_SA_S6_PS5_21rocsparse_index_base_b.num_vgpr, 58
	.set _ZN9rocsparseL19gebsrmvn_2xn_kernelILj128ELj7ELj4E21rocsparse_complex_numIdEEEvi20rocsparse_direction_NS_24const_host_device_scalarIT2_EEPKiS8_PKS5_SA_S6_PS5_21rocsparse_index_base_b.num_agpr, 0
	.set _ZN9rocsparseL19gebsrmvn_2xn_kernelILj128ELj7ELj4E21rocsparse_complex_numIdEEEvi20rocsparse_direction_NS_24const_host_device_scalarIT2_EEPKiS8_PKS5_SA_S6_PS5_21rocsparse_index_base_b.numbered_sgpr, 16
	.set _ZN9rocsparseL19gebsrmvn_2xn_kernelILj128ELj7ELj4E21rocsparse_complex_numIdEEEvi20rocsparse_direction_NS_24const_host_device_scalarIT2_EEPKiS8_PKS5_SA_S6_PS5_21rocsparse_index_base_b.num_named_barrier, 0
	.set _ZN9rocsparseL19gebsrmvn_2xn_kernelILj128ELj7ELj4E21rocsparse_complex_numIdEEEvi20rocsparse_direction_NS_24const_host_device_scalarIT2_EEPKiS8_PKS5_SA_S6_PS5_21rocsparse_index_base_b.private_seg_size, 0
	.set _ZN9rocsparseL19gebsrmvn_2xn_kernelILj128ELj7ELj4E21rocsparse_complex_numIdEEEvi20rocsparse_direction_NS_24const_host_device_scalarIT2_EEPKiS8_PKS5_SA_S6_PS5_21rocsparse_index_base_b.uses_vcc, 1
	.set _ZN9rocsparseL19gebsrmvn_2xn_kernelILj128ELj7ELj4E21rocsparse_complex_numIdEEEvi20rocsparse_direction_NS_24const_host_device_scalarIT2_EEPKiS8_PKS5_SA_S6_PS5_21rocsparse_index_base_b.uses_flat_scratch, 0
	.set _ZN9rocsparseL19gebsrmvn_2xn_kernelILj128ELj7ELj4E21rocsparse_complex_numIdEEEvi20rocsparse_direction_NS_24const_host_device_scalarIT2_EEPKiS8_PKS5_SA_S6_PS5_21rocsparse_index_base_b.has_dyn_sized_stack, 0
	.set _ZN9rocsparseL19gebsrmvn_2xn_kernelILj128ELj7ELj4E21rocsparse_complex_numIdEEEvi20rocsparse_direction_NS_24const_host_device_scalarIT2_EEPKiS8_PKS5_SA_S6_PS5_21rocsparse_index_base_b.has_recursion, 0
	.set _ZN9rocsparseL19gebsrmvn_2xn_kernelILj128ELj7ELj4E21rocsparse_complex_numIdEEEvi20rocsparse_direction_NS_24const_host_device_scalarIT2_EEPKiS8_PKS5_SA_S6_PS5_21rocsparse_index_base_b.has_indirect_call, 0
	.section	.AMDGPU.csdata,"",@progbits
; Kernel info:
; codeLenInByte = 3204
; TotalNumSgprs: 20
; NumVgprs: 58
; ScratchSize: 0
; MemoryBound: 0
; FloatMode: 240
; IeeeMode: 1
; LDSByteSize: 0 bytes/workgroup (compile time only)
; SGPRBlocks: 2
; VGPRBlocks: 14
; NumSGPRsForWavesPerEU: 20
; NumVGPRsForWavesPerEU: 58
; Occupancy: 4
; WaveLimiterHint : 1
; COMPUTE_PGM_RSRC2:SCRATCH_EN: 0
; COMPUTE_PGM_RSRC2:USER_SGPR: 6
; COMPUTE_PGM_RSRC2:TRAP_HANDLER: 0
; COMPUTE_PGM_RSRC2:TGID_X_EN: 1
; COMPUTE_PGM_RSRC2:TGID_Y_EN: 0
; COMPUTE_PGM_RSRC2:TGID_Z_EN: 0
; COMPUTE_PGM_RSRC2:TIDIG_COMP_CNT: 0
	.section	.text._ZN9rocsparseL19gebsrmvn_2xn_kernelILj128ELj7ELj8E21rocsparse_complex_numIdEEEvi20rocsparse_direction_NS_24const_host_device_scalarIT2_EEPKiS8_PKS5_SA_S6_PS5_21rocsparse_index_base_b,"axG",@progbits,_ZN9rocsparseL19gebsrmvn_2xn_kernelILj128ELj7ELj8E21rocsparse_complex_numIdEEEvi20rocsparse_direction_NS_24const_host_device_scalarIT2_EEPKiS8_PKS5_SA_S6_PS5_21rocsparse_index_base_b,comdat
	.globl	_ZN9rocsparseL19gebsrmvn_2xn_kernelILj128ELj7ELj8E21rocsparse_complex_numIdEEEvi20rocsparse_direction_NS_24const_host_device_scalarIT2_EEPKiS8_PKS5_SA_S6_PS5_21rocsparse_index_base_b ; -- Begin function _ZN9rocsparseL19gebsrmvn_2xn_kernelILj128ELj7ELj8E21rocsparse_complex_numIdEEEvi20rocsparse_direction_NS_24const_host_device_scalarIT2_EEPKiS8_PKS5_SA_S6_PS5_21rocsparse_index_base_b
	.p2align	8
	.type	_ZN9rocsparseL19gebsrmvn_2xn_kernelILj128ELj7ELj8E21rocsparse_complex_numIdEEEvi20rocsparse_direction_NS_24const_host_device_scalarIT2_EEPKiS8_PKS5_SA_S6_PS5_21rocsparse_index_base_b,@function
_ZN9rocsparseL19gebsrmvn_2xn_kernelILj128ELj7ELj8E21rocsparse_complex_numIdEEEvi20rocsparse_direction_NS_24const_host_device_scalarIT2_EEPKiS8_PKS5_SA_S6_PS5_21rocsparse_index_base_b: ; @_ZN9rocsparseL19gebsrmvn_2xn_kernelILj128ELj7ELj8E21rocsparse_complex_numIdEEEvi20rocsparse_direction_NS_24const_host_device_scalarIT2_EEPKiS8_PKS5_SA_S6_PS5_21rocsparse_index_base_b
; %bb.0:
	s_load_dwordx2 s[0:1], s[4:5], 0x8
	s_load_dwordx2 s[8:9], s[4:5], 0x38
	;; [unrolled: 1-line block ×3, first 2 shown]
	s_add_u32 s7, s4, 8
	s_addc_u32 s10, s5, 0
	s_add_u32 s11, s4, 56
	s_addc_u32 s12, s5, 0
	s_waitcnt lgkmcnt(0)
	s_bitcmp1_b32 s3, 0
	s_cselect_b32 s1, s10, s1
	s_cselect_b32 s0, s7, s0
	v_mov_b32_e32 v1, s0
	v_mov_b32_e32 v2, s1
	flat_load_dwordx4 v[1:4], v[1:2]
	s_cselect_b32 s0, s12, s9
	s_cselect_b32 s1, s11, s8
	v_mov_b32_e32 v5, s1
	v_mov_b32_e32 v6, s0
	flat_load_dwordx4 v[5:8], v[5:6]
	s_waitcnt vmcnt(0) lgkmcnt(0)
	v_cmp_eq_f64_e32 vcc, 0, v[1:2]
	v_cmp_eq_f64_e64 s[0:1], 0, v[3:4]
	s_and_b64 s[10:11], vcc, s[0:1]
	s_mov_b64 s[0:1], -1
	s_and_saveexec_b64 s[8:9], s[10:11]
	s_cbranch_execz .LBB254_2
; %bb.1:
	v_cmp_neq_f64_e32 vcc, 1.0, v[5:6]
	v_cmp_neq_f64_e64 s[0:1], 0, v[7:8]
	s_or_b64 s[0:1], vcc, s[0:1]
	s_orn2_b64 s[0:1], s[0:1], exec
.LBB254_2:
	s_or_b64 exec, exec, s[8:9]
	s_and_saveexec_b64 s[8:9], s[0:1]
	s_cbranch_execz .LBB254_21
; %bb.3:
	s_load_dwordx2 s[0:1], s[4:5], 0x0
	v_lshrrev_b32_e32 v9, 3, v0
	v_lshl_or_b32 v9, s6, 4, v9
	s_waitcnt lgkmcnt(0)
	v_cmp_gt_i32_e32 vcc, s0, v9
	s_and_b64 exec, exec, vcc
	s_cbranch_execz .LBB254_21
; %bb.4:
	s_load_dwordx8 s[8:15], s[4:5], 0x18
	v_ashrrev_i32_e32 v10, 31, v9
	v_lshlrev_b64 v[10:11], 2, v[9:10]
	v_and_b32_e32 v0, 7, v0
	s_cmp_lg_u32 s1, 0
	s_waitcnt lgkmcnt(0)
	v_mov_b32_e32 v12, s9
	v_add_co_u32_e32 v10, vcc, s8, v10
	v_addc_co_u32_e32 v11, vcc, v12, v11, vcc
	global_load_dwordx2 v[10:11], v[10:11], off
	s_waitcnt vmcnt(0)
	v_subrev_u32_e32 v10, s2, v10
	v_subrev_u32_e32 v27, s2, v11
	v_add_u32_e32 v10, v10, v0
	v_cmp_lt_i32_e64 s[0:1], v10, v27
	s_cbranch_scc0 .LBB254_10
; %bb.5:
	v_mov_b32_e32 v12, 0
	v_mov_b32_e32 v18, 0
	;; [unrolled: 1-line block ×8, first 2 shown]
	s_and_saveexec_b64 s[6:7], s[0:1]
	s_cbranch_execz .LBB254_9
; %bb.6:
	v_mad_u64_u32 v[20:21], s[8:9], v10, 14, 12
	v_mov_b32_e32 v12, 0
	v_mov_b32_e32 v18, 0
	;; [unrolled: 1-line block ×5, first 2 shown]
	s_mov_b64 s[8:9], 0
	v_mov_b32_e32 v11, s11
	v_mov_b32_e32 v23, 0
	;; [unrolled: 1-line block ×8, first 2 shown]
.LBB254_7:                              ; =>This Inner Loop Header: Depth=1
	v_ashrrev_i32_e32 v25, 31, v24
	v_lshlrev_b64 v[30:31], 2, v[24:25]
	v_add_u32_e32 v22, -12, v20
	v_lshlrev_b64 v[32:33], 4, v[22:23]
	v_add_co_u32_e32 v38, vcc, s10, v30
	v_mov_b32_e32 v21, v23
	v_addc_co_u32_e32 v39, vcc, v11, v31, vcc
	v_lshlrev_b64 v[34:35], 4, v[20:21]
	v_add_co_u32_e32 v40, vcc, s12, v32
	v_addc_co_u32_e32 v41, vcc, v28, v33, vcc
	v_add_co_u32_e32 v50, vcc, s12, v34
	v_addc_co_u32_e32 v51, vcc, v28, v35, vcc
	global_load_dword v25, v[38:39], off
	global_load_dwordx4 v[30:33], v[40:41], off
	global_load_dwordx4 v[34:37], v[40:41], off offset:16
	v_add_u32_e32 v22, -10, v20
	v_lshlrev_b64 v[21:22], 4, v[22:23]
	v_mov_b32_e32 v26, v23
	v_add_co_u32_e32 v21, vcc, s12, v21
	v_addc_co_u32_e32 v22, vcc, v28, v22, vcc
	global_load_dwordx4 v[38:41], v[21:22], off
	global_load_dwordx4 v[42:45], v[21:22], off offset:16
	v_add_u32_e32 v24, 8, v24
	s_waitcnt vmcnt(4)
	v_subrev_u32_e32 v21, s2, v25
	v_mul_lo_u32 v25, v21, 7
	v_lshlrev_b64 v[46:47], 4, v[25:26]
	v_add_u32_e32 v22, 1, v25
	v_add_co_u32_e32 v46, vcc, s14, v46
	v_addc_co_u32_e32 v47, vcc, v29, v47, vcc
	global_load_dwordx4 v[46:49], v[46:47], off
	v_lshlrev_b64 v[52:53], 4, v[22:23]
	v_add_u32_e32 v22, -8, v20
	s_waitcnt vmcnt(0)
	v_fma_f64 v[12:13], v[32:33], v[46:47], v[12:13]
	v_fma_f64 v[14:15], v[36:37], v[46:47], v[14:15]
	;; [unrolled: 1-line block ×5, first 2 shown]
	v_add_co_u32_e32 v12, vcc, s14, v52
	v_addc_co_u32_e32 v13, vcc, v29, v53, vcc
	v_fma_f64 v[34:35], v[34:35], v[48:49], v[14:15]
	global_load_dwordx4 v[12:15], v[12:13], off
	v_fma_f64 v[32:33], -v[32:33], v[48:49], v[18:19]
	v_fma_f64 v[36:37], -v[36:37], v[48:49], v[16:17]
	v_lshlrev_b64 v[18:19], 4, v[22:23]
	v_add_u32_e32 v22, 2, v25
	v_lshlrev_b64 v[52:53], 4, v[22:23]
	v_add_co_u32_e32 v46, vcc, s12, v18
	v_addc_co_u32_e32 v47, vcc, v28, v19, vcc
	v_add_co_u32_e32 v52, vcc, s14, v52
	v_addc_co_u32_e32 v53, vcc, v29, v53, vcc
	global_load_dwordx4 v[16:19], v[46:47], off
	v_add_u32_e32 v22, -6, v20
	v_lshlrev_b64 v[48:49], 4, v[22:23]
	v_add_u32_e32 v22, 3, v25
	v_add_co_u32_e32 v48, vcc, s12, v48
	v_addc_co_u32_e32 v49, vcc, v28, v49, vcc
	s_waitcnt vmcnt(1)
	v_fma_f64 v[32:33], v[38:39], v[12:13], v[32:33]
	v_fma_f64 v[30:31], v[40:41], v[12:13], v[30:31]
	;; [unrolled: 1-line block ×4, first 2 shown]
	v_fma_f64 v[40:41], -v[40:41], v[14:15], v[32:33]
	v_fma_f64 v[38:39], v[38:39], v[14:15], v[30:31]
	global_load_dwordx4 v[30:33], v[46:47], off offset:16
	v_fma_f64 v[44:45], -v[44:45], v[14:15], v[36:37]
	v_fma_f64 v[42:43], v[42:43], v[14:15], v[12:13]
	global_load_dwordx4 v[12:15], v[52:53], off
	v_lshlrev_b64 v[46:47], 4, v[22:23]
	global_load_dwordx4 v[34:37], v[48:49], off
	v_add_co_u32_e32 v46, vcc, s14, v46
	v_addc_co_u32_e32 v47, vcc, v29, v47, vcc
	v_add_u32_e32 v22, -4, v20
	v_lshlrev_b64 v[52:53], 4, v[22:23]
	v_add_u32_e32 v22, 4, v25
	s_waitcnt vmcnt(1)
	v_fma_f64 v[40:41], v[16:17], v[12:13], v[40:41]
	v_fma_f64 v[38:39], v[18:19], v[12:13], v[38:39]
	;; [unrolled: 1-line block ×4, first 2 shown]
	v_fma_f64 v[40:41], -v[18:19], v[14:15], v[40:41]
	v_fma_f64 v[38:39], v[16:17], v[14:15], v[38:39]
	v_fma_f64 v[42:43], -v[32:33], v[14:15], v[44:45]
	v_fma_f64 v[44:45], v[30:31], v[14:15], v[12:13]
	global_load_dwordx4 v[12:15], v[46:47], off
	global_load_dwordx4 v[16:19], v[48:49], off offset:16
	v_lshlrev_b64 v[48:49], 4, v[22:23]
	v_add_co_u32_e32 v46, vcc, s12, v52
	v_addc_co_u32_e32 v47, vcc, v28, v53, vcc
	v_add_co_u32_e32 v48, vcc, s14, v48
	v_addc_co_u32_e32 v49, vcc, v29, v49, vcc
	global_load_dwordx4 v[30:33], v[46:47], off
	v_add_u32_e32 v22, -2, v20
	v_lshlrev_b64 v[52:53], 4, v[22:23]
	v_add_u32_e32 v22, 5, v25
	v_lshlrev_b64 v[21:22], 4, v[22:23]
	v_add_u32_e32 v20, 0x70, v20
	s_waitcnt vmcnt(2)
	v_fma_f64 v[38:39], v[36:37], v[12:13], v[38:39]
	v_fma_f64 v[40:41], v[34:35], v[12:13], v[40:41]
	;; [unrolled: 1-line block ×3, first 2 shown]
	s_waitcnt vmcnt(1)
	v_fma_f64 v[38:39], v[16:17], v[12:13], v[42:43]
	v_fma_f64 v[12:13], v[18:19], v[12:13], v[44:45]
	v_fma_f64 v[54:55], -v[36:37], v[14:15], v[40:41]
	global_load_dwordx4 v[34:37], v[46:47], off offset:16
	v_add_co_u32_e32 v46, vcc, s12, v52
	v_addc_co_u32_e32 v47, vcc, v28, v53, vcc
	v_fma_f64 v[42:43], -v[18:19], v[14:15], v[38:39]
	v_fma_f64 v[44:45], v[16:17], v[14:15], v[12:13]
	global_load_dwordx4 v[12:15], v[48:49], off
	global_load_dwordx4 v[16:19], v[46:47], off
	global_load_dwordx4 v[38:41], v[46:47], off offset:16
	v_add_co_u32_e32 v21, vcc, s14, v21
	v_addc_co_u32_e32 v22, vcc, v29, v22, vcc
	s_waitcnt vmcnt(2)
	v_fma_f64 v[46:47], v[30:31], v[12:13], v[54:55]
	v_fma_f64 v[48:49], v[32:33], v[12:13], v[56:57]
	v_fma_f64 v[46:47], -v[32:33], v[14:15], v[46:47]
	v_fma_f64 v[48:49], v[30:31], v[14:15], v[48:49]
	global_load_dwordx4 v[30:33], v[21:22], off
	v_fma_f64 v[21:22], v[34:35], v[12:13], v[42:43]
	v_fma_f64 v[12:13], v[36:37], v[12:13], v[44:45]
	v_fma_f64 v[52:53], -v[36:37], v[14:15], v[21:22]
	v_add_u32_e32 v22, 6, v25
	v_lshlrev_b64 v[21:22], 4, v[22:23]
	v_fma_f64 v[54:55], v[34:35], v[14:15], v[12:13]
	v_add_co_u32_e32 v21, vcc, s14, v21
	v_addc_co_u32_e32 v22, vcc, v29, v22, vcc
	global_load_dwordx4 v[12:15], v[50:51], off
	global_load_dwordx4 v[34:37], v[50:51], off offset:16
	global_load_dwordx4 v[42:45], v[21:22], off
	v_cmp_ge_i32_e32 vcc, v24, v27
	s_or_b64 s[8:9], vcc, s[8:9]
	s_waitcnt vmcnt(3)
	v_fma_f64 v[21:22], v[16:17], v[30:31], v[46:47]
	v_fma_f64 v[25:26], v[18:19], v[30:31], v[48:49]
	;; [unrolled: 1-line block ×4, first 2 shown]
	v_fma_f64 v[18:19], -v[18:19], v[32:33], v[21:22]
	v_fma_f64 v[16:17], v[16:17], v[32:33], v[25:26]
	v_fma_f64 v[21:22], -v[40:41], v[32:33], v[46:47]
	v_fma_f64 v[25:26], v[38:39], v[32:33], v[30:31]
	s_waitcnt vmcnt(0)
	v_fma_f64 v[18:19], v[12:13], v[42:43], v[18:19]
	v_fma_f64 v[16:17], v[14:15], v[42:43], v[16:17]
	;; [unrolled: 1-line block ×4, first 2 shown]
	v_fma_f64 v[18:19], -v[14:15], v[44:45], v[18:19]
	v_fma_f64 v[12:13], v[12:13], v[44:45], v[16:17]
	v_fma_f64 v[16:17], -v[36:37], v[44:45], v[21:22]
	v_fma_f64 v[14:15], v[34:35], v[44:45], v[25:26]
	s_andn2_b64 exec, exec, s[8:9]
	s_cbranch_execnz .LBB254_7
; %bb.8:
	s_or_b64 exec, exec, s[8:9]
.LBB254_9:
	s_or_b64 exec, exec, s[6:7]
	s_cbranch_execz .LBB254_11
	s_branch .LBB254_16
.LBB254_10:
                                        ; implicit-def: $vgpr12_vgpr13
                                        ; implicit-def: $vgpr18_vgpr19
                                        ; implicit-def: $vgpr16_vgpr17
                                        ; implicit-def: $vgpr14_vgpr15
.LBB254_11:
	v_mov_b32_e32 v12, 0
	v_mov_b32_e32 v18, 0
	;; [unrolled: 1-line block ×8, first 2 shown]
	s_and_saveexec_b64 s[6:7], s[0:1]
	s_cbranch_execz .LBB254_15
; %bb.12:
	v_mad_u64_u32 v[20:21], s[0:1], v10, 14, 13
	v_mov_b32_e32 v12, 0
	v_mov_b32_e32 v18, 0
	;; [unrolled: 1-line block ×5, first 2 shown]
	s_mov_b64 s[0:1], 0
	v_mov_b32_e32 v24, s11
	v_mov_b32_e32 v23, 0
	;; [unrolled: 1-line block ×7, first 2 shown]
.LBB254_13:                             ; =>This Inner Loop Header: Depth=1
	v_ashrrev_i32_e32 v11, 31, v10
	v_lshlrev_b64 v[30:31], 2, v[10:11]
	v_add_u32_e32 v22, -13, v20
	v_lshlrev_b64 v[32:33], 4, v[22:23]
	v_add_co_u32_e32 v36, vcc, s10, v30
	v_add_u32_e32 v28, -6, v20
	v_mov_b32_e32 v29, v23
	v_addc_co_u32_e32 v37, vcc, v24, v31, vcc
	v_lshlrev_b64 v[28:29], 4, v[28:29]
	v_add_co_u32_e32 v38, vcc, s12, v32
	v_addc_co_u32_e32 v39, vcc, v25, v33, vcc
	v_add_co_u32_e32 v46, vcc, s12, v28
	v_addc_co_u32_e32 v47, vcc, v25, v29, vcc
	global_load_dword v11, v[36:37], off
	global_load_dwordx4 v[28:31], v[38:39], off
	global_load_dwordx4 v[32:35], v[38:39], off offset:16
	v_mov_b32_e32 v21, v23
	v_lshlrev_b64 v[21:22], 4, v[20:21]
	v_mov_b32_e32 v45, v23
	v_add_co_u32_e32 v21, vcc, s12, v21
	v_addc_co_u32_e32 v22, vcc, v25, v22, vcc
	v_add_u32_e32 v10, 8, v10
	s_waitcnt vmcnt(2)
	v_subrev_u32_e32 v11, s2, v11
	v_mul_lo_u32 v44, v11, 7
	v_lshlrev_b64 v[36:37], 4, v[44:45]
	v_add_co_u32_e32 v36, vcc, s14, v36
	v_addc_co_u32_e32 v37, vcc, v26, v37, vcc
	global_load_dwordx4 v[36:39], v[36:37], off
	s_waitcnt vmcnt(0)
	v_fma_f64 v[18:19], v[28:29], v[36:37], v[18:19]
	v_fma_f64 v[11:12], v[30:31], v[36:37], v[12:13]
	v_fma_f64 v[18:19], -v[30:31], v[38:39], v[18:19]
	v_fma_f64 v[48:49], v[28:29], v[38:39], v[11:12]
	global_load_dwordx4 v[28:31], v[46:47], off
	global_load_dwordx4 v[40:43], v[21:22], off
	v_add_u32_e32 v22, 1, v44
	s_waitcnt vmcnt(1)
	v_fma_f64 v[11:12], v[28:29], v[36:37], v[16:17]
	v_fma_f64 v[13:14], v[30:31], v[36:37], v[14:15]
	v_fma_f64 v[36:37], -v[30:31], v[38:39], v[11:12]
	v_lshlrev_b64 v[11:12], 4, v[22:23]
	v_add_u32_e32 v22, -5, v20
	v_fma_f64 v[38:39], v[28:29], v[38:39], v[13:14]
	v_lshlrev_b64 v[13:14], 4, v[22:23]
	v_add_co_u32_e32 v11, vcc, s14, v11
	v_addc_co_u32_e32 v12, vcc, v26, v12, vcc
	v_add_co_u32_e32 v15, vcc, s12, v13
	v_addc_co_u32_e32 v16, vcc, v25, v14, vcc
	global_load_dwordx4 v[11:14], v[11:12], off
	v_add_u32_e32 v22, -11, v20
	v_lshlrev_b64 v[28:29], 4, v[22:23]
	v_add_u32_e32 v22, 2, v44
	v_add_co_u32_e32 v28, vcc, s12, v28
	v_addc_co_u32_e32 v29, vcc, v25, v29, vcc
	s_waitcnt vmcnt(0)
	v_fma_f64 v[17:18], v[32:33], v[11:12], v[18:19]
	v_fma_f64 v[30:31], v[34:35], v[11:12], v[48:49]
	v_fma_f64 v[34:35], -v[34:35], v[13:14], v[17:18]
	global_load_dwordx4 v[15:18], v[15:16], off
	v_fma_f64 v[32:33], v[32:33], v[13:14], v[30:31]
	global_load_dwordx4 v[28:31], v[28:29], off
	s_waitcnt vmcnt(1)
	v_fma_f64 v[36:37], v[15:16], v[11:12], v[36:37]
	v_fma_f64 v[11:12], v[17:18], v[11:12], v[38:39]
	v_fma_f64 v[36:37], -v[17:18], v[13:14], v[36:37]
	v_fma_f64 v[38:39], v[15:16], v[13:14], v[11:12]
	v_lshlrev_b64 v[11:12], 4, v[22:23]
	v_add_u32_e32 v22, -4, v20
	v_lshlrev_b64 v[13:14], 4, v[22:23]
	v_add_co_u32_e32 v11, vcc, s14, v11
	v_addc_co_u32_e32 v12, vcc, v26, v12, vcc
	v_add_co_u32_e32 v15, vcc, s12, v13
	v_addc_co_u32_e32 v16, vcc, v25, v14, vcc
	global_load_dwordx4 v[11:14], v[11:12], off
	v_add_u32_e32 v22, -10, v20
	v_lshlrev_b64 v[45:46], 4, v[22:23]
	v_add_u32_e32 v22, 3, v44
	s_waitcnt vmcnt(0)
	v_fma_f64 v[17:18], v[28:29], v[11:12], v[34:35]
	v_fma_f64 v[32:33], v[30:31], v[11:12], v[32:33]
	v_fma_f64 v[34:35], -v[30:31], v[13:14], v[17:18]
	global_load_dwordx4 v[15:18], v[15:16], off
	v_fma_f64 v[32:33], v[28:29], v[13:14], v[32:33]
	v_add_co_u32_e32 v28, vcc, s12, v45
	v_addc_co_u32_e32 v29, vcc, v25, v46, vcc
	global_load_dwordx4 v[28:31], v[28:29], off
	s_waitcnt vmcnt(1)
	v_fma_f64 v[36:37], v[15:16], v[11:12], v[36:37]
	v_fma_f64 v[11:12], v[17:18], v[11:12], v[38:39]
	v_fma_f64 v[36:37], -v[17:18], v[13:14], v[36:37]
	v_fma_f64 v[38:39], v[15:16], v[13:14], v[11:12]
	v_lshlrev_b64 v[11:12], 4, v[22:23]
	v_add_u32_e32 v22, -3, v20
	v_lshlrev_b64 v[13:14], 4, v[22:23]
	v_add_co_u32_e32 v11, vcc, s14, v11
	v_addc_co_u32_e32 v12, vcc, v26, v12, vcc
	v_add_co_u32_e32 v15, vcc, s12, v13
	v_addc_co_u32_e32 v16, vcc, v25, v14, vcc
	global_load_dwordx4 v[11:14], v[11:12], off
	v_add_u32_e32 v22, -9, v20
	v_lshlrev_b64 v[45:46], 4, v[22:23]
	v_add_u32_e32 v22, 4, v44
	s_waitcnt vmcnt(0)
	v_fma_f64 v[17:18], v[28:29], v[11:12], v[34:35]
	v_fma_f64 v[32:33], v[30:31], v[11:12], v[32:33]
	v_fma_f64 v[34:35], -v[30:31], v[13:14], v[17:18]
	global_load_dwordx4 v[15:18], v[15:16], off
	v_fma_f64 v[32:33], v[28:29], v[13:14], v[32:33]
	v_add_co_u32_e32 v28, vcc, s12, v45
	v_addc_co_u32_e32 v29, vcc, v25, v46, vcc
	;; [unrolled: 25-line block ×3, first 2 shown]
	global_load_dwordx4 v[28:31], v[28:29], off
	s_waitcnt vmcnt(1)
	v_fma_f64 v[36:37], v[15:16], v[11:12], v[36:37]
	v_fma_f64 v[11:12], v[17:18], v[11:12], v[38:39]
	v_fma_f64 v[36:37], -v[17:18], v[13:14], v[36:37]
	v_fma_f64 v[38:39], v[15:16], v[13:14], v[11:12]
	v_lshlrev_b64 v[11:12], 4, v[22:23]
	v_add_u32_e32 v22, -1, v20
	v_add_co_u32_e32 v11, vcc, s14, v11
	v_addc_co_u32_e32 v12, vcc, v26, v12, vcc
	global_load_dwordx4 v[11:14], v[11:12], off
	v_lshlrev_b64 v[15:16], 4, v[22:23]
	v_add_u32_e32 v22, -7, v20
	v_add_co_u32_e32 v15, vcc, s12, v15
	v_addc_co_u32_e32 v16, vcc, v25, v16, vcc
	v_lshlrev_b64 v[45:46], 4, v[22:23]
	v_add_u32_e32 v22, 6, v44
	v_lshlrev_b64 v[21:22], 4, v[22:23]
	v_add_u32_e32 v20, 0x70, v20
	s_waitcnt vmcnt(0)
	v_fma_f64 v[17:18], v[28:29], v[11:12], v[34:35]
	v_fma_f64 v[32:33], v[30:31], v[11:12], v[32:33]
	v_fma_f64 v[34:35], -v[30:31], v[13:14], v[17:18]
	global_load_dwordx4 v[15:18], v[15:16], off
	v_fma_f64 v[32:33], v[28:29], v[13:14], v[32:33]
	v_add_co_u32_e32 v28, vcc, s12, v45
	v_addc_co_u32_e32 v29, vcc, v25, v46, vcc
	global_load_dwordx4 v[28:31], v[28:29], off
	v_add_co_u32_e32 v21, vcc, s14, v21
	v_addc_co_u32_e32 v22, vcc, v26, v22, vcc
	v_cmp_ge_i32_e32 vcc, v10, v27
	s_or_b64 s[0:1], vcc, s[0:1]
	s_waitcnt vmcnt(1)
	v_fma_f64 v[36:37], v[15:16], v[11:12], v[36:37]
	v_fma_f64 v[11:12], v[17:18], v[11:12], v[38:39]
	v_fma_f64 v[17:18], -v[17:18], v[13:14], v[36:37]
	v_fma_f64 v[36:37], v[15:16], v[13:14], v[11:12]
	global_load_dwordx4 v[12:15], v[21:22], off
	s_waitcnt vmcnt(0)
	v_fma_f64 v[21:22], v[28:29], v[12:13], v[34:35]
	v_fma_f64 v[32:33], v[30:31], v[12:13], v[32:33]
	v_fma_f64 v[16:17], v[40:41], v[12:13], v[17:18]
	v_fma_f64 v[34:35], v[42:43], v[12:13], v[36:37]
	v_fma_f64 v[18:19], -v[30:31], v[14:15], v[21:22]
	v_fma_f64 v[12:13], v[28:29], v[14:15], v[32:33]
	v_fma_f64 v[16:17], -v[42:43], v[14:15], v[16:17]
	v_fma_f64 v[14:15], v[40:41], v[14:15], v[34:35]
	s_andn2_b64 exec, exec, s[0:1]
	s_cbranch_execnz .LBB254_13
; %bb.14:
	s_or_b64 exec, exec, s[0:1]
.LBB254_15:
	s_or_b64 exec, exec, s[6:7]
.LBB254_16:
	v_mov_b32_dpp v10, v18 row_shr:1 row_mask:0xf bank_mask:0xf
	v_mov_b32_dpp v11, v19 row_shr:1 row_mask:0xf bank_mask:0xf
	v_add_f64 v[10:11], v[18:19], v[10:11]
	v_mov_b32_dpp v18, v12 row_shr:1 row_mask:0xf bank_mask:0xf
	v_mov_b32_dpp v19, v13 row_shr:1 row_mask:0xf bank_mask:0xf
	v_mov_b32_dpp v20, v16 row_shr:1 row_mask:0xf bank_mask:0xf
	v_mov_b32_dpp v21, v17 row_shr:1 row_mask:0xf bank_mask:0xf
	v_add_f64 v[12:13], v[12:13], v[18:19]
	v_add_f64 v[16:17], v[16:17], v[20:21]
	v_mov_b32_dpp v20, v14 row_shr:1 row_mask:0xf bank_mask:0xf
	v_mov_b32_dpp v21, v15 row_shr:1 row_mask:0xf bank_mask:0xf
	v_add_f64 v[14:15], v[14:15], v[20:21]
	v_mov_b32_dpp v18, v10 row_shr:2 row_mask:0xf bank_mask:0xf
	v_mov_b32_dpp v19, v11 row_shr:2 row_mask:0xf bank_mask:0xf
	;; [unrolled: 3-line block ×6, first 2 shown]
	v_mov_b32_dpp v16, v12 row_shr:4 row_mask:0xf bank_mask:0xe
	v_mov_b32_dpp v17, v13 row_shr:4 row_mask:0xf bank_mask:0xe
	;; [unrolled: 1-line block ×4, first 2 shown]
	v_cmp_eq_u32_e32 vcc, 7, v0
	v_mov_b32_dpp v20, v14 row_shr:4 row_mask:0xf bank_mask:0xe
	v_mov_b32_dpp v21, v15 row_shr:4 row_mask:0xf bank_mask:0xe
	s_and_b64 exec, exec, vcc
	s_cbranch_execz .LBB254_21
; %bb.17:
	v_cmp_eq_f64_e32 vcc, 0, v[5:6]
	v_cmp_eq_f64_e64 s[0:1], 0, v[7:8]
	v_add_f64 v[10:11], v[10:11], v[24:25]
	v_add_f64 v[16:17], v[12:13], v[16:17]
	;; [unrolled: 1-line block ×4, first 2 shown]
	s_load_dwordx2 s[2:3], s[4:5], 0x48
	s_and_b64 s[0:1], vcc, s[0:1]
	s_and_saveexec_b64 s[4:5], s[0:1]
	s_xor_b64 s[0:1], exec, s[4:5]
	s_cbranch_execz .LBB254_19
; %bb.18:
	v_mul_f64 v[5:6], v[16:17], -v[3:4]
	v_mul_f64 v[7:8], v[1:2], v[16:17]
	v_mul_f64 v[16:17], v[14:15], -v[3:4]
	v_mul_f64 v[14:15], v[1:2], v[14:15]
	v_lshlrev_b32_e32 v9, 1, v9
	s_waitcnt lgkmcnt(0)
	v_mov_b32_e32 v18, s3
	v_fma_f64 v[5:6], v[1:2], v[10:11], v[5:6]
	v_fma_f64 v[7:8], v[3:4], v[10:11], v[7:8]
	;; [unrolled: 1-line block ×4, first 2 shown]
	v_ashrrev_i32_e32 v10, 31, v9
	v_lshlrev_b64 v[9:10], 4, v[9:10]
                                        ; implicit-def: $vgpr16_vgpr17
                                        ; implicit-def: $vgpr12_vgpr13
                                        ; implicit-def: $vgpr14_vgpr15
	v_add_co_u32_e32 v9, vcc, s2, v9
	v_addc_co_u32_e32 v10, vcc, v18, v10, vcc
	global_store_dwordx4 v[9:10], v[5:8], off
	global_store_dwordx4 v[9:10], v[0:3], off offset:16
                                        ; implicit-def: $vgpr9
                                        ; implicit-def: $vgpr10_vgpr11
                                        ; implicit-def: $vgpr7_vgpr8
                                        ; implicit-def: $vgpr3_vgpr4
.LBB254_19:
	s_andn2_saveexec_b64 s[0:1], s[0:1]
	s_cbranch_execz .LBB254_21
; %bb.20:
	v_lshlrev_b32_e32 v18, 1, v9
	v_ashrrev_i32_e32 v19, 31, v18
	v_lshlrev_b64 v[18:19], 4, v[18:19]
	s_waitcnt lgkmcnt(0)
	v_mov_b32_e32 v0, s3
	v_add_co_u32_e32 v26, vcc, s2, v18
	v_addc_co_u32_e32 v27, vcc, v0, v19, vcc
	global_load_dwordx4 v[18:21], v[26:27], off
	global_load_dwordx4 v[22:25], v[26:27], off offset:16
	v_mul_f64 v[28:29], v[16:17], -v[3:4]
	v_mul_f64 v[16:17], v[1:2], v[16:17]
	v_mul_f64 v[30:31], v[14:15], -v[3:4]
	v_mul_f64 v[14:15], v[1:2], v[14:15]
	v_fma_f64 v[28:29], v[1:2], v[10:11], v[28:29]
	v_fma_f64 v[9:10], v[3:4], v[10:11], v[16:17]
	;; [unrolled: 1-line block ×4, first 2 shown]
	s_waitcnt vmcnt(1)
	v_fma_f64 v[11:12], v[5:6], v[18:19], v[28:29]
	v_fma_f64 v[9:10], v[7:8], v[18:19], v[9:10]
	s_waitcnt vmcnt(0)
	v_fma_f64 v[13:14], v[5:6], v[22:23], v[0:1]
	v_fma_f64 v[15:16], v[7:8], v[22:23], v[2:3]
	v_fma_f64 v[0:1], -v[7:8], v[20:21], v[11:12]
	v_fma_f64 v[2:3], v[5:6], v[20:21], v[9:10]
	v_fma_f64 v[7:8], -v[7:8], v[24:25], v[13:14]
	v_fma_f64 v[9:10], v[5:6], v[24:25], v[15:16]
	global_store_dwordx4 v[26:27], v[0:3], off
	global_store_dwordx4 v[26:27], v[7:10], off offset:16
.LBB254_21:
	s_endpgm
	.section	.rodata,"a",@progbits
	.p2align	6, 0x0
	.amdhsa_kernel _ZN9rocsparseL19gebsrmvn_2xn_kernelILj128ELj7ELj8E21rocsparse_complex_numIdEEEvi20rocsparse_direction_NS_24const_host_device_scalarIT2_EEPKiS8_PKS5_SA_S6_PS5_21rocsparse_index_base_b
		.amdhsa_group_segment_fixed_size 0
		.amdhsa_private_segment_fixed_size 0
		.amdhsa_kernarg_size 88
		.amdhsa_user_sgpr_count 6
		.amdhsa_user_sgpr_private_segment_buffer 1
		.amdhsa_user_sgpr_dispatch_ptr 0
		.amdhsa_user_sgpr_queue_ptr 0
		.amdhsa_user_sgpr_kernarg_segment_ptr 1
		.amdhsa_user_sgpr_dispatch_id 0
		.amdhsa_user_sgpr_flat_scratch_init 0
		.amdhsa_user_sgpr_private_segment_size 0
		.amdhsa_uses_dynamic_stack 0
		.amdhsa_system_sgpr_private_segment_wavefront_offset 0
		.amdhsa_system_sgpr_workgroup_id_x 1
		.amdhsa_system_sgpr_workgroup_id_y 0
		.amdhsa_system_sgpr_workgroup_id_z 0
		.amdhsa_system_sgpr_workgroup_info 0
		.amdhsa_system_vgpr_workitem_id 0
		.amdhsa_next_free_vgpr 58
		.amdhsa_next_free_sgpr 16
		.amdhsa_reserve_vcc 1
		.amdhsa_reserve_flat_scratch 0
		.amdhsa_float_round_mode_32 0
		.amdhsa_float_round_mode_16_64 0
		.amdhsa_float_denorm_mode_32 3
		.amdhsa_float_denorm_mode_16_64 3
		.amdhsa_dx10_clamp 1
		.amdhsa_ieee_mode 1
		.amdhsa_fp16_overflow 0
		.amdhsa_exception_fp_ieee_invalid_op 0
		.amdhsa_exception_fp_denorm_src 0
		.amdhsa_exception_fp_ieee_div_zero 0
		.amdhsa_exception_fp_ieee_overflow 0
		.amdhsa_exception_fp_ieee_underflow 0
		.amdhsa_exception_fp_ieee_inexact 0
		.amdhsa_exception_int_div_zero 0
	.end_amdhsa_kernel
	.section	.text._ZN9rocsparseL19gebsrmvn_2xn_kernelILj128ELj7ELj8E21rocsparse_complex_numIdEEEvi20rocsparse_direction_NS_24const_host_device_scalarIT2_EEPKiS8_PKS5_SA_S6_PS5_21rocsparse_index_base_b,"axG",@progbits,_ZN9rocsparseL19gebsrmvn_2xn_kernelILj128ELj7ELj8E21rocsparse_complex_numIdEEEvi20rocsparse_direction_NS_24const_host_device_scalarIT2_EEPKiS8_PKS5_SA_S6_PS5_21rocsparse_index_base_b,comdat
.Lfunc_end254:
	.size	_ZN9rocsparseL19gebsrmvn_2xn_kernelILj128ELj7ELj8E21rocsparse_complex_numIdEEEvi20rocsparse_direction_NS_24const_host_device_scalarIT2_EEPKiS8_PKS5_SA_S6_PS5_21rocsparse_index_base_b, .Lfunc_end254-_ZN9rocsparseL19gebsrmvn_2xn_kernelILj128ELj7ELj8E21rocsparse_complex_numIdEEEvi20rocsparse_direction_NS_24const_host_device_scalarIT2_EEPKiS8_PKS5_SA_S6_PS5_21rocsparse_index_base_b
                                        ; -- End function
	.set _ZN9rocsparseL19gebsrmvn_2xn_kernelILj128ELj7ELj8E21rocsparse_complex_numIdEEEvi20rocsparse_direction_NS_24const_host_device_scalarIT2_EEPKiS8_PKS5_SA_S6_PS5_21rocsparse_index_base_b.num_vgpr, 58
	.set _ZN9rocsparseL19gebsrmvn_2xn_kernelILj128ELj7ELj8E21rocsparse_complex_numIdEEEvi20rocsparse_direction_NS_24const_host_device_scalarIT2_EEPKiS8_PKS5_SA_S6_PS5_21rocsparse_index_base_b.num_agpr, 0
	.set _ZN9rocsparseL19gebsrmvn_2xn_kernelILj128ELj7ELj8E21rocsparse_complex_numIdEEEvi20rocsparse_direction_NS_24const_host_device_scalarIT2_EEPKiS8_PKS5_SA_S6_PS5_21rocsparse_index_base_b.numbered_sgpr, 16
	.set _ZN9rocsparseL19gebsrmvn_2xn_kernelILj128ELj7ELj8E21rocsparse_complex_numIdEEEvi20rocsparse_direction_NS_24const_host_device_scalarIT2_EEPKiS8_PKS5_SA_S6_PS5_21rocsparse_index_base_b.num_named_barrier, 0
	.set _ZN9rocsparseL19gebsrmvn_2xn_kernelILj128ELj7ELj8E21rocsparse_complex_numIdEEEvi20rocsparse_direction_NS_24const_host_device_scalarIT2_EEPKiS8_PKS5_SA_S6_PS5_21rocsparse_index_base_b.private_seg_size, 0
	.set _ZN9rocsparseL19gebsrmvn_2xn_kernelILj128ELj7ELj8E21rocsparse_complex_numIdEEEvi20rocsparse_direction_NS_24const_host_device_scalarIT2_EEPKiS8_PKS5_SA_S6_PS5_21rocsparse_index_base_b.uses_vcc, 1
	.set _ZN9rocsparseL19gebsrmvn_2xn_kernelILj128ELj7ELj8E21rocsparse_complex_numIdEEEvi20rocsparse_direction_NS_24const_host_device_scalarIT2_EEPKiS8_PKS5_SA_S6_PS5_21rocsparse_index_base_b.uses_flat_scratch, 0
	.set _ZN9rocsparseL19gebsrmvn_2xn_kernelILj128ELj7ELj8E21rocsparse_complex_numIdEEEvi20rocsparse_direction_NS_24const_host_device_scalarIT2_EEPKiS8_PKS5_SA_S6_PS5_21rocsparse_index_base_b.has_dyn_sized_stack, 0
	.set _ZN9rocsparseL19gebsrmvn_2xn_kernelILj128ELj7ELj8E21rocsparse_complex_numIdEEEvi20rocsparse_direction_NS_24const_host_device_scalarIT2_EEPKiS8_PKS5_SA_S6_PS5_21rocsparse_index_base_b.has_recursion, 0
	.set _ZN9rocsparseL19gebsrmvn_2xn_kernelILj128ELj7ELj8E21rocsparse_complex_numIdEEEvi20rocsparse_direction_NS_24const_host_device_scalarIT2_EEPKiS8_PKS5_SA_S6_PS5_21rocsparse_index_base_b.has_indirect_call, 0
	.section	.AMDGPU.csdata,"",@progbits
; Kernel info:
; codeLenInByte = 3308
; TotalNumSgprs: 20
; NumVgprs: 58
; ScratchSize: 0
; MemoryBound: 0
; FloatMode: 240
; IeeeMode: 1
; LDSByteSize: 0 bytes/workgroup (compile time only)
; SGPRBlocks: 2
; VGPRBlocks: 14
; NumSGPRsForWavesPerEU: 20
; NumVGPRsForWavesPerEU: 58
; Occupancy: 4
; WaveLimiterHint : 1
; COMPUTE_PGM_RSRC2:SCRATCH_EN: 0
; COMPUTE_PGM_RSRC2:USER_SGPR: 6
; COMPUTE_PGM_RSRC2:TRAP_HANDLER: 0
; COMPUTE_PGM_RSRC2:TGID_X_EN: 1
; COMPUTE_PGM_RSRC2:TGID_Y_EN: 0
; COMPUTE_PGM_RSRC2:TGID_Z_EN: 0
; COMPUTE_PGM_RSRC2:TIDIG_COMP_CNT: 0
	.section	.text._ZN9rocsparseL19gebsrmvn_2xn_kernelILj128ELj7ELj16E21rocsparse_complex_numIdEEEvi20rocsparse_direction_NS_24const_host_device_scalarIT2_EEPKiS8_PKS5_SA_S6_PS5_21rocsparse_index_base_b,"axG",@progbits,_ZN9rocsparseL19gebsrmvn_2xn_kernelILj128ELj7ELj16E21rocsparse_complex_numIdEEEvi20rocsparse_direction_NS_24const_host_device_scalarIT2_EEPKiS8_PKS5_SA_S6_PS5_21rocsparse_index_base_b,comdat
	.globl	_ZN9rocsparseL19gebsrmvn_2xn_kernelILj128ELj7ELj16E21rocsparse_complex_numIdEEEvi20rocsparse_direction_NS_24const_host_device_scalarIT2_EEPKiS8_PKS5_SA_S6_PS5_21rocsparse_index_base_b ; -- Begin function _ZN9rocsparseL19gebsrmvn_2xn_kernelILj128ELj7ELj16E21rocsparse_complex_numIdEEEvi20rocsparse_direction_NS_24const_host_device_scalarIT2_EEPKiS8_PKS5_SA_S6_PS5_21rocsparse_index_base_b
	.p2align	8
	.type	_ZN9rocsparseL19gebsrmvn_2xn_kernelILj128ELj7ELj16E21rocsparse_complex_numIdEEEvi20rocsparse_direction_NS_24const_host_device_scalarIT2_EEPKiS8_PKS5_SA_S6_PS5_21rocsparse_index_base_b,@function
_ZN9rocsparseL19gebsrmvn_2xn_kernelILj128ELj7ELj16E21rocsparse_complex_numIdEEEvi20rocsparse_direction_NS_24const_host_device_scalarIT2_EEPKiS8_PKS5_SA_S6_PS5_21rocsparse_index_base_b: ; @_ZN9rocsparseL19gebsrmvn_2xn_kernelILj128ELj7ELj16E21rocsparse_complex_numIdEEEvi20rocsparse_direction_NS_24const_host_device_scalarIT2_EEPKiS8_PKS5_SA_S6_PS5_21rocsparse_index_base_b
; %bb.0:
	s_load_dwordx2 s[0:1], s[4:5], 0x8
	s_load_dwordx2 s[8:9], s[4:5], 0x38
	;; [unrolled: 1-line block ×3, first 2 shown]
	s_add_u32 s7, s4, 8
	s_addc_u32 s10, s5, 0
	s_add_u32 s11, s4, 56
	s_addc_u32 s12, s5, 0
	s_waitcnt lgkmcnt(0)
	s_bitcmp1_b32 s3, 0
	s_cselect_b32 s1, s10, s1
	s_cselect_b32 s0, s7, s0
	v_mov_b32_e32 v1, s0
	v_mov_b32_e32 v2, s1
	flat_load_dwordx4 v[1:4], v[1:2]
	s_cselect_b32 s0, s12, s9
	s_cselect_b32 s1, s11, s8
	v_mov_b32_e32 v5, s1
	v_mov_b32_e32 v6, s0
	flat_load_dwordx4 v[5:8], v[5:6]
	s_waitcnt vmcnt(0) lgkmcnt(0)
	v_cmp_eq_f64_e32 vcc, 0, v[1:2]
	v_cmp_eq_f64_e64 s[0:1], 0, v[3:4]
	s_and_b64 s[10:11], vcc, s[0:1]
	s_mov_b64 s[0:1], -1
	s_and_saveexec_b64 s[8:9], s[10:11]
	s_cbranch_execz .LBB255_2
; %bb.1:
	v_cmp_neq_f64_e32 vcc, 1.0, v[5:6]
	v_cmp_neq_f64_e64 s[0:1], 0, v[7:8]
	s_or_b64 s[0:1], vcc, s[0:1]
	s_orn2_b64 s[0:1], s[0:1], exec
.LBB255_2:
	s_or_b64 exec, exec, s[8:9]
	s_and_saveexec_b64 s[8:9], s[0:1]
	s_cbranch_execz .LBB255_21
; %bb.3:
	s_load_dwordx2 s[0:1], s[4:5], 0x0
	v_lshrrev_b32_e32 v9, 4, v0
	v_lshl_or_b32 v9, s6, 3, v9
	s_waitcnt lgkmcnt(0)
	v_cmp_gt_i32_e32 vcc, s0, v9
	s_and_b64 exec, exec, vcc
	s_cbranch_execz .LBB255_21
; %bb.4:
	s_load_dwordx8 s[8:15], s[4:5], 0x18
	v_ashrrev_i32_e32 v10, 31, v9
	v_lshlrev_b64 v[10:11], 2, v[9:10]
	v_and_b32_e32 v0, 15, v0
	s_cmp_lg_u32 s1, 0
	s_waitcnt lgkmcnt(0)
	v_mov_b32_e32 v12, s9
	v_add_co_u32_e32 v10, vcc, s8, v10
	v_addc_co_u32_e32 v11, vcc, v12, v11, vcc
	global_load_dwordx2 v[10:11], v[10:11], off
	s_waitcnt vmcnt(0)
	v_subrev_u32_e32 v10, s2, v10
	v_subrev_u32_e32 v27, s2, v11
	v_add_u32_e32 v10, v10, v0
	v_cmp_lt_i32_e64 s[0:1], v10, v27
	s_cbranch_scc0 .LBB255_10
; %bb.5:
	v_mov_b32_e32 v16, 0
	v_mov_b32_e32 v18, 0
	;; [unrolled: 1-line block ×8, first 2 shown]
	s_and_saveexec_b64 s[6:7], s[0:1]
	s_cbranch_execz .LBB255_9
; %bb.6:
	v_mad_u64_u32 v[20:21], s[8:9], v10, 14, 12
	v_mov_b32_e32 v16, 0
	v_mov_b32_e32 v18, 0
	;; [unrolled: 1-line block ×5, first 2 shown]
	s_mov_b64 s[8:9], 0
	v_mov_b32_e32 v11, s11
	v_mov_b32_e32 v23, 0
	;; [unrolled: 1-line block ×8, first 2 shown]
.LBB255_7:                              ; =>This Inner Loop Header: Depth=1
	v_ashrrev_i32_e32 v25, 31, v24
	v_lshlrev_b64 v[30:31], 2, v[24:25]
	v_add_u32_e32 v22, -12, v20
	v_lshlrev_b64 v[32:33], 4, v[22:23]
	v_add_co_u32_e32 v38, vcc, s10, v30
	v_mov_b32_e32 v21, v23
	v_addc_co_u32_e32 v39, vcc, v11, v31, vcc
	v_lshlrev_b64 v[34:35], 4, v[20:21]
	v_add_co_u32_e32 v40, vcc, s12, v32
	v_addc_co_u32_e32 v41, vcc, v28, v33, vcc
	v_add_co_u32_e32 v50, vcc, s12, v34
	v_addc_co_u32_e32 v51, vcc, v28, v35, vcc
	global_load_dword v25, v[38:39], off
	global_load_dwordx4 v[30:33], v[40:41], off
	global_load_dwordx4 v[34:37], v[40:41], off offset:16
	v_add_u32_e32 v22, -10, v20
	v_lshlrev_b64 v[21:22], 4, v[22:23]
	v_mov_b32_e32 v26, v23
	v_add_co_u32_e32 v21, vcc, s12, v21
	v_addc_co_u32_e32 v22, vcc, v28, v22, vcc
	global_load_dwordx4 v[38:41], v[21:22], off
	global_load_dwordx4 v[42:45], v[21:22], off offset:16
	v_add_u32_e32 v24, 16, v24
	s_waitcnt vmcnt(4)
	v_subrev_u32_e32 v21, s2, v25
	v_mul_lo_u32 v25, v21, 7
	v_lshlrev_b64 v[46:47], 4, v[25:26]
	v_add_u32_e32 v22, 1, v25
	v_add_co_u32_e32 v46, vcc, s14, v46
	v_addc_co_u32_e32 v47, vcc, v29, v47, vcc
	global_load_dwordx4 v[46:49], v[46:47], off
	v_lshlrev_b64 v[52:53], 4, v[22:23]
	v_add_u32_e32 v22, -8, v20
	s_waitcnt vmcnt(0)
	v_fma_f64 v[18:19], v[30:31], v[46:47], v[18:19]
	v_fma_f64 v[12:13], v[34:35], v[46:47], v[12:13]
	;; [unrolled: 1-line block ×4, first 2 shown]
	v_fma_f64 v[32:33], -v[32:33], v[48:49], v[18:19]
	v_add_co_u32_e32 v18, vcc, s14, v52
	v_addc_co_u32_e32 v19, vcc, v29, v53, vcc
	v_fma_f64 v[36:37], -v[36:37], v[48:49], v[12:13]
	v_fma_f64 v[34:35], v[34:35], v[48:49], v[14:15]
	global_load_dwordx4 v[12:15], v[18:19], off
	v_fma_f64 v[30:31], v[30:31], v[48:49], v[16:17]
	v_lshlrev_b64 v[16:17], 4, v[22:23]
	v_add_u32_e32 v22, 2, v25
	v_lshlrev_b64 v[52:53], 4, v[22:23]
	v_add_co_u32_e32 v46, vcc, s12, v16
	v_addc_co_u32_e32 v47, vcc, v28, v17, vcc
	v_add_co_u32_e32 v52, vcc, s14, v52
	v_addc_co_u32_e32 v53, vcc, v29, v53, vcc
	global_load_dwordx4 v[16:19], v[46:47], off
	v_add_u32_e32 v22, -6, v20
	v_lshlrev_b64 v[48:49], 4, v[22:23]
	v_add_u32_e32 v22, 3, v25
	v_add_co_u32_e32 v48, vcc, s12, v48
	v_addc_co_u32_e32 v49, vcc, v28, v49, vcc
	s_waitcnt vmcnt(1)
	v_fma_f64 v[32:33], v[38:39], v[12:13], v[32:33]
	v_fma_f64 v[30:31], v[40:41], v[12:13], v[30:31]
	;; [unrolled: 1-line block ×4, first 2 shown]
	v_fma_f64 v[40:41], -v[40:41], v[14:15], v[32:33]
	v_fma_f64 v[38:39], v[38:39], v[14:15], v[30:31]
	global_load_dwordx4 v[30:33], v[46:47], off offset:16
	v_fma_f64 v[44:45], -v[44:45], v[14:15], v[36:37]
	v_fma_f64 v[42:43], v[42:43], v[14:15], v[12:13]
	global_load_dwordx4 v[12:15], v[52:53], off
	v_lshlrev_b64 v[46:47], 4, v[22:23]
	global_load_dwordx4 v[34:37], v[48:49], off
	v_add_co_u32_e32 v46, vcc, s14, v46
	v_addc_co_u32_e32 v47, vcc, v29, v47, vcc
	v_add_u32_e32 v22, -4, v20
	v_lshlrev_b64 v[52:53], 4, v[22:23]
	v_add_u32_e32 v22, 4, v25
	s_waitcnt vmcnt(1)
	v_fma_f64 v[40:41], v[16:17], v[12:13], v[40:41]
	v_fma_f64 v[38:39], v[18:19], v[12:13], v[38:39]
	;; [unrolled: 1-line block ×4, first 2 shown]
	v_fma_f64 v[40:41], -v[18:19], v[14:15], v[40:41]
	v_fma_f64 v[38:39], v[16:17], v[14:15], v[38:39]
	v_fma_f64 v[42:43], -v[32:33], v[14:15], v[44:45]
	v_fma_f64 v[44:45], v[30:31], v[14:15], v[12:13]
	global_load_dwordx4 v[12:15], v[46:47], off
	global_load_dwordx4 v[16:19], v[48:49], off offset:16
	v_lshlrev_b64 v[48:49], 4, v[22:23]
	v_add_co_u32_e32 v46, vcc, s12, v52
	v_addc_co_u32_e32 v47, vcc, v28, v53, vcc
	v_add_co_u32_e32 v48, vcc, s14, v48
	v_addc_co_u32_e32 v49, vcc, v29, v49, vcc
	global_load_dwordx4 v[30:33], v[46:47], off
	v_add_u32_e32 v22, -2, v20
	v_lshlrev_b64 v[52:53], 4, v[22:23]
	v_add_u32_e32 v22, 5, v25
	v_lshlrev_b64 v[21:22], 4, v[22:23]
	v_add_u32_e32 v20, 0xe0, v20
	s_waitcnt vmcnt(2)
	v_fma_f64 v[38:39], v[36:37], v[12:13], v[38:39]
	v_fma_f64 v[40:41], v[34:35], v[12:13], v[40:41]
	v_fma_f64 v[56:57], v[34:35], v[14:15], v[38:39]
	s_waitcnt vmcnt(1)
	v_fma_f64 v[38:39], v[16:17], v[12:13], v[42:43]
	v_fma_f64 v[12:13], v[18:19], v[12:13], v[44:45]
	v_fma_f64 v[54:55], -v[36:37], v[14:15], v[40:41]
	global_load_dwordx4 v[34:37], v[46:47], off offset:16
	v_add_co_u32_e32 v46, vcc, s12, v52
	v_addc_co_u32_e32 v47, vcc, v28, v53, vcc
	v_fma_f64 v[42:43], -v[18:19], v[14:15], v[38:39]
	v_fma_f64 v[44:45], v[16:17], v[14:15], v[12:13]
	global_load_dwordx4 v[12:15], v[48:49], off
	global_load_dwordx4 v[16:19], v[46:47], off
	global_load_dwordx4 v[38:41], v[46:47], off offset:16
	v_add_co_u32_e32 v21, vcc, s14, v21
	v_addc_co_u32_e32 v22, vcc, v29, v22, vcc
	s_waitcnt vmcnt(2)
	v_fma_f64 v[46:47], v[30:31], v[12:13], v[54:55]
	v_fma_f64 v[48:49], v[32:33], v[12:13], v[56:57]
	v_fma_f64 v[46:47], -v[32:33], v[14:15], v[46:47]
	v_fma_f64 v[48:49], v[30:31], v[14:15], v[48:49]
	global_load_dwordx4 v[30:33], v[21:22], off
	v_fma_f64 v[21:22], v[34:35], v[12:13], v[42:43]
	v_fma_f64 v[12:13], v[36:37], v[12:13], v[44:45]
	v_fma_f64 v[52:53], -v[36:37], v[14:15], v[21:22]
	v_add_u32_e32 v22, 6, v25
	v_lshlrev_b64 v[21:22], 4, v[22:23]
	v_fma_f64 v[54:55], v[34:35], v[14:15], v[12:13]
	v_add_co_u32_e32 v21, vcc, s14, v21
	v_addc_co_u32_e32 v22, vcc, v29, v22, vcc
	global_load_dwordx4 v[12:15], v[50:51], off
	global_load_dwordx4 v[34:37], v[50:51], off offset:16
	global_load_dwordx4 v[42:45], v[21:22], off
	v_cmp_ge_i32_e32 vcc, v24, v27
	s_or_b64 s[8:9], vcc, s[8:9]
	s_waitcnt vmcnt(3)
	v_fma_f64 v[21:22], v[16:17], v[30:31], v[46:47]
	v_fma_f64 v[25:26], v[18:19], v[30:31], v[48:49]
	;; [unrolled: 1-line block ×4, first 2 shown]
	v_fma_f64 v[18:19], -v[18:19], v[32:33], v[21:22]
	v_fma_f64 v[16:17], v[16:17], v[32:33], v[25:26]
	v_fma_f64 v[21:22], -v[40:41], v[32:33], v[46:47]
	v_fma_f64 v[25:26], v[38:39], v[32:33], v[30:31]
	s_waitcnt vmcnt(0)
	v_fma_f64 v[18:19], v[12:13], v[42:43], v[18:19]
	v_fma_f64 v[16:17], v[14:15], v[42:43], v[16:17]
	;; [unrolled: 1-line block ×4, first 2 shown]
	v_fma_f64 v[18:19], -v[14:15], v[44:45], v[18:19]
	v_fma_f64 v[16:17], v[12:13], v[44:45], v[16:17]
	v_fma_f64 v[12:13], -v[36:37], v[44:45], v[21:22]
	v_fma_f64 v[14:15], v[34:35], v[44:45], v[25:26]
	s_andn2_b64 exec, exec, s[8:9]
	s_cbranch_execnz .LBB255_7
; %bb.8:
	s_or_b64 exec, exec, s[8:9]
.LBB255_9:
	s_or_b64 exec, exec, s[6:7]
	s_cbranch_execz .LBB255_11
	s_branch .LBB255_16
.LBB255_10:
                                        ; implicit-def: $vgpr16_vgpr17
                                        ; implicit-def: $vgpr18_vgpr19
                                        ; implicit-def: $vgpr12_vgpr13
                                        ; implicit-def: $vgpr14_vgpr15
.LBB255_11:
	v_mov_b32_e32 v16, 0
	v_mov_b32_e32 v18, 0
	;; [unrolled: 1-line block ×8, first 2 shown]
	s_and_saveexec_b64 s[6:7], s[0:1]
	s_cbranch_execz .LBB255_15
; %bb.12:
	v_mad_u64_u32 v[20:21], s[0:1], v10, 14, 13
	v_mov_b32_e32 v16, 0
	v_mov_b32_e32 v18, 0
	;; [unrolled: 1-line block ×5, first 2 shown]
	s_mov_b64 s[0:1], 0
	v_mov_b32_e32 v24, s11
	v_mov_b32_e32 v23, 0
	;; [unrolled: 1-line block ×7, first 2 shown]
.LBB255_13:                             ; =>This Inner Loop Header: Depth=1
	v_ashrrev_i32_e32 v11, 31, v10
	v_lshlrev_b64 v[30:31], 2, v[10:11]
	v_add_u32_e32 v22, -13, v20
	v_lshlrev_b64 v[32:33], 4, v[22:23]
	v_add_co_u32_e32 v36, vcc, s10, v30
	v_add_u32_e32 v28, -6, v20
	v_mov_b32_e32 v29, v23
	v_addc_co_u32_e32 v37, vcc, v24, v31, vcc
	v_lshlrev_b64 v[28:29], 4, v[28:29]
	v_add_co_u32_e32 v38, vcc, s12, v32
	v_addc_co_u32_e32 v39, vcc, v25, v33, vcc
	v_add_co_u32_e32 v42, vcc, s12, v28
	v_addc_co_u32_e32 v43, vcc, v25, v29, vcc
	global_load_dword v11, v[36:37], off
	global_load_dwordx4 v[28:31], v[38:39], off
	global_load_dwordx4 v[32:35], v[38:39], off offset:16
	v_mov_b32_e32 v21, v23
	v_lshlrev_b64 v[21:22], 4, v[20:21]
	v_mov_b32_e32 v41, v23
	v_add_co_u32_e32 v21, vcc, s12, v21
	v_addc_co_u32_e32 v22, vcc, v25, v22, vcc
	v_add_u32_e32 v10, 16, v10
	s_waitcnt vmcnt(2)
	v_subrev_u32_e32 v11, s2, v11
	v_mul_lo_u32 v40, v11, 7
	v_lshlrev_b64 v[36:37], 4, v[40:41]
	v_add_co_u32_e32 v36, vcc, s14, v36
	v_addc_co_u32_e32 v37, vcc, v26, v37, vcc
	global_load_dwordx4 v[36:39], v[36:37], off
	s_waitcnt vmcnt(0)
	v_fma_f64 v[18:19], v[28:29], v[36:37], v[18:19]
	v_fma_f64 v[16:17], v[30:31], v[36:37], v[16:17]
	v_fma_f64 v[44:45], -v[30:31], v[38:39], v[18:19]
	v_fma_f64 v[46:47], v[28:29], v[38:39], v[16:17]
	global_load_dwordx4 v[16:19], v[42:43], off
	global_load_dwordx4 v[28:31], v[21:22], off
	v_add_u32_e32 v22, 1, v40
	s_waitcnt vmcnt(1)
	v_fma_f64 v[11:12], v[16:17], v[36:37], v[12:13]
	v_fma_f64 v[13:14], v[18:19], v[36:37], v[14:15]
	v_fma_f64 v[36:37], -v[18:19], v[38:39], v[11:12]
	v_lshlrev_b64 v[11:12], 4, v[22:23]
	v_add_u32_e32 v22, -5, v20
	v_fma_f64 v[38:39], v[16:17], v[38:39], v[13:14]
	v_lshlrev_b64 v[13:14], 4, v[22:23]
	v_add_co_u32_e32 v11, vcc, s14, v11
	v_addc_co_u32_e32 v12, vcc, v26, v12, vcc
	v_add_co_u32_e32 v15, vcc, s12, v13
	v_addc_co_u32_e32 v16, vcc, v25, v14, vcc
	global_load_dwordx4 v[11:14], v[11:12], off
	v_add_u32_e32 v22, -11, v20
	v_lshlrev_b64 v[41:42], 4, v[22:23]
	v_add_u32_e32 v22, 2, v40
	s_waitcnt vmcnt(0)
	v_fma_f64 v[17:18], v[32:33], v[11:12], v[44:45]
	v_fma_f64 v[43:44], v[34:35], v[11:12], v[46:47]
	v_fma_f64 v[45:46], -v[34:35], v[13:14], v[17:18]
	global_load_dwordx4 v[15:18], v[15:16], off
	v_fma_f64 v[43:44], v[32:33], v[13:14], v[43:44]
	v_add_co_u32_e32 v32, vcc, s12, v41
	v_addc_co_u32_e32 v33, vcc, v25, v42, vcc
	global_load_dwordx4 v[32:35], v[32:33], off
	s_waitcnt vmcnt(1)
	v_fma_f64 v[36:37], v[15:16], v[11:12], v[36:37]
	v_fma_f64 v[11:12], v[17:18], v[11:12], v[38:39]
	v_fma_f64 v[36:37], -v[17:18], v[13:14], v[36:37]
	v_fma_f64 v[38:39], v[15:16], v[13:14], v[11:12]
	v_lshlrev_b64 v[11:12], 4, v[22:23]
	v_add_u32_e32 v22, -4, v20
	v_lshlrev_b64 v[13:14], 4, v[22:23]
	v_add_co_u32_e32 v11, vcc, s14, v11
	v_addc_co_u32_e32 v12, vcc, v26, v12, vcc
	v_add_co_u32_e32 v15, vcc, s12, v13
	v_addc_co_u32_e32 v16, vcc, v25, v14, vcc
	global_load_dwordx4 v[11:14], v[11:12], off
	v_add_u32_e32 v22, -10, v20
	v_lshlrev_b64 v[41:42], 4, v[22:23]
	v_add_u32_e32 v22, 3, v40
	s_waitcnt vmcnt(0)
	v_fma_f64 v[17:18], v[32:33], v[11:12], v[45:46]
	v_fma_f64 v[43:44], v[34:35], v[11:12], v[43:44]
	v_fma_f64 v[45:46], -v[34:35], v[13:14], v[17:18]
	global_load_dwordx4 v[15:18], v[15:16], off
	v_fma_f64 v[43:44], v[32:33], v[13:14], v[43:44]
	v_add_co_u32_e32 v32, vcc, s12, v41
	v_addc_co_u32_e32 v33, vcc, v25, v42, vcc
	global_load_dwordx4 v[32:35], v[32:33], off
	s_waitcnt vmcnt(1)
	v_fma_f64 v[36:37], v[15:16], v[11:12], v[36:37]
	v_fma_f64 v[11:12], v[17:18], v[11:12], v[38:39]
	v_fma_f64 v[36:37], -v[17:18], v[13:14], v[36:37]
	v_fma_f64 v[38:39], v[15:16], v[13:14], v[11:12]
	v_lshlrev_b64 v[11:12], 4, v[22:23]
	v_add_u32_e32 v22, -3, v20
	;; [unrolled: 25-line block ×4, first 2 shown]
	v_add_co_u32_e32 v11, vcc, s14, v11
	v_addc_co_u32_e32 v12, vcc, v26, v12, vcc
	global_load_dwordx4 v[11:14], v[11:12], off
	v_lshlrev_b64 v[15:16], 4, v[22:23]
	v_add_u32_e32 v22, -7, v20
	v_add_co_u32_e32 v15, vcc, s12, v15
	v_addc_co_u32_e32 v16, vcc, v25, v16, vcc
	v_lshlrev_b64 v[41:42], 4, v[22:23]
	v_add_u32_e32 v22, 6, v40
	v_lshlrev_b64 v[21:22], 4, v[22:23]
	v_add_u32_e32 v20, 0xe0, v20
	s_waitcnt vmcnt(0)
	v_fma_f64 v[17:18], v[32:33], v[11:12], v[45:46]
	v_fma_f64 v[43:44], v[34:35], v[11:12], v[43:44]
	v_fma_f64 v[45:46], -v[34:35], v[13:14], v[17:18]
	global_load_dwordx4 v[15:18], v[15:16], off
	v_fma_f64 v[43:44], v[32:33], v[13:14], v[43:44]
	v_add_co_u32_e32 v32, vcc, s12, v41
	v_addc_co_u32_e32 v33, vcc, v25, v42, vcc
	global_load_dwordx4 v[32:35], v[32:33], off
	v_add_co_u32_e32 v21, vcc, s14, v21
	v_addc_co_u32_e32 v22, vcc, v26, v22, vcc
	v_cmp_ge_i32_e32 vcc, v10, v27
	s_or_b64 s[0:1], vcc, s[0:1]
	s_waitcnt vmcnt(1)
	v_fma_f64 v[36:37], v[15:16], v[11:12], v[36:37]
	v_fma_f64 v[11:12], v[17:18], v[11:12], v[38:39]
	v_fma_f64 v[17:18], -v[17:18], v[13:14], v[36:37]
	v_fma_f64 v[36:37], v[15:16], v[13:14], v[11:12]
	global_load_dwordx4 v[12:15], v[21:22], off
	s_waitcnt vmcnt(0)
	v_fma_f64 v[21:22], v[32:33], v[12:13], v[45:46]
	v_fma_f64 v[38:39], v[34:35], v[12:13], v[43:44]
	;; [unrolled: 1-line block ×4, first 2 shown]
	v_fma_f64 v[18:19], -v[34:35], v[14:15], v[21:22]
	v_fma_f64 v[16:17], v[32:33], v[14:15], v[38:39]
	v_fma_f64 v[12:13], -v[30:31], v[14:15], v[40:41]
	v_fma_f64 v[14:15], v[28:29], v[14:15], v[36:37]
	s_andn2_b64 exec, exec, s[0:1]
	s_cbranch_execnz .LBB255_13
; %bb.14:
	s_or_b64 exec, exec, s[0:1]
.LBB255_15:
	s_or_b64 exec, exec, s[6:7]
.LBB255_16:
	v_mov_b32_dpp v10, v18 row_shr:1 row_mask:0xf bank_mask:0xf
	v_mov_b32_dpp v11, v19 row_shr:1 row_mask:0xf bank_mask:0xf
	v_add_f64 v[10:11], v[18:19], v[10:11]
	v_mov_b32_dpp v18, v16 row_shr:1 row_mask:0xf bank_mask:0xf
	v_mov_b32_dpp v19, v17 row_shr:1 row_mask:0xf bank_mask:0xf
	;; [unrolled: 1-line block ×3, first 2 shown]
	v_add_f64 v[16:17], v[16:17], v[18:19]
	v_mov_b32_dpp v21, v13 row_shr:1 row_mask:0xf bank_mask:0xf
	v_add_f64 v[12:13], v[12:13], v[20:21]
	v_cmp_eq_u32_e32 vcc, 15, v0
	v_mov_b32_dpp v18, v10 row_shr:2 row_mask:0xf bank_mask:0xf
	v_mov_b32_dpp v19, v11 row_shr:2 row_mask:0xf bank_mask:0xf
	v_add_f64 v[10:11], v[10:11], v[18:19]
	v_mov_b32_dpp v18, v14 row_shr:1 row_mask:0xf bank_mask:0xf
	v_mov_b32_dpp v19, v15 row_shr:1 row_mask:0xf bank_mask:0xf
	v_add_f64 v[14:15], v[14:15], v[18:19]
	;; [unrolled: 3-line block ×4, first 2 shown]
	v_mov_b32_dpp v20, v10 row_shr:4 row_mask:0xf bank_mask:0xe
	v_mov_b32_dpp v12, v14 row_shr:2 row_mask:0xf bank_mask:0xf
	;; [unrolled: 1-line block ×3, first 2 shown]
	v_add_f64 v[14:15], v[14:15], v[12:13]
	v_mov_b32_dpp v12, v16 row_shr:4 row_mask:0xf bank_mask:0xe
	v_mov_b32_dpp v13, v17 row_shr:4 row_mask:0xf bank_mask:0xe
	v_add_f64 v[12:13], v[16:17], v[12:13]
	v_mov_b32_dpp v16, v18 row_shr:4 row_mask:0xf bank_mask:0xe
	v_mov_b32_dpp v17, v19 row_shr:4 row_mask:0xf bank_mask:0xe
	;; [unrolled: 1-line block ×3, first 2 shown]
	v_add_f64 v[18:19], v[18:19], v[16:17]
	v_mov_b32_dpp v16, v14 row_shr:4 row_mask:0xf bank_mask:0xe
	v_mov_b32_dpp v17, v15 row_shr:4 row_mask:0xf bank_mask:0xe
	v_add_f64 v[10:11], v[10:11], v[20:21]
	v_add_f64 v[14:15], v[14:15], v[16:17]
	v_mov_b32_dpp v16, v12 row_shr:8 row_mask:0xf bank_mask:0xc
	v_mov_b32_dpp v17, v13 row_shr:8 row_mask:0xf bank_mask:0xc
	;; [unrolled: 1-line block ×8, first 2 shown]
	s_and_b64 exec, exec, vcc
	s_cbranch_execz .LBB255_21
; %bb.17:
	v_cmp_eq_f64_e32 vcc, 0, v[5:6]
	v_cmp_eq_f64_e64 s[0:1], 0, v[7:8]
	v_add_f64 v[10:11], v[10:11], v[24:25]
	v_add_f64 v[16:17], v[12:13], v[16:17]
	;; [unrolled: 1-line block ×4, first 2 shown]
	s_load_dwordx2 s[2:3], s[4:5], 0x48
	s_and_b64 s[0:1], vcc, s[0:1]
	s_and_saveexec_b64 s[4:5], s[0:1]
	s_xor_b64 s[0:1], exec, s[4:5]
	s_cbranch_execz .LBB255_19
; %bb.18:
	v_mul_f64 v[5:6], v[16:17], -v[3:4]
	v_mul_f64 v[7:8], v[1:2], v[16:17]
	v_mul_f64 v[16:17], v[14:15], -v[3:4]
	v_mul_f64 v[14:15], v[1:2], v[14:15]
	v_lshlrev_b32_e32 v9, 1, v9
	s_waitcnt lgkmcnt(0)
	v_mov_b32_e32 v18, s3
	v_fma_f64 v[5:6], v[1:2], v[10:11], v[5:6]
	v_fma_f64 v[7:8], v[3:4], v[10:11], v[7:8]
	;; [unrolled: 1-line block ×4, first 2 shown]
	v_ashrrev_i32_e32 v10, 31, v9
	v_lshlrev_b64 v[9:10], 4, v[9:10]
                                        ; implicit-def: $vgpr16_vgpr17
                                        ; implicit-def: $vgpr12_vgpr13
                                        ; implicit-def: $vgpr14_vgpr15
	v_add_co_u32_e32 v9, vcc, s2, v9
	v_addc_co_u32_e32 v10, vcc, v18, v10, vcc
	global_store_dwordx4 v[9:10], v[5:8], off
	global_store_dwordx4 v[9:10], v[0:3], off offset:16
                                        ; implicit-def: $vgpr9
                                        ; implicit-def: $vgpr10_vgpr11
                                        ; implicit-def: $vgpr7_vgpr8
                                        ; implicit-def: $vgpr3_vgpr4
.LBB255_19:
	s_andn2_saveexec_b64 s[0:1], s[0:1]
	s_cbranch_execz .LBB255_21
; %bb.20:
	v_lshlrev_b32_e32 v18, 1, v9
	v_ashrrev_i32_e32 v19, 31, v18
	v_lshlrev_b64 v[18:19], 4, v[18:19]
	s_waitcnt lgkmcnt(0)
	v_mov_b32_e32 v0, s3
	v_add_co_u32_e32 v26, vcc, s2, v18
	v_addc_co_u32_e32 v27, vcc, v0, v19, vcc
	global_load_dwordx4 v[18:21], v[26:27], off
	global_load_dwordx4 v[22:25], v[26:27], off offset:16
	v_mul_f64 v[28:29], v[16:17], -v[3:4]
	v_mul_f64 v[16:17], v[1:2], v[16:17]
	v_mul_f64 v[30:31], v[14:15], -v[3:4]
	v_mul_f64 v[14:15], v[1:2], v[14:15]
	v_fma_f64 v[28:29], v[1:2], v[10:11], v[28:29]
	v_fma_f64 v[9:10], v[3:4], v[10:11], v[16:17]
	v_fma_f64 v[0:1], v[1:2], v[12:13], v[30:31]
	v_fma_f64 v[2:3], v[3:4], v[12:13], v[14:15]
	s_waitcnt vmcnt(1)
	v_fma_f64 v[11:12], v[5:6], v[18:19], v[28:29]
	v_fma_f64 v[9:10], v[7:8], v[18:19], v[9:10]
	s_waitcnt vmcnt(0)
	v_fma_f64 v[13:14], v[5:6], v[22:23], v[0:1]
	v_fma_f64 v[15:16], v[7:8], v[22:23], v[2:3]
	v_fma_f64 v[0:1], -v[7:8], v[20:21], v[11:12]
	v_fma_f64 v[2:3], v[5:6], v[20:21], v[9:10]
	v_fma_f64 v[7:8], -v[7:8], v[24:25], v[13:14]
	v_fma_f64 v[9:10], v[5:6], v[24:25], v[15:16]
	global_store_dwordx4 v[26:27], v[0:3], off
	global_store_dwordx4 v[26:27], v[7:10], off offset:16
.LBB255_21:
	s_endpgm
	.section	.rodata,"a",@progbits
	.p2align	6, 0x0
	.amdhsa_kernel _ZN9rocsparseL19gebsrmvn_2xn_kernelILj128ELj7ELj16E21rocsparse_complex_numIdEEEvi20rocsparse_direction_NS_24const_host_device_scalarIT2_EEPKiS8_PKS5_SA_S6_PS5_21rocsparse_index_base_b
		.amdhsa_group_segment_fixed_size 0
		.amdhsa_private_segment_fixed_size 0
		.amdhsa_kernarg_size 88
		.amdhsa_user_sgpr_count 6
		.amdhsa_user_sgpr_private_segment_buffer 1
		.amdhsa_user_sgpr_dispatch_ptr 0
		.amdhsa_user_sgpr_queue_ptr 0
		.amdhsa_user_sgpr_kernarg_segment_ptr 1
		.amdhsa_user_sgpr_dispatch_id 0
		.amdhsa_user_sgpr_flat_scratch_init 0
		.amdhsa_user_sgpr_private_segment_size 0
		.amdhsa_uses_dynamic_stack 0
		.amdhsa_system_sgpr_private_segment_wavefront_offset 0
		.amdhsa_system_sgpr_workgroup_id_x 1
		.amdhsa_system_sgpr_workgroup_id_y 0
		.amdhsa_system_sgpr_workgroup_id_z 0
		.amdhsa_system_sgpr_workgroup_info 0
		.amdhsa_system_vgpr_workitem_id 0
		.amdhsa_next_free_vgpr 58
		.amdhsa_next_free_sgpr 16
		.amdhsa_reserve_vcc 1
		.amdhsa_reserve_flat_scratch 0
		.amdhsa_float_round_mode_32 0
		.amdhsa_float_round_mode_16_64 0
		.amdhsa_float_denorm_mode_32 3
		.amdhsa_float_denorm_mode_16_64 3
		.amdhsa_dx10_clamp 1
		.amdhsa_ieee_mode 1
		.amdhsa_fp16_overflow 0
		.amdhsa_exception_fp_ieee_invalid_op 0
		.amdhsa_exception_fp_denorm_src 0
		.amdhsa_exception_fp_ieee_div_zero 0
		.amdhsa_exception_fp_ieee_overflow 0
		.amdhsa_exception_fp_ieee_underflow 0
		.amdhsa_exception_fp_ieee_inexact 0
		.amdhsa_exception_int_div_zero 0
	.end_amdhsa_kernel
	.section	.text._ZN9rocsparseL19gebsrmvn_2xn_kernelILj128ELj7ELj16E21rocsparse_complex_numIdEEEvi20rocsparse_direction_NS_24const_host_device_scalarIT2_EEPKiS8_PKS5_SA_S6_PS5_21rocsparse_index_base_b,"axG",@progbits,_ZN9rocsparseL19gebsrmvn_2xn_kernelILj128ELj7ELj16E21rocsparse_complex_numIdEEEvi20rocsparse_direction_NS_24const_host_device_scalarIT2_EEPKiS8_PKS5_SA_S6_PS5_21rocsparse_index_base_b,comdat
.Lfunc_end255:
	.size	_ZN9rocsparseL19gebsrmvn_2xn_kernelILj128ELj7ELj16E21rocsparse_complex_numIdEEEvi20rocsparse_direction_NS_24const_host_device_scalarIT2_EEPKiS8_PKS5_SA_S6_PS5_21rocsparse_index_base_b, .Lfunc_end255-_ZN9rocsparseL19gebsrmvn_2xn_kernelILj128ELj7ELj16E21rocsparse_complex_numIdEEEvi20rocsparse_direction_NS_24const_host_device_scalarIT2_EEPKiS8_PKS5_SA_S6_PS5_21rocsparse_index_base_b
                                        ; -- End function
	.set _ZN9rocsparseL19gebsrmvn_2xn_kernelILj128ELj7ELj16E21rocsparse_complex_numIdEEEvi20rocsparse_direction_NS_24const_host_device_scalarIT2_EEPKiS8_PKS5_SA_S6_PS5_21rocsparse_index_base_b.num_vgpr, 58
	.set _ZN9rocsparseL19gebsrmvn_2xn_kernelILj128ELj7ELj16E21rocsparse_complex_numIdEEEvi20rocsparse_direction_NS_24const_host_device_scalarIT2_EEPKiS8_PKS5_SA_S6_PS5_21rocsparse_index_base_b.num_agpr, 0
	.set _ZN9rocsparseL19gebsrmvn_2xn_kernelILj128ELj7ELj16E21rocsparse_complex_numIdEEEvi20rocsparse_direction_NS_24const_host_device_scalarIT2_EEPKiS8_PKS5_SA_S6_PS5_21rocsparse_index_base_b.numbered_sgpr, 16
	.set _ZN9rocsparseL19gebsrmvn_2xn_kernelILj128ELj7ELj16E21rocsparse_complex_numIdEEEvi20rocsparse_direction_NS_24const_host_device_scalarIT2_EEPKiS8_PKS5_SA_S6_PS5_21rocsparse_index_base_b.num_named_barrier, 0
	.set _ZN9rocsparseL19gebsrmvn_2xn_kernelILj128ELj7ELj16E21rocsparse_complex_numIdEEEvi20rocsparse_direction_NS_24const_host_device_scalarIT2_EEPKiS8_PKS5_SA_S6_PS5_21rocsparse_index_base_b.private_seg_size, 0
	.set _ZN9rocsparseL19gebsrmvn_2xn_kernelILj128ELj7ELj16E21rocsparse_complex_numIdEEEvi20rocsparse_direction_NS_24const_host_device_scalarIT2_EEPKiS8_PKS5_SA_S6_PS5_21rocsparse_index_base_b.uses_vcc, 1
	.set _ZN9rocsparseL19gebsrmvn_2xn_kernelILj128ELj7ELj16E21rocsparse_complex_numIdEEEvi20rocsparse_direction_NS_24const_host_device_scalarIT2_EEPKiS8_PKS5_SA_S6_PS5_21rocsparse_index_base_b.uses_flat_scratch, 0
	.set _ZN9rocsparseL19gebsrmvn_2xn_kernelILj128ELj7ELj16E21rocsparse_complex_numIdEEEvi20rocsparse_direction_NS_24const_host_device_scalarIT2_EEPKiS8_PKS5_SA_S6_PS5_21rocsparse_index_base_b.has_dyn_sized_stack, 0
	.set _ZN9rocsparseL19gebsrmvn_2xn_kernelILj128ELj7ELj16E21rocsparse_complex_numIdEEEvi20rocsparse_direction_NS_24const_host_device_scalarIT2_EEPKiS8_PKS5_SA_S6_PS5_21rocsparse_index_base_b.has_recursion, 0
	.set _ZN9rocsparseL19gebsrmvn_2xn_kernelILj128ELj7ELj16E21rocsparse_complex_numIdEEEvi20rocsparse_direction_NS_24const_host_device_scalarIT2_EEPKiS8_PKS5_SA_S6_PS5_21rocsparse_index_base_b.has_indirect_call, 0
	.section	.AMDGPU.csdata,"",@progbits
; Kernel info:
; codeLenInByte = 3404
; TotalNumSgprs: 20
; NumVgprs: 58
; ScratchSize: 0
; MemoryBound: 0
; FloatMode: 240
; IeeeMode: 1
; LDSByteSize: 0 bytes/workgroup (compile time only)
; SGPRBlocks: 2
; VGPRBlocks: 14
; NumSGPRsForWavesPerEU: 20
; NumVGPRsForWavesPerEU: 58
; Occupancy: 4
; WaveLimiterHint : 1
; COMPUTE_PGM_RSRC2:SCRATCH_EN: 0
; COMPUTE_PGM_RSRC2:USER_SGPR: 6
; COMPUTE_PGM_RSRC2:TRAP_HANDLER: 0
; COMPUTE_PGM_RSRC2:TGID_X_EN: 1
; COMPUTE_PGM_RSRC2:TGID_Y_EN: 0
; COMPUTE_PGM_RSRC2:TGID_Z_EN: 0
; COMPUTE_PGM_RSRC2:TIDIG_COMP_CNT: 0
	.section	.text._ZN9rocsparseL19gebsrmvn_2xn_kernelILj128ELj7ELj32E21rocsparse_complex_numIdEEEvi20rocsparse_direction_NS_24const_host_device_scalarIT2_EEPKiS8_PKS5_SA_S6_PS5_21rocsparse_index_base_b,"axG",@progbits,_ZN9rocsparseL19gebsrmvn_2xn_kernelILj128ELj7ELj32E21rocsparse_complex_numIdEEEvi20rocsparse_direction_NS_24const_host_device_scalarIT2_EEPKiS8_PKS5_SA_S6_PS5_21rocsparse_index_base_b,comdat
	.globl	_ZN9rocsparseL19gebsrmvn_2xn_kernelILj128ELj7ELj32E21rocsparse_complex_numIdEEEvi20rocsparse_direction_NS_24const_host_device_scalarIT2_EEPKiS8_PKS5_SA_S6_PS5_21rocsparse_index_base_b ; -- Begin function _ZN9rocsparseL19gebsrmvn_2xn_kernelILj128ELj7ELj32E21rocsparse_complex_numIdEEEvi20rocsparse_direction_NS_24const_host_device_scalarIT2_EEPKiS8_PKS5_SA_S6_PS5_21rocsparse_index_base_b
	.p2align	8
	.type	_ZN9rocsparseL19gebsrmvn_2xn_kernelILj128ELj7ELj32E21rocsparse_complex_numIdEEEvi20rocsparse_direction_NS_24const_host_device_scalarIT2_EEPKiS8_PKS5_SA_S6_PS5_21rocsparse_index_base_b,@function
_ZN9rocsparseL19gebsrmvn_2xn_kernelILj128ELj7ELj32E21rocsparse_complex_numIdEEEvi20rocsparse_direction_NS_24const_host_device_scalarIT2_EEPKiS8_PKS5_SA_S6_PS5_21rocsparse_index_base_b: ; @_ZN9rocsparseL19gebsrmvn_2xn_kernelILj128ELj7ELj32E21rocsparse_complex_numIdEEEvi20rocsparse_direction_NS_24const_host_device_scalarIT2_EEPKiS8_PKS5_SA_S6_PS5_21rocsparse_index_base_b
; %bb.0:
	s_load_dwordx2 s[0:1], s[4:5], 0x8
	s_load_dwordx2 s[8:9], s[4:5], 0x38
	;; [unrolled: 1-line block ×3, first 2 shown]
	s_add_u32 s7, s4, 8
	s_addc_u32 s10, s5, 0
	s_add_u32 s11, s4, 56
	s_addc_u32 s12, s5, 0
	s_waitcnt lgkmcnt(0)
	s_bitcmp1_b32 s3, 0
	s_cselect_b32 s1, s10, s1
	s_cselect_b32 s0, s7, s0
	v_mov_b32_e32 v1, s0
	v_mov_b32_e32 v2, s1
	flat_load_dwordx4 v[1:4], v[1:2]
	s_cselect_b32 s0, s12, s9
	s_cselect_b32 s1, s11, s8
	v_mov_b32_e32 v5, s1
	v_mov_b32_e32 v6, s0
	flat_load_dwordx4 v[5:8], v[5:6]
	s_waitcnt vmcnt(0) lgkmcnt(0)
	v_cmp_eq_f64_e32 vcc, 0, v[1:2]
	v_cmp_eq_f64_e64 s[0:1], 0, v[3:4]
	s_and_b64 s[10:11], vcc, s[0:1]
	s_mov_b64 s[0:1], -1
	s_and_saveexec_b64 s[8:9], s[10:11]
	s_cbranch_execz .LBB256_2
; %bb.1:
	v_cmp_neq_f64_e32 vcc, 1.0, v[5:6]
	v_cmp_neq_f64_e64 s[0:1], 0, v[7:8]
	s_or_b64 s[0:1], vcc, s[0:1]
	s_orn2_b64 s[0:1], s[0:1], exec
.LBB256_2:
	s_or_b64 exec, exec, s[8:9]
	s_and_saveexec_b64 s[8:9], s[0:1]
	s_cbranch_execz .LBB256_21
; %bb.3:
	s_load_dwordx2 s[0:1], s[4:5], 0x0
	v_lshrrev_b32_e32 v9, 5, v0
	v_lshl_or_b32 v9, s6, 2, v9
	s_waitcnt lgkmcnt(0)
	v_cmp_gt_i32_e32 vcc, s0, v9
	s_and_b64 exec, exec, vcc
	s_cbranch_execz .LBB256_21
; %bb.4:
	s_load_dwordx8 s[8:15], s[4:5], 0x18
	v_ashrrev_i32_e32 v10, 31, v9
	v_lshlrev_b64 v[10:11], 2, v[9:10]
	v_and_b32_e32 v0, 31, v0
	s_cmp_lg_u32 s1, 0
	s_waitcnt lgkmcnt(0)
	v_mov_b32_e32 v12, s9
	v_add_co_u32_e32 v10, vcc, s8, v10
	v_addc_co_u32_e32 v11, vcc, v12, v11, vcc
	global_load_dwordx2 v[10:11], v[10:11], off
	s_waitcnt vmcnt(0)
	v_subrev_u32_e32 v10, s2, v10
	v_subrev_u32_e32 v27, s2, v11
	v_add_u32_e32 v10, v10, v0
	v_cmp_lt_i32_e64 s[0:1], v10, v27
	s_cbranch_scc0 .LBB256_10
; %bb.5:
	v_mov_b32_e32 v16, 0
	v_mov_b32_e32 v18, 0
	;; [unrolled: 1-line block ×8, first 2 shown]
	s_and_saveexec_b64 s[6:7], s[0:1]
	s_cbranch_execz .LBB256_9
; %bb.6:
	v_mad_u64_u32 v[20:21], s[8:9], v10, 14, 12
	v_mov_b32_e32 v16, 0
	v_mov_b32_e32 v18, 0
	;; [unrolled: 1-line block ×5, first 2 shown]
	s_mov_b64 s[8:9], 0
	v_mov_b32_e32 v11, s11
	v_mov_b32_e32 v23, 0
	;; [unrolled: 1-line block ×8, first 2 shown]
.LBB256_7:                              ; =>This Inner Loop Header: Depth=1
	v_ashrrev_i32_e32 v25, 31, v24
	v_lshlrev_b64 v[30:31], 2, v[24:25]
	v_add_u32_e32 v22, -12, v20
	v_lshlrev_b64 v[32:33], 4, v[22:23]
	v_add_co_u32_e32 v38, vcc, s10, v30
	v_mov_b32_e32 v21, v23
	v_addc_co_u32_e32 v39, vcc, v11, v31, vcc
	v_lshlrev_b64 v[34:35], 4, v[20:21]
	v_add_co_u32_e32 v40, vcc, s12, v32
	v_addc_co_u32_e32 v41, vcc, v28, v33, vcc
	v_add_co_u32_e32 v50, vcc, s12, v34
	v_addc_co_u32_e32 v51, vcc, v28, v35, vcc
	global_load_dword v25, v[38:39], off
	global_load_dwordx4 v[30:33], v[40:41], off
	global_load_dwordx4 v[34:37], v[40:41], off offset:16
	v_add_u32_e32 v22, -10, v20
	v_lshlrev_b64 v[21:22], 4, v[22:23]
	v_mov_b32_e32 v26, v23
	v_add_co_u32_e32 v21, vcc, s12, v21
	v_addc_co_u32_e32 v22, vcc, v28, v22, vcc
	global_load_dwordx4 v[38:41], v[21:22], off
	global_load_dwordx4 v[42:45], v[21:22], off offset:16
	v_add_u32_e32 v24, 32, v24
	s_waitcnt vmcnt(4)
	v_subrev_u32_e32 v21, s2, v25
	v_mul_lo_u32 v25, v21, 7
	v_lshlrev_b64 v[46:47], 4, v[25:26]
	v_add_u32_e32 v22, 1, v25
	v_add_co_u32_e32 v46, vcc, s14, v46
	v_addc_co_u32_e32 v47, vcc, v29, v47, vcc
	global_load_dwordx4 v[46:49], v[46:47], off
	v_lshlrev_b64 v[52:53], 4, v[22:23]
	v_add_u32_e32 v22, -8, v20
	s_waitcnt vmcnt(0)
	v_fma_f64 v[18:19], v[30:31], v[46:47], v[18:19]
	v_fma_f64 v[12:13], v[34:35], v[46:47], v[12:13]
	;; [unrolled: 1-line block ×4, first 2 shown]
	v_fma_f64 v[32:33], -v[32:33], v[48:49], v[18:19]
	v_add_co_u32_e32 v18, vcc, s14, v52
	v_addc_co_u32_e32 v19, vcc, v29, v53, vcc
	v_fma_f64 v[36:37], -v[36:37], v[48:49], v[12:13]
	v_fma_f64 v[34:35], v[34:35], v[48:49], v[14:15]
	global_load_dwordx4 v[12:15], v[18:19], off
	v_fma_f64 v[30:31], v[30:31], v[48:49], v[16:17]
	v_lshlrev_b64 v[16:17], 4, v[22:23]
	v_add_u32_e32 v22, 2, v25
	v_lshlrev_b64 v[52:53], 4, v[22:23]
	v_add_co_u32_e32 v46, vcc, s12, v16
	v_addc_co_u32_e32 v47, vcc, v28, v17, vcc
	v_add_co_u32_e32 v52, vcc, s14, v52
	v_addc_co_u32_e32 v53, vcc, v29, v53, vcc
	global_load_dwordx4 v[16:19], v[46:47], off
	v_add_u32_e32 v22, -6, v20
	v_lshlrev_b64 v[48:49], 4, v[22:23]
	v_add_u32_e32 v22, 3, v25
	v_add_co_u32_e32 v48, vcc, s12, v48
	v_addc_co_u32_e32 v49, vcc, v28, v49, vcc
	s_waitcnt vmcnt(1)
	v_fma_f64 v[32:33], v[38:39], v[12:13], v[32:33]
	v_fma_f64 v[30:31], v[40:41], v[12:13], v[30:31]
	;; [unrolled: 1-line block ×4, first 2 shown]
	v_fma_f64 v[40:41], -v[40:41], v[14:15], v[32:33]
	v_fma_f64 v[38:39], v[38:39], v[14:15], v[30:31]
	global_load_dwordx4 v[30:33], v[46:47], off offset:16
	v_fma_f64 v[44:45], -v[44:45], v[14:15], v[36:37]
	v_fma_f64 v[42:43], v[42:43], v[14:15], v[12:13]
	global_load_dwordx4 v[12:15], v[52:53], off
	v_lshlrev_b64 v[46:47], 4, v[22:23]
	global_load_dwordx4 v[34:37], v[48:49], off
	v_add_co_u32_e32 v46, vcc, s14, v46
	v_addc_co_u32_e32 v47, vcc, v29, v47, vcc
	v_add_u32_e32 v22, -4, v20
	v_lshlrev_b64 v[52:53], 4, v[22:23]
	v_add_u32_e32 v22, 4, v25
	s_waitcnt vmcnt(1)
	v_fma_f64 v[40:41], v[16:17], v[12:13], v[40:41]
	v_fma_f64 v[38:39], v[18:19], v[12:13], v[38:39]
	;; [unrolled: 1-line block ×4, first 2 shown]
	v_fma_f64 v[40:41], -v[18:19], v[14:15], v[40:41]
	v_fma_f64 v[38:39], v[16:17], v[14:15], v[38:39]
	v_fma_f64 v[42:43], -v[32:33], v[14:15], v[44:45]
	v_fma_f64 v[44:45], v[30:31], v[14:15], v[12:13]
	global_load_dwordx4 v[12:15], v[46:47], off
	global_load_dwordx4 v[16:19], v[48:49], off offset:16
	v_lshlrev_b64 v[48:49], 4, v[22:23]
	v_add_co_u32_e32 v46, vcc, s12, v52
	v_addc_co_u32_e32 v47, vcc, v28, v53, vcc
	v_add_co_u32_e32 v48, vcc, s14, v48
	v_addc_co_u32_e32 v49, vcc, v29, v49, vcc
	global_load_dwordx4 v[30:33], v[46:47], off
	v_add_u32_e32 v22, -2, v20
	v_lshlrev_b64 v[52:53], 4, v[22:23]
	v_add_u32_e32 v22, 5, v25
	v_lshlrev_b64 v[21:22], 4, v[22:23]
	v_add_u32_e32 v20, 0x1c0, v20
	s_waitcnt vmcnt(2)
	v_fma_f64 v[38:39], v[36:37], v[12:13], v[38:39]
	v_fma_f64 v[40:41], v[34:35], v[12:13], v[40:41]
	;; [unrolled: 1-line block ×3, first 2 shown]
	s_waitcnt vmcnt(1)
	v_fma_f64 v[38:39], v[16:17], v[12:13], v[42:43]
	v_fma_f64 v[12:13], v[18:19], v[12:13], v[44:45]
	v_fma_f64 v[54:55], -v[36:37], v[14:15], v[40:41]
	global_load_dwordx4 v[34:37], v[46:47], off offset:16
	v_add_co_u32_e32 v46, vcc, s12, v52
	v_addc_co_u32_e32 v47, vcc, v28, v53, vcc
	v_fma_f64 v[42:43], -v[18:19], v[14:15], v[38:39]
	v_fma_f64 v[44:45], v[16:17], v[14:15], v[12:13]
	global_load_dwordx4 v[12:15], v[48:49], off
	global_load_dwordx4 v[16:19], v[46:47], off
	global_load_dwordx4 v[38:41], v[46:47], off offset:16
	v_add_co_u32_e32 v21, vcc, s14, v21
	v_addc_co_u32_e32 v22, vcc, v29, v22, vcc
	s_waitcnt vmcnt(2)
	v_fma_f64 v[46:47], v[30:31], v[12:13], v[54:55]
	v_fma_f64 v[48:49], v[32:33], v[12:13], v[56:57]
	v_fma_f64 v[46:47], -v[32:33], v[14:15], v[46:47]
	v_fma_f64 v[48:49], v[30:31], v[14:15], v[48:49]
	global_load_dwordx4 v[30:33], v[21:22], off
	v_fma_f64 v[21:22], v[34:35], v[12:13], v[42:43]
	v_fma_f64 v[12:13], v[36:37], v[12:13], v[44:45]
	v_fma_f64 v[52:53], -v[36:37], v[14:15], v[21:22]
	v_add_u32_e32 v22, 6, v25
	v_lshlrev_b64 v[21:22], 4, v[22:23]
	v_fma_f64 v[54:55], v[34:35], v[14:15], v[12:13]
	v_add_co_u32_e32 v21, vcc, s14, v21
	v_addc_co_u32_e32 v22, vcc, v29, v22, vcc
	global_load_dwordx4 v[12:15], v[50:51], off
	global_load_dwordx4 v[34:37], v[50:51], off offset:16
	global_load_dwordx4 v[42:45], v[21:22], off
	v_cmp_ge_i32_e32 vcc, v24, v27
	s_or_b64 s[8:9], vcc, s[8:9]
	s_waitcnt vmcnt(3)
	v_fma_f64 v[21:22], v[16:17], v[30:31], v[46:47]
	v_fma_f64 v[25:26], v[18:19], v[30:31], v[48:49]
	v_fma_f64 v[46:47], v[38:39], v[30:31], v[52:53]
	v_fma_f64 v[30:31], v[40:41], v[30:31], v[54:55]
	v_fma_f64 v[18:19], -v[18:19], v[32:33], v[21:22]
	v_fma_f64 v[16:17], v[16:17], v[32:33], v[25:26]
	v_fma_f64 v[21:22], -v[40:41], v[32:33], v[46:47]
	v_fma_f64 v[25:26], v[38:39], v[32:33], v[30:31]
	s_waitcnt vmcnt(0)
	v_fma_f64 v[18:19], v[12:13], v[42:43], v[18:19]
	v_fma_f64 v[16:17], v[14:15], v[42:43], v[16:17]
	;; [unrolled: 1-line block ×4, first 2 shown]
	v_fma_f64 v[18:19], -v[14:15], v[44:45], v[18:19]
	v_fma_f64 v[16:17], v[12:13], v[44:45], v[16:17]
	v_fma_f64 v[12:13], -v[36:37], v[44:45], v[21:22]
	v_fma_f64 v[14:15], v[34:35], v[44:45], v[25:26]
	s_andn2_b64 exec, exec, s[8:9]
	s_cbranch_execnz .LBB256_7
; %bb.8:
	s_or_b64 exec, exec, s[8:9]
.LBB256_9:
	s_or_b64 exec, exec, s[6:7]
	s_cbranch_execz .LBB256_11
	s_branch .LBB256_16
.LBB256_10:
                                        ; implicit-def: $vgpr16_vgpr17
                                        ; implicit-def: $vgpr18_vgpr19
                                        ; implicit-def: $vgpr12_vgpr13
                                        ; implicit-def: $vgpr14_vgpr15
.LBB256_11:
	v_mov_b32_e32 v16, 0
	v_mov_b32_e32 v18, 0
	;; [unrolled: 1-line block ×8, first 2 shown]
	s_and_saveexec_b64 s[6:7], s[0:1]
	s_cbranch_execz .LBB256_15
; %bb.12:
	v_mad_u64_u32 v[20:21], s[0:1], v10, 14, 13
	v_mov_b32_e32 v16, 0
	v_mov_b32_e32 v18, 0
	;; [unrolled: 1-line block ×5, first 2 shown]
	s_mov_b64 s[0:1], 0
	v_mov_b32_e32 v24, s11
	v_mov_b32_e32 v23, 0
	;; [unrolled: 1-line block ×7, first 2 shown]
.LBB256_13:                             ; =>This Inner Loop Header: Depth=1
	v_ashrrev_i32_e32 v11, 31, v10
	v_lshlrev_b64 v[30:31], 2, v[10:11]
	v_add_u32_e32 v22, -13, v20
	v_lshlrev_b64 v[32:33], 4, v[22:23]
	v_add_co_u32_e32 v36, vcc, s10, v30
	v_add_u32_e32 v28, -6, v20
	v_mov_b32_e32 v29, v23
	v_addc_co_u32_e32 v37, vcc, v24, v31, vcc
	v_lshlrev_b64 v[28:29], 4, v[28:29]
	v_add_co_u32_e32 v38, vcc, s12, v32
	v_addc_co_u32_e32 v39, vcc, v25, v33, vcc
	v_add_co_u32_e32 v42, vcc, s12, v28
	v_addc_co_u32_e32 v43, vcc, v25, v29, vcc
	global_load_dword v11, v[36:37], off
	global_load_dwordx4 v[28:31], v[38:39], off
	global_load_dwordx4 v[32:35], v[38:39], off offset:16
	v_mov_b32_e32 v21, v23
	v_lshlrev_b64 v[21:22], 4, v[20:21]
	v_mov_b32_e32 v41, v23
	v_add_co_u32_e32 v21, vcc, s12, v21
	v_addc_co_u32_e32 v22, vcc, v25, v22, vcc
	v_add_u32_e32 v10, 32, v10
	s_waitcnt vmcnt(2)
	v_subrev_u32_e32 v11, s2, v11
	v_mul_lo_u32 v40, v11, 7
	v_lshlrev_b64 v[36:37], 4, v[40:41]
	v_add_co_u32_e32 v36, vcc, s14, v36
	v_addc_co_u32_e32 v37, vcc, v26, v37, vcc
	global_load_dwordx4 v[36:39], v[36:37], off
	s_waitcnt vmcnt(0)
	v_fma_f64 v[18:19], v[28:29], v[36:37], v[18:19]
	v_fma_f64 v[16:17], v[30:31], v[36:37], v[16:17]
	v_fma_f64 v[44:45], -v[30:31], v[38:39], v[18:19]
	v_fma_f64 v[46:47], v[28:29], v[38:39], v[16:17]
	global_load_dwordx4 v[16:19], v[42:43], off
	global_load_dwordx4 v[28:31], v[21:22], off
	v_add_u32_e32 v22, 1, v40
	s_waitcnt vmcnt(1)
	v_fma_f64 v[11:12], v[16:17], v[36:37], v[12:13]
	v_fma_f64 v[13:14], v[18:19], v[36:37], v[14:15]
	v_fma_f64 v[36:37], -v[18:19], v[38:39], v[11:12]
	v_lshlrev_b64 v[11:12], 4, v[22:23]
	v_add_u32_e32 v22, -5, v20
	v_fma_f64 v[38:39], v[16:17], v[38:39], v[13:14]
	v_lshlrev_b64 v[13:14], 4, v[22:23]
	v_add_co_u32_e32 v11, vcc, s14, v11
	v_addc_co_u32_e32 v12, vcc, v26, v12, vcc
	v_add_co_u32_e32 v15, vcc, s12, v13
	v_addc_co_u32_e32 v16, vcc, v25, v14, vcc
	global_load_dwordx4 v[11:14], v[11:12], off
	v_add_u32_e32 v22, -11, v20
	v_lshlrev_b64 v[41:42], 4, v[22:23]
	v_add_u32_e32 v22, 2, v40
	s_waitcnt vmcnt(0)
	v_fma_f64 v[17:18], v[32:33], v[11:12], v[44:45]
	v_fma_f64 v[43:44], v[34:35], v[11:12], v[46:47]
	v_fma_f64 v[45:46], -v[34:35], v[13:14], v[17:18]
	global_load_dwordx4 v[15:18], v[15:16], off
	v_fma_f64 v[43:44], v[32:33], v[13:14], v[43:44]
	v_add_co_u32_e32 v32, vcc, s12, v41
	v_addc_co_u32_e32 v33, vcc, v25, v42, vcc
	global_load_dwordx4 v[32:35], v[32:33], off
	s_waitcnt vmcnt(1)
	v_fma_f64 v[36:37], v[15:16], v[11:12], v[36:37]
	v_fma_f64 v[11:12], v[17:18], v[11:12], v[38:39]
	v_fma_f64 v[36:37], -v[17:18], v[13:14], v[36:37]
	v_fma_f64 v[38:39], v[15:16], v[13:14], v[11:12]
	v_lshlrev_b64 v[11:12], 4, v[22:23]
	v_add_u32_e32 v22, -4, v20
	v_lshlrev_b64 v[13:14], 4, v[22:23]
	v_add_co_u32_e32 v11, vcc, s14, v11
	v_addc_co_u32_e32 v12, vcc, v26, v12, vcc
	v_add_co_u32_e32 v15, vcc, s12, v13
	v_addc_co_u32_e32 v16, vcc, v25, v14, vcc
	global_load_dwordx4 v[11:14], v[11:12], off
	v_add_u32_e32 v22, -10, v20
	v_lshlrev_b64 v[41:42], 4, v[22:23]
	v_add_u32_e32 v22, 3, v40
	s_waitcnt vmcnt(0)
	v_fma_f64 v[17:18], v[32:33], v[11:12], v[45:46]
	v_fma_f64 v[43:44], v[34:35], v[11:12], v[43:44]
	v_fma_f64 v[45:46], -v[34:35], v[13:14], v[17:18]
	global_load_dwordx4 v[15:18], v[15:16], off
	v_fma_f64 v[43:44], v[32:33], v[13:14], v[43:44]
	v_add_co_u32_e32 v32, vcc, s12, v41
	v_addc_co_u32_e32 v33, vcc, v25, v42, vcc
	global_load_dwordx4 v[32:35], v[32:33], off
	s_waitcnt vmcnt(1)
	v_fma_f64 v[36:37], v[15:16], v[11:12], v[36:37]
	v_fma_f64 v[11:12], v[17:18], v[11:12], v[38:39]
	v_fma_f64 v[36:37], -v[17:18], v[13:14], v[36:37]
	v_fma_f64 v[38:39], v[15:16], v[13:14], v[11:12]
	v_lshlrev_b64 v[11:12], 4, v[22:23]
	v_add_u32_e32 v22, -3, v20
	;; [unrolled: 25-line block ×4, first 2 shown]
	v_add_co_u32_e32 v11, vcc, s14, v11
	v_addc_co_u32_e32 v12, vcc, v26, v12, vcc
	global_load_dwordx4 v[11:14], v[11:12], off
	v_lshlrev_b64 v[15:16], 4, v[22:23]
	v_add_u32_e32 v22, -7, v20
	v_add_co_u32_e32 v15, vcc, s12, v15
	v_addc_co_u32_e32 v16, vcc, v25, v16, vcc
	v_lshlrev_b64 v[41:42], 4, v[22:23]
	v_add_u32_e32 v22, 6, v40
	v_lshlrev_b64 v[21:22], 4, v[22:23]
	v_add_u32_e32 v20, 0x1c0, v20
	s_waitcnt vmcnt(0)
	v_fma_f64 v[17:18], v[32:33], v[11:12], v[45:46]
	v_fma_f64 v[43:44], v[34:35], v[11:12], v[43:44]
	v_fma_f64 v[45:46], -v[34:35], v[13:14], v[17:18]
	global_load_dwordx4 v[15:18], v[15:16], off
	v_fma_f64 v[43:44], v[32:33], v[13:14], v[43:44]
	v_add_co_u32_e32 v32, vcc, s12, v41
	v_addc_co_u32_e32 v33, vcc, v25, v42, vcc
	global_load_dwordx4 v[32:35], v[32:33], off
	v_add_co_u32_e32 v21, vcc, s14, v21
	v_addc_co_u32_e32 v22, vcc, v26, v22, vcc
	v_cmp_ge_i32_e32 vcc, v10, v27
	s_or_b64 s[0:1], vcc, s[0:1]
	s_waitcnt vmcnt(1)
	v_fma_f64 v[36:37], v[15:16], v[11:12], v[36:37]
	v_fma_f64 v[11:12], v[17:18], v[11:12], v[38:39]
	v_fma_f64 v[17:18], -v[17:18], v[13:14], v[36:37]
	v_fma_f64 v[36:37], v[15:16], v[13:14], v[11:12]
	global_load_dwordx4 v[12:15], v[21:22], off
	s_waitcnt vmcnt(0)
	v_fma_f64 v[21:22], v[32:33], v[12:13], v[45:46]
	v_fma_f64 v[38:39], v[34:35], v[12:13], v[43:44]
	;; [unrolled: 1-line block ×4, first 2 shown]
	v_fma_f64 v[18:19], -v[34:35], v[14:15], v[21:22]
	v_fma_f64 v[16:17], v[32:33], v[14:15], v[38:39]
	v_fma_f64 v[12:13], -v[30:31], v[14:15], v[40:41]
	v_fma_f64 v[14:15], v[28:29], v[14:15], v[36:37]
	s_andn2_b64 exec, exec, s[0:1]
	s_cbranch_execnz .LBB256_13
; %bb.14:
	s_or_b64 exec, exec, s[0:1]
.LBB256_15:
	s_or_b64 exec, exec, s[6:7]
.LBB256_16:
	v_mov_b32_dpp v10, v18 row_shr:1 row_mask:0xf bank_mask:0xf
	v_mov_b32_dpp v11, v19 row_shr:1 row_mask:0xf bank_mask:0xf
	v_add_f64 v[10:11], v[18:19], v[10:11]
	v_mov_b32_dpp v18, v16 row_shr:1 row_mask:0xf bank_mask:0xf
	v_mov_b32_dpp v19, v17 row_shr:1 row_mask:0xf bank_mask:0xf
	v_add_f64 v[16:17], v[16:17], v[18:19]
	;; [unrolled: 3-line block ×3, first 2 shown]
	v_cmp_eq_u32_e32 vcc, 31, v0
	v_mov_b32_dpp v18, v10 row_shr:2 row_mask:0xf bank_mask:0xf
	v_mov_b32_dpp v19, v11 row_shr:2 row_mask:0xf bank_mask:0xf
	v_add_f64 v[10:11], v[10:11], v[18:19]
	v_mov_b32_dpp v18, v14 row_shr:1 row_mask:0xf bank_mask:0xf
	v_mov_b32_dpp v19, v15 row_shr:1 row_mask:0xf bank_mask:0xf
	v_add_f64 v[14:15], v[14:15], v[18:19]
	;; [unrolled: 3-line block ×4, first 2 shown]
	v_mov_b32_dpp v20, v12 row_shr:2 row_mask:0xf bank_mask:0xf
	v_mov_b32_dpp v21, v13 row_shr:2 row_mask:0xf bank_mask:0xf
	;; [unrolled: 1-line block ×3, first 2 shown]
	v_add_f64 v[12:13], v[12:13], v[20:21]
	v_mov_b32_dpp v19, v15 row_shr:2 row_mask:0xf bank_mask:0xf
	v_add_f64 v[14:15], v[14:15], v[18:19]
	v_mov_b32_dpp v20, v16 row_shr:4 row_mask:0xf bank_mask:0xe
	v_mov_b32_dpp v21, v17 row_shr:4 row_mask:0xf bank_mask:0xe
	v_add_f64 v[16:17], v[16:17], v[20:21]
	v_mov_b32_dpp v18, v10 row_shr:8 row_mask:0xf bank_mask:0xc
	v_mov_b32_dpp v19, v11 row_shr:8 row_mask:0xf bank_mask:0xc
	;; [unrolled: 1-line block ×4, first 2 shown]
	v_add_f64 v[20:21], v[12:13], v[20:21]
	v_mov_b32_dpp v12, v14 row_shr:4 row_mask:0xf bank_mask:0xe
	v_mov_b32_dpp v13, v15 row_shr:4 row_mask:0xf bank_mask:0xe
	v_add_f64 v[14:15], v[14:15], v[12:13]
	v_mov_b32_dpp v12, v16 row_shr:8 row_mask:0xf bank_mask:0xc
	v_mov_b32_dpp v13, v17 row_shr:8 row_mask:0xf bank_mask:0xc
	v_add_f64 v[12:13], v[16:17], v[12:13]
	v_add_f64 v[10:11], v[10:11], v[18:19]
	v_mov_b32_dpp v16, v20 row_shr:8 row_mask:0xf bank_mask:0xc
	v_mov_b32_dpp v17, v21 row_shr:8 row_mask:0xf bank_mask:0xc
	v_add_f64 v[18:19], v[20:21], v[16:17]
	v_mov_b32_dpp v16, v14 row_shr:8 row_mask:0xf bank_mask:0xc
	v_mov_b32_dpp v17, v15 row_shr:8 row_mask:0xf bank_mask:0xc
	v_add_f64 v[14:15], v[14:15], v[16:17]
	v_mov_b32_dpp v16, v12 row_bcast:15 row_mask:0xa bank_mask:0xf
	v_mov_b32_dpp v24, v10 row_bcast:15 row_mask:0xa bank_mask:0xf
	;; [unrolled: 1-line block ×8, first 2 shown]
	s_and_b64 exec, exec, vcc
	s_cbranch_execz .LBB256_21
; %bb.17:
	v_cmp_eq_f64_e32 vcc, 0, v[5:6]
	v_cmp_eq_f64_e64 s[0:1], 0, v[7:8]
	v_add_f64 v[10:11], v[10:11], v[24:25]
	v_add_f64 v[16:17], v[12:13], v[16:17]
	;; [unrolled: 1-line block ×4, first 2 shown]
	s_load_dwordx2 s[2:3], s[4:5], 0x48
	s_and_b64 s[0:1], vcc, s[0:1]
	s_and_saveexec_b64 s[4:5], s[0:1]
	s_xor_b64 s[0:1], exec, s[4:5]
	s_cbranch_execz .LBB256_19
; %bb.18:
	v_mul_f64 v[5:6], v[16:17], -v[3:4]
	v_mul_f64 v[7:8], v[1:2], v[16:17]
	v_mul_f64 v[16:17], v[14:15], -v[3:4]
	v_mul_f64 v[14:15], v[1:2], v[14:15]
	v_lshlrev_b32_e32 v9, 1, v9
	s_waitcnt lgkmcnt(0)
	v_mov_b32_e32 v18, s3
	v_fma_f64 v[5:6], v[1:2], v[10:11], v[5:6]
	v_fma_f64 v[7:8], v[3:4], v[10:11], v[7:8]
	;; [unrolled: 1-line block ×4, first 2 shown]
	v_ashrrev_i32_e32 v10, 31, v9
	v_lshlrev_b64 v[9:10], 4, v[9:10]
                                        ; implicit-def: $vgpr16_vgpr17
                                        ; implicit-def: $vgpr12_vgpr13
                                        ; implicit-def: $vgpr14_vgpr15
	v_add_co_u32_e32 v9, vcc, s2, v9
	v_addc_co_u32_e32 v10, vcc, v18, v10, vcc
	global_store_dwordx4 v[9:10], v[5:8], off
	global_store_dwordx4 v[9:10], v[0:3], off offset:16
                                        ; implicit-def: $vgpr9
                                        ; implicit-def: $vgpr10_vgpr11
                                        ; implicit-def: $vgpr7_vgpr8
                                        ; implicit-def: $vgpr3_vgpr4
.LBB256_19:
	s_andn2_saveexec_b64 s[0:1], s[0:1]
	s_cbranch_execz .LBB256_21
; %bb.20:
	v_lshlrev_b32_e32 v18, 1, v9
	v_ashrrev_i32_e32 v19, 31, v18
	v_lshlrev_b64 v[18:19], 4, v[18:19]
	s_waitcnt lgkmcnt(0)
	v_mov_b32_e32 v0, s3
	v_add_co_u32_e32 v26, vcc, s2, v18
	v_addc_co_u32_e32 v27, vcc, v0, v19, vcc
	global_load_dwordx4 v[18:21], v[26:27], off
	global_load_dwordx4 v[22:25], v[26:27], off offset:16
	v_mul_f64 v[28:29], v[16:17], -v[3:4]
	v_mul_f64 v[16:17], v[1:2], v[16:17]
	v_mul_f64 v[30:31], v[14:15], -v[3:4]
	v_mul_f64 v[14:15], v[1:2], v[14:15]
	v_fma_f64 v[28:29], v[1:2], v[10:11], v[28:29]
	v_fma_f64 v[9:10], v[3:4], v[10:11], v[16:17]
	;; [unrolled: 1-line block ×4, first 2 shown]
	s_waitcnt vmcnt(1)
	v_fma_f64 v[11:12], v[5:6], v[18:19], v[28:29]
	v_fma_f64 v[9:10], v[7:8], v[18:19], v[9:10]
	s_waitcnt vmcnt(0)
	v_fma_f64 v[13:14], v[5:6], v[22:23], v[0:1]
	v_fma_f64 v[15:16], v[7:8], v[22:23], v[2:3]
	v_fma_f64 v[0:1], -v[7:8], v[20:21], v[11:12]
	v_fma_f64 v[2:3], v[5:6], v[20:21], v[9:10]
	v_fma_f64 v[7:8], -v[7:8], v[24:25], v[13:14]
	v_fma_f64 v[9:10], v[5:6], v[24:25], v[15:16]
	global_store_dwordx4 v[26:27], v[0:3], off
	global_store_dwordx4 v[26:27], v[7:10], off offset:16
.LBB256_21:
	s_endpgm
	.section	.rodata,"a",@progbits
	.p2align	6, 0x0
	.amdhsa_kernel _ZN9rocsparseL19gebsrmvn_2xn_kernelILj128ELj7ELj32E21rocsparse_complex_numIdEEEvi20rocsparse_direction_NS_24const_host_device_scalarIT2_EEPKiS8_PKS5_SA_S6_PS5_21rocsparse_index_base_b
		.amdhsa_group_segment_fixed_size 0
		.amdhsa_private_segment_fixed_size 0
		.amdhsa_kernarg_size 88
		.amdhsa_user_sgpr_count 6
		.amdhsa_user_sgpr_private_segment_buffer 1
		.amdhsa_user_sgpr_dispatch_ptr 0
		.amdhsa_user_sgpr_queue_ptr 0
		.amdhsa_user_sgpr_kernarg_segment_ptr 1
		.amdhsa_user_sgpr_dispatch_id 0
		.amdhsa_user_sgpr_flat_scratch_init 0
		.amdhsa_user_sgpr_private_segment_size 0
		.amdhsa_uses_dynamic_stack 0
		.amdhsa_system_sgpr_private_segment_wavefront_offset 0
		.amdhsa_system_sgpr_workgroup_id_x 1
		.amdhsa_system_sgpr_workgroup_id_y 0
		.amdhsa_system_sgpr_workgroup_id_z 0
		.amdhsa_system_sgpr_workgroup_info 0
		.amdhsa_system_vgpr_workitem_id 0
		.amdhsa_next_free_vgpr 58
		.amdhsa_next_free_sgpr 16
		.amdhsa_reserve_vcc 1
		.amdhsa_reserve_flat_scratch 0
		.amdhsa_float_round_mode_32 0
		.amdhsa_float_round_mode_16_64 0
		.amdhsa_float_denorm_mode_32 3
		.amdhsa_float_denorm_mode_16_64 3
		.amdhsa_dx10_clamp 1
		.amdhsa_ieee_mode 1
		.amdhsa_fp16_overflow 0
		.amdhsa_exception_fp_ieee_invalid_op 0
		.amdhsa_exception_fp_denorm_src 0
		.amdhsa_exception_fp_ieee_div_zero 0
		.amdhsa_exception_fp_ieee_overflow 0
		.amdhsa_exception_fp_ieee_underflow 0
		.amdhsa_exception_fp_ieee_inexact 0
		.amdhsa_exception_int_div_zero 0
	.end_amdhsa_kernel
	.section	.text._ZN9rocsparseL19gebsrmvn_2xn_kernelILj128ELj7ELj32E21rocsparse_complex_numIdEEEvi20rocsparse_direction_NS_24const_host_device_scalarIT2_EEPKiS8_PKS5_SA_S6_PS5_21rocsparse_index_base_b,"axG",@progbits,_ZN9rocsparseL19gebsrmvn_2xn_kernelILj128ELj7ELj32E21rocsparse_complex_numIdEEEvi20rocsparse_direction_NS_24const_host_device_scalarIT2_EEPKiS8_PKS5_SA_S6_PS5_21rocsparse_index_base_b,comdat
.Lfunc_end256:
	.size	_ZN9rocsparseL19gebsrmvn_2xn_kernelILj128ELj7ELj32E21rocsparse_complex_numIdEEEvi20rocsparse_direction_NS_24const_host_device_scalarIT2_EEPKiS8_PKS5_SA_S6_PS5_21rocsparse_index_base_b, .Lfunc_end256-_ZN9rocsparseL19gebsrmvn_2xn_kernelILj128ELj7ELj32E21rocsparse_complex_numIdEEEvi20rocsparse_direction_NS_24const_host_device_scalarIT2_EEPKiS8_PKS5_SA_S6_PS5_21rocsparse_index_base_b
                                        ; -- End function
	.set _ZN9rocsparseL19gebsrmvn_2xn_kernelILj128ELj7ELj32E21rocsparse_complex_numIdEEEvi20rocsparse_direction_NS_24const_host_device_scalarIT2_EEPKiS8_PKS5_SA_S6_PS5_21rocsparse_index_base_b.num_vgpr, 58
	.set _ZN9rocsparseL19gebsrmvn_2xn_kernelILj128ELj7ELj32E21rocsparse_complex_numIdEEEvi20rocsparse_direction_NS_24const_host_device_scalarIT2_EEPKiS8_PKS5_SA_S6_PS5_21rocsparse_index_base_b.num_agpr, 0
	.set _ZN9rocsparseL19gebsrmvn_2xn_kernelILj128ELj7ELj32E21rocsparse_complex_numIdEEEvi20rocsparse_direction_NS_24const_host_device_scalarIT2_EEPKiS8_PKS5_SA_S6_PS5_21rocsparse_index_base_b.numbered_sgpr, 16
	.set _ZN9rocsparseL19gebsrmvn_2xn_kernelILj128ELj7ELj32E21rocsparse_complex_numIdEEEvi20rocsparse_direction_NS_24const_host_device_scalarIT2_EEPKiS8_PKS5_SA_S6_PS5_21rocsparse_index_base_b.num_named_barrier, 0
	.set _ZN9rocsparseL19gebsrmvn_2xn_kernelILj128ELj7ELj32E21rocsparse_complex_numIdEEEvi20rocsparse_direction_NS_24const_host_device_scalarIT2_EEPKiS8_PKS5_SA_S6_PS5_21rocsparse_index_base_b.private_seg_size, 0
	.set _ZN9rocsparseL19gebsrmvn_2xn_kernelILj128ELj7ELj32E21rocsparse_complex_numIdEEEvi20rocsparse_direction_NS_24const_host_device_scalarIT2_EEPKiS8_PKS5_SA_S6_PS5_21rocsparse_index_base_b.uses_vcc, 1
	.set _ZN9rocsparseL19gebsrmvn_2xn_kernelILj128ELj7ELj32E21rocsparse_complex_numIdEEEvi20rocsparse_direction_NS_24const_host_device_scalarIT2_EEPKiS8_PKS5_SA_S6_PS5_21rocsparse_index_base_b.uses_flat_scratch, 0
	.set _ZN9rocsparseL19gebsrmvn_2xn_kernelILj128ELj7ELj32E21rocsparse_complex_numIdEEEvi20rocsparse_direction_NS_24const_host_device_scalarIT2_EEPKiS8_PKS5_SA_S6_PS5_21rocsparse_index_base_b.has_dyn_sized_stack, 0
	.set _ZN9rocsparseL19gebsrmvn_2xn_kernelILj128ELj7ELj32E21rocsparse_complex_numIdEEEvi20rocsparse_direction_NS_24const_host_device_scalarIT2_EEPKiS8_PKS5_SA_S6_PS5_21rocsparse_index_base_b.has_recursion, 0
	.set _ZN9rocsparseL19gebsrmvn_2xn_kernelILj128ELj7ELj32E21rocsparse_complex_numIdEEEvi20rocsparse_direction_NS_24const_host_device_scalarIT2_EEPKiS8_PKS5_SA_S6_PS5_21rocsparse_index_base_b.has_indirect_call, 0
	.section	.AMDGPU.csdata,"",@progbits
; Kernel info:
; codeLenInByte = 3500
; TotalNumSgprs: 20
; NumVgprs: 58
; ScratchSize: 0
; MemoryBound: 0
; FloatMode: 240
; IeeeMode: 1
; LDSByteSize: 0 bytes/workgroup (compile time only)
; SGPRBlocks: 2
; VGPRBlocks: 14
; NumSGPRsForWavesPerEU: 20
; NumVGPRsForWavesPerEU: 58
; Occupancy: 4
; WaveLimiterHint : 1
; COMPUTE_PGM_RSRC2:SCRATCH_EN: 0
; COMPUTE_PGM_RSRC2:USER_SGPR: 6
; COMPUTE_PGM_RSRC2:TRAP_HANDLER: 0
; COMPUTE_PGM_RSRC2:TGID_X_EN: 1
; COMPUTE_PGM_RSRC2:TGID_Y_EN: 0
; COMPUTE_PGM_RSRC2:TGID_Z_EN: 0
; COMPUTE_PGM_RSRC2:TIDIG_COMP_CNT: 0
	.section	.text._ZN9rocsparseL19gebsrmvn_2xn_kernelILj128ELj7ELj64E21rocsparse_complex_numIdEEEvi20rocsparse_direction_NS_24const_host_device_scalarIT2_EEPKiS8_PKS5_SA_S6_PS5_21rocsparse_index_base_b,"axG",@progbits,_ZN9rocsparseL19gebsrmvn_2xn_kernelILj128ELj7ELj64E21rocsparse_complex_numIdEEEvi20rocsparse_direction_NS_24const_host_device_scalarIT2_EEPKiS8_PKS5_SA_S6_PS5_21rocsparse_index_base_b,comdat
	.globl	_ZN9rocsparseL19gebsrmvn_2xn_kernelILj128ELj7ELj64E21rocsparse_complex_numIdEEEvi20rocsparse_direction_NS_24const_host_device_scalarIT2_EEPKiS8_PKS5_SA_S6_PS5_21rocsparse_index_base_b ; -- Begin function _ZN9rocsparseL19gebsrmvn_2xn_kernelILj128ELj7ELj64E21rocsparse_complex_numIdEEEvi20rocsparse_direction_NS_24const_host_device_scalarIT2_EEPKiS8_PKS5_SA_S6_PS5_21rocsparse_index_base_b
	.p2align	8
	.type	_ZN9rocsparseL19gebsrmvn_2xn_kernelILj128ELj7ELj64E21rocsparse_complex_numIdEEEvi20rocsparse_direction_NS_24const_host_device_scalarIT2_EEPKiS8_PKS5_SA_S6_PS5_21rocsparse_index_base_b,@function
_ZN9rocsparseL19gebsrmvn_2xn_kernelILj128ELj7ELj64E21rocsparse_complex_numIdEEEvi20rocsparse_direction_NS_24const_host_device_scalarIT2_EEPKiS8_PKS5_SA_S6_PS5_21rocsparse_index_base_b: ; @_ZN9rocsparseL19gebsrmvn_2xn_kernelILj128ELj7ELj64E21rocsparse_complex_numIdEEEvi20rocsparse_direction_NS_24const_host_device_scalarIT2_EEPKiS8_PKS5_SA_S6_PS5_21rocsparse_index_base_b
; %bb.0:
	s_load_dwordx2 s[0:1], s[4:5], 0x8
	s_load_dwordx2 s[8:9], s[4:5], 0x38
	;; [unrolled: 1-line block ×3, first 2 shown]
	s_add_u32 s7, s4, 8
	s_addc_u32 s10, s5, 0
	s_add_u32 s11, s4, 56
	s_addc_u32 s12, s5, 0
	s_waitcnt lgkmcnt(0)
	s_bitcmp1_b32 s3, 0
	s_cselect_b32 s1, s10, s1
	s_cselect_b32 s0, s7, s0
	v_mov_b32_e32 v1, s0
	v_mov_b32_e32 v2, s1
	flat_load_dwordx4 v[1:4], v[1:2]
	s_cselect_b32 s0, s12, s9
	s_cselect_b32 s1, s11, s8
	v_mov_b32_e32 v5, s1
	v_mov_b32_e32 v6, s0
	flat_load_dwordx4 v[5:8], v[5:6]
	s_waitcnt vmcnt(0) lgkmcnt(0)
	v_cmp_eq_f64_e32 vcc, 0, v[1:2]
	v_cmp_eq_f64_e64 s[0:1], 0, v[3:4]
	s_and_b64 s[10:11], vcc, s[0:1]
	s_mov_b64 s[0:1], -1
	s_and_saveexec_b64 s[8:9], s[10:11]
	s_cbranch_execz .LBB257_2
; %bb.1:
	v_cmp_neq_f64_e32 vcc, 1.0, v[5:6]
	v_cmp_neq_f64_e64 s[0:1], 0, v[7:8]
	s_or_b64 s[0:1], vcc, s[0:1]
	s_orn2_b64 s[0:1], s[0:1], exec
.LBB257_2:
	s_or_b64 exec, exec, s[8:9]
	s_and_saveexec_b64 s[8:9], s[0:1]
	s_cbranch_execz .LBB257_21
; %bb.3:
	s_load_dwordx2 s[0:1], s[4:5], 0x0
	v_lshrrev_b32_e32 v9, 6, v0
	v_lshl_or_b32 v9, s6, 1, v9
	s_waitcnt lgkmcnt(0)
	v_cmp_gt_i32_e32 vcc, s0, v9
	s_and_b64 exec, exec, vcc
	s_cbranch_execz .LBB257_21
; %bb.4:
	s_load_dwordx8 s[8:15], s[4:5], 0x18
	v_ashrrev_i32_e32 v10, 31, v9
	v_lshlrev_b64 v[10:11], 2, v[9:10]
	v_and_b32_e32 v0, 63, v0
	s_cmp_lg_u32 s1, 0
	s_waitcnt lgkmcnt(0)
	v_mov_b32_e32 v12, s9
	v_add_co_u32_e32 v10, vcc, s8, v10
	v_addc_co_u32_e32 v11, vcc, v12, v11, vcc
	global_load_dwordx2 v[10:11], v[10:11], off
	s_waitcnt vmcnt(0)
	v_subrev_u32_e32 v10, s2, v10
	v_subrev_u32_e32 v27, s2, v11
	v_add_u32_e32 v10, v10, v0
	v_cmp_lt_i32_e64 s[0:1], v10, v27
	s_cbranch_scc0 .LBB257_10
; %bb.5:
	v_mov_b32_e32 v16, 0
	v_mov_b32_e32 v18, 0
	;; [unrolled: 1-line block ×8, first 2 shown]
	s_and_saveexec_b64 s[6:7], s[0:1]
	s_cbranch_execz .LBB257_9
; %bb.6:
	v_mad_u64_u32 v[20:21], s[8:9], v10, 14, 12
	v_mov_b32_e32 v16, 0
	v_mov_b32_e32 v18, 0
	;; [unrolled: 1-line block ×5, first 2 shown]
	s_mov_b64 s[8:9], 0
	v_mov_b32_e32 v11, s11
	v_mov_b32_e32 v23, 0
	;; [unrolled: 1-line block ×8, first 2 shown]
.LBB257_7:                              ; =>This Inner Loop Header: Depth=1
	v_ashrrev_i32_e32 v25, 31, v24
	v_lshlrev_b64 v[30:31], 2, v[24:25]
	v_add_u32_e32 v22, -12, v20
	v_lshlrev_b64 v[32:33], 4, v[22:23]
	v_add_co_u32_e32 v38, vcc, s10, v30
	v_mov_b32_e32 v21, v23
	v_addc_co_u32_e32 v39, vcc, v11, v31, vcc
	v_lshlrev_b64 v[34:35], 4, v[20:21]
	v_add_co_u32_e32 v40, vcc, s12, v32
	v_addc_co_u32_e32 v41, vcc, v28, v33, vcc
	v_add_co_u32_e32 v50, vcc, s12, v34
	v_addc_co_u32_e32 v51, vcc, v28, v35, vcc
	global_load_dword v25, v[38:39], off
	global_load_dwordx4 v[30:33], v[40:41], off
	global_load_dwordx4 v[34:37], v[40:41], off offset:16
	v_add_u32_e32 v22, -10, v20
	v_lshlrev_b64 v[21:22], 4, v[22:23]
	v_mov_b32_e32 v26, v23
	v_add_co_u32_e32 v21, vcc, s12, v21
	v_addc_co_u32_e32 v22, vcc, v28, v22, vcc
	global_load_dwordx4 v[38:41], v[21:22], off
	global_load_dwordx4 v[42:45], v[21:22], off offset:16
	v_add_u32_e32 v24, 64, v24
	s_waitcnt vmcnt(4)
	v_subrev_u32_e32 v21, s2, v25
	v_mul_lo_u32 v25, v21, 7
	v_lshlrev_b64 v[46:47], 4, v[25:26]
	v_add_u32_e32 v22, 1, v25
	v_add_co_u32_e32 v46, vcc, s14, v46
	v_addc_co_u32_e32 v47, vcc, v29, v47, vcc
	global_load_dwordx4 v[46:49], v[46:47], off
	v_lshlrev_b64 v[52:53], 4, v[22:23]
	v_add_u32_e32 v22, -8, v20
	s_waitcnt vmcnt(0)
	v_fma_f64 v[18:19], v[30:31], v[46:47], v[18:19]
	v_fma_f64 v[12:13], v[34:35], v[46:47], v[12:13]
	;; [unrolled: 1-line block ×4, first 2 shown]
	v_fma_f64 v[32:33], -v[32:33], v[48:49], v[18:19]
	v_add_co_u32_e32 v18, vcc, s14, v52
	v_addc_co_u32_e32 v19, vcc, v29, v53, vcc
	v_fma_f64 v[36:37], -v[36:37], v[48:49], v[12:13]
	v_fma_f64 v[34:35], v[34:35], v[48:49], v[14:15]
	global_load_dwordx4 v[12:15], v[18:19], off
	v_fma_f64 v[30:31], v[30:31], v[48:49], v[16:17]
	v_lshlrev_b64 v[16:17], 4, v[22:23]
	v_add_u32_e32 v22, 2, v25
	v_lshlrev_b64 v[52:53], 4, v[22:23]
	v_add_co_u32_e32 v46, vcc, s12, v16
	v_addc_co_u32_e32 v47, vcc, v28, v17, vcc
	v_add_co_u32_e32 v52, vcc, s14, v52
	v_addc_co_u32_e32 v53, vcc, v29, v53, vcc
	global_load_dwordx4 v[16:19], v[46:47], off
	v_add_u32_e32 v22, -6, v20
	v_lshlrev_b64 v[48:49], 4, v[22:23]
	v_add_u32_e32 v22, 3, v25
	v_add_co_u32_e32 v48, vcc, s12, v48
	v_addc_co_u32_e32 v49, vcc, v28, v49, vcc
	s_waitcnt vmcnt(1)
	v_fma_f64 v[32:33], v[38:39], v[12:13], v[32:33]
	v_fma_f64 v[30:31], v[40:41], v[12:13], v[30:31]
	;; [unrolled: 1-line block ×4, first 2 shown]
	v_fma_f64 v[40:41], -v[40:41], v[14:15], v[32:33]
	v_fma_f64 v[38:39], v[38:39], v[14:15], v[30:31]
	global_load_dwordx4 v[30:33], v[46:47], off offset:16
	v_fma_f64 v[44:45], -v[44:45], v[14:15], v[36:37]
	v_fma_f64 v[42:43], v[42:43], v[14:15], v[12:13]
	global_load_dwordx4 v[12:15], v[52:53], off
	v_lshlrev_b64 v[46:47], 4, v[22:23]
	global_load_dwordx4 v[34:37], v[48:49], off
	v_add_co_u32_e32 v46, vcc, s14, v46
	v_addc_co_u32_e32 v47, vcc, v29, v47, vcc
	v_add_u32_e32 v22, -4, v20
	v_lshlrev_b64 v[52:53], 4, v[22:23]
	v_add_u32_e32 v22, 4, v25
	s_waitcnt vmcnt(1)
	v_fma_f64 v[40:41], v[16:17], v[12:13], v[40:41]
	v_fma_f64 v[38:39], v[18:19], v[12:13], v[38:39]
	;; [unrolled: 1-line block ×4, first 2 shown]
	v_fma_f64 v[40:41], -v[18:19], v[14:15], v[40:41]
	v_fma_f64 v[38:39], v[16:17], v[14:15], v[38:39]
	v_fma_f64 v[42:43], -v[32:33], v[14:15], v[44:45]
	v_fma_f64 v[44:45], v[30:31], v[14:15], v[12:13]
	global_load_dwordx4 v[12:15], v[46:47], off
	global_load_dwordx4 v[16:19], v[48:49], off offset:16
	v_lshlrev_b64 v[48:49], 4, v[22:23]
	v_add_co_u32_e32 v46, vcc, s12, v52
	v_addc_co_u32_e32 v47, vcc, v28, v53, vcc
	v_add_co_u32_e32 v48, vcc, s14, v48
	v_addc_co_u32_e32 v49, vcc, v29, v49, vcc
	global_load_dwordx4 v[30:33], v[46:47], off
	v_add_u32_e32 v22, -2, v20
	v_lshlrev_b64 v[52:53], 4, v[22:23]
	v_add_u32_e32 v22, 5, v25
	v_lshlrev_b64 v[21:22], 4, v[22:23]
	v_add_u32_e32 v20, 0x380, v20
	s_waitcnt vmcnt(2)
	v_fma_f64 v[38:39], v[36:37], v[12:13], v[38:39]
	v_fma_f64 v[40:41], v[34:35], v[12:13], v[40:41]
	;; [unrolled: 1-line block ×3, first 2 shown]
	s_waitcnt vmcnt(1)
	v_fma_f64 v[38:39], v[16:17], v[12:13], v[42:43]
	v_fma_f64 v[12:13], v[18:19], v[12:13], v[44:45]
	v_fma_f64 v[54:55], -v[36:37], v[14:15], v[40:41]
	global_load_dwordx4 v[34:37], v[46:47], off offset:16
	v_add_co_u32_e32 v46, vcc, s12, v52
	v_addc_co_u32_e32 v47, vcc, v28, v53, vcc
	v_fma_f64 v[42:43], -v[18:19], v[14:15], v[38:39]
	v_fma_f64 v[44:45], v[16:17], v[14:15], v[12:13]
	global_load_dwordx4 v[12:15], v[48:49], off
	global_load_dwordx4 v[16:19], v[46:47], off
	global_load_dwordx4 v[38:41], v[46:47], off offset:16
	v_add_co_u32_e32 v21, vcc, s14, v21
	v_addc_co_u32_e32 v22, vcc, v29, v22, vcc
	s_waitcnt vmcnt(2)
	v_fma_f64 v[46:47], v[30:31], v[12:13], v[54:55]
	v_fma_f64 v[48:49], v[32:33], v[12:13], v[56:57]
	v_fma_f64 v[46:47], -v[32:33], v[14:15], v[46:47]
	v_fma_f64 v[48:49], v[30:31], v[14:15], v[48:49]
	global_load_dwordx4 v[30:33], v[21:22], off
	v_fma_f64 v[21:22], v[34:35], v[12:13], v[42:43]
	v_fma_f64 v[12:13], v[36:37], v[12:13], v[44:45]
	v_fma_f64 v[52:53], -v[36:37], v[14:15], v[21:22]
	v_add_u32_e32 v22, 6, v25
	v_lshlrev_b64 v[21:22], 4, v[22:23]
	v_fma_f64 v[54:55], v[34:35], v[14:15], v[12:13]
	v_add_co_u32_e32 v21, vcc, s14, v21
	v_addc_co_u32_e32 v22, vcc, v29, v22, vcc
	global_load_dwordx4 v[12:15], v[50:51], off
	global_load_dwordx4 v[34:37], v[50:51], off offset:16
	global_load_dwordx4 v[42:45], v[21:22], off
	v_cmp_ge_i32_e32 vcc, v24, v27
	s_or_b64 s[8:9], vcc, s[8:9]
	s_waitcnt vmcnt(3)
	v_fma_f64 v[21:22], v[16:17], v[30:31], v[46:47]
	v_fma_f64 v[25:26], v[18:19], v[30:31], v[48:49]
	;; [unrolled: 1-line block ×4, first 2 shown]
	v_fma_f64 v[18:19], -v[18:19], v[32:33], v[21:22]
	v_fma_f64 v[16:17], v[16:17], v[32:33], v[25:26]
	v_fma_f64 v[21:22], -v[40:41], v[32:33], v[46:47]
	v_fma_f64 v[25:26], v[38:39], v[32:33], v[30:31]
	s_waitcnt vmcnt(0)
	v_fma_f64 v[18:19], v[12:13], v[42:43], v[18:19]
	v_fma_f64 v[16:17], v[14:15], v[42:43], v[16:17]
	v_fma_f64 v[21:22], v[34:35], v[42:43], v[21:22]
	v_fma_f64 v[25:26], v[36:37], v[42:43], v[25:26]
	v_fma_f64 v[18:19], -v[14:15], v[44:45], v[18:19]
	v_fma_f64 v[16:17], v[12:13], v[44:45], v[16:17]
	v_fma_f64 v[12:13], -v[36:37], v[44:45], v[21:22]
	v_fma_f64 v[14:15], v[34:35], v[44:45], v[25:26]
	s_andn2_b64 exec, exec, s[8:9]
	s_cbranch_execnz .LBB257_7
; %bb.8:
	s_or_b64 exec, exec, s[8:9]
.LBB257_9:
	s_or_b64 exec, exec, s[6:7]
	s_cbranch_execz .LBB257_11
	s_branch .LBB257_16
.LBB257_10:
                                        ; implicit-def: $vgpr16_vgpr17
                                        ; implicit-def: $vgpr18_vgpr19
                                        ; implicit-def: $vgpr12_vgpr13
                                        ; implicit-def: $vgpr14_vgpr15
.LBB257_11:
	v_mov_b32_e32 v16, 0
	v_mov_b32_e32 v18, 0
	;; [unrolled: 1-line block ×8, first 2 shown]
	s_and_saveexec_b64 s[6:7], s[0:1]
	s_cbranch_execz .LBB257_15
; %bb.12:
	v_mad_u64_u32 v[20:21], s[0:1], v10, 14, 13
	v_mov_b32_e32 v16, 0
	v_mov_b32_e32 v18, 0
	;; [unrolled: 1-line block ×5, first 2 shown]
	s_mov_b64 s[0:1], 0
	v_mov_b32_e32 v24, s11
	v_mov_b32_e32 v23, 0
	;; [unrolled: 1-line block ×7, first 2 shown]
.LBB257_13:                             ; =>This Inner Loop Header: Depth=1
	v_ashrrev_i32_e32 v11, 31, v10
	v_lshlrev_b64 v[30:31], 2, v[10:11]
	v_add_u32_e32 v22, -13, v20
	v_lshlrev_b64 v[32:33], 4, v[22:23]
	v_add_co_u32_e32 v36, vcc, s10, v30
	v_add_u32_e32 v28, -6, v20
	v_mov_b32_e32 v29, v23
	v_addc_co_u32_e32 v37, vcc, v24, v31, vcc
	v_lshlrev_b64 v[28:29], 4, v[28:29]
	v_add_co_u32_e32 v38, vcc, s12, v32
	v_addc_co_u32_e32 v39, vcc, v25, v33, vcc
	v_add_co_u32_e32 v42, vcc, s12, v28
	v_addc_co_u32_e32 v43, vcc, v25, v29, vcc
	global_load_dword v11, v[36:37], off
	global_load_dwordx4 v[28:31], v[38:39], off
	global_load_dwordx4 v[32:35], v[38:39], off offset:16
	v_mov_b32_e32 v21, v23
	v_lshlrev_b64 v[21:22], 4, v[20:21]
	v_mov_b32_e32 v41, v23
	v_add_co_u32_e32 v21, vcc, s12, v21
	v_addc_co_u32_e32 v22, vcc, v25, v22, vcc
	v_add_u32_e32 v10, 64, v10
	s_waitcnt vmcnt(2)
	v_subrev_u32_e32 v11, s2, v11
	v_mul_lo_u32 v40, v11, 7
	v_lshlrev_b64 v[36:37], 4, v[40:41]
	v_add_co_u32_e32 v36, vcc, s14, v36
	v_addc_co_u32_e32 v37, vcc, v26, v37, vcc
	global_load_dwordx4 v[36:39], v[36:37], off
	s_waitcnt vmcnt(0)
	v_fma_f64 v[18:19], v[28:29], v[36:37], v[18:19]
	v_fma_f64 v[16:17], v[30:31], v[36:37], v[16:17]
	v_fma_f64 v[44:45], -v[30:31], v[38:39], v[18:19]
	v_fma_f64 v[46:47], v[28:29], v[38:39], v[16:17]
	global_load_dwordx4 v[16:19], v[42:43], off
	global_load_dwordx4 v[28:31], v[21:22], off
	v_add_u32_e32 v22, 1, v40
	s_waitcnt vmcnt(1)
	v_fma_f64 v[11:12], v[16:17], v[36:37], v[12:13]
	v_fma_f64 v[13:14], v[18:19], v[36:37], v[14:15]
	v_fma_f64 v[36:37], -v[18:19], v[38:39], v[11:12]
	v_lshlrev_b64 v[11:12], 4, v[22:23]
	v_add_u32_e32 v22, -5, v20
	v_fma_f64 v[38:39], v[16:17], v[38:39], v[13:14]
	v_lshlrev_b64 v[13:14], 4, v[22:23]
	v_add_co_u32_e32 v11, vcc, s14, v11
	v_addc_co_u32_e32 v12, vcc, v26, v12, vcc
	v_add_co_u32_e32 v15, vcc, s12, v13
	v_addc_co_u32_e32 v16, vcc, v25, v14, vcc
	global_load_dwordx4 v[11:14], v[11:12], off
	v_add_u32_e32 v22, -11, v20
	v_lshlrev_b64 v[41:42], 4, v[22:23]
	v_add_u32_e32 v22, 2, v40
	s_waitcnt vmcnt(0)
	v_fma_f64 v[17:18], v[32:33], v[11:12], v[44:45]
	v_fma_f64 v[43:44], v[34:35], v[11:12], v[46:47]
	v_fma_f64 v[45:46], -v[34:35], v[13:14], v[17:18]
	global_load_dwordx4 v[15:18], v[15:16], off
	v_fma_f64 v[43:44], v[32:33], v[13:14], v[43:44]
	v_add_co_u32_e32 v32, vcc, s12, v41
	v_addc_co_u32_e32 v33, vcc, v25, v42, vcc
	global_load_dwordx4 v[32:35], v[32:33], off
	s_waitcnt vmcnt(1)
	v_fma_f64 v[36:37], v[15:16], v[11:12], v[36:37]
	v_fma_f64 v[11:12], v[17:18], v[11:12], v[38:39]
	v_fma_f64 v[36:37], -v[17:18], v[13:14], v[36:37]
	v_fma_f64 v[38:39], v[15:16], v[13:14], v[11:12]
	v_lshlrev_b64 v[11:12], 4, v[22:23]
	v_add_u32_e32 v22, -4, v20
	v_lshlrev_b64 v[13:14], 4, v[22:23]
	v_add_co_u32_e32 v11, vcc, s14, v11
	v_addc_co_u32_e32 v12, vcc, v26, v12, vcc
	v_add_co_u32_e32 v15, vcc, s12, v13
	v_addc_co_u32_e32 v16, vcc, v25, v14, vcc
	global_load_dwordx4 v[11:14], v[11:12], off
	v_add_u32_e32 v22, -10, v20
	v_lshlrev_b64 v[41:42], 4, v[22:23]
	v_add_u32_e32 v22, 3, v40
	s_waitcnt vmcnt(0)
	v_fma_f64 v[17:18], v[32:33], v[11:12], v[45:46]
	v_fma_f64 v[43:44], v[34:35], v[11:12], v[43:44]
	v_fma_f64 v[45:46], -v[34:35], v[13:14], v[17:18]
	global_load_dwordx4 v[15:18], v[15:16], off
	v_fma_f64 v[43:44], v[32:33], v[13:14], v[43:44]
	v_add_co_u32_e32 v32, vcc, s12, v41
	v_addc_co_u32_e32 v33, vcc, v25, v42, vcc
	global_load_dwordx4 v[32:35], v[32:33], off
	s_waitcnt vmcnt(1)
	v_fma_f64 v[36:37], v[15:16], v[11:12], v[36:37]
	v_fma_f64 v[11:12], v[17:18], v[11:12], v[38:39]
	v_fma_f64 v[36:37], -v[17:18], v[13:14], v[36:37]
	v_fma_f64 v[38:39], v[15:16], v[13:14], v[11:12]
	v_lshlrev_b64 v[11:12], 4, v[22:23]
	v_add_u32_e32 v22, -3, v20
	;; [unrolled: 25-line block ×4, first 2 shown]
	v_add_co_u32_e32 v11, vcc, s14, v11
	v_addc_co_u32_e32 v12, vcc, v26, v12, vcc
	global_load_dwordx4 v[11:14], v[11:12], off
	v_lshlrev_b64 v[15:16], 4, v[22:23]
	v_add_u32_e32 v22, -7, v20
	v_add_co_u32_e32 v15, vcc, s12, v15
	v_addc_co_u32_e32 v16, vcc, v25, v16, vcc
	v_lshlrev_b64 v[41:42], 4, v[22:23]
	v_add_u32_e32 v22, 6, v40
	v_lshlrev_b64 v[21:22], 4, v[22:23]
	v_add_u32_e32 v20, 0x380, v20
	s_waitcnt vmcnt(0)
	v_fma_f64 v[17:18], v[32:33], v[11:12], v[45:46]
	v_fma_f64 v[43:44], v[34:35], v[11:12], v[43:44]
	v_fma_f64 v[45:46], -v[34:35], v[13:14], v[17:18]
	global_load_dwordx4 v[15:18], v[15:16], off
	v_fma_f64 v[43:44], v[32:33], v[13:14], v[43:44]
	v_add_co_u32_e32 v32, vcc, s12, v41
	v_addc_co_u32_e32 v33, vcc, v25, v42, vcc
	global_load_dwordx4 v[32:35], v[32:33], off
	v_add_co_u32_e32 v21, vcc, s14, v21
	v_addc_co_u32_e32 v22, vcc, v26, v22, vcc
	v_cmp_ge_i32_e32 vcc, v10, v27
	s_or_b64 s[0:1], vcc, s[0:1]
	s_waitcnt vmcnt(1)
	v_fma_f64 v[36:37], v[15:16], v[11:12], v[36:37]
	v_fma_f64 v[11:12], v[17:18], v[11:12], v[38:39]
	v_fma_f64 v[17:18], -v[17:18], v[13:14], v[36:37]
	v_fma_f64 v[36:37], v[15:16], v[13:14], v[11:12]
	global_load_dwordx4 v[12:15], v[21:22], off
	s_waitcnt vmcnt(0)
	v_fma_f64 v[21:22], v[32:33], v[12:13], v[45:46]
	v_fma_f64 v[38:39], v[34:35], v[12:13], v[43:44]
	;; [unrolled: 1-line block ×4, first 2 shown]
	v_fma_f64 v[18:19], -v[34:35], v[14:15], v[21:22]
	v_fma_f64 v[16:17], v[32:33], v[14:15], v[38:39]
	v_fma_f64 v[12:13], -v[30:31], v[14:15], v[40:41]
	v_fma_f64 v[14:15], v[28:29], v[14:15], v[36:37]
	s_andn2_b64 exec, exec, s[0:1]
	s_cbranch_execnz .LBB257_13
; %bb.14:
	s_or_b64 exec, exec, s[0:1]
.LBB257_15:
	s_or_b64 exec, exec, s[6:7]
.LBB257_16:
	v_mov_b32_dpp v10, v18 row_shr:1 row_mask:0xf bank_mask:0xf
	v_mov_b32_dpp v11, v19 row_shr:1 row_mask:0xf bank_mask:0xf
	v_add_f64 v[10:11], v[18:19], v[10:11]
	v_mov_b32_dpp v18, v16 row_shr:1 row_mask:0xf bank_mask:0xf
	v_mov_b32_dpp v19, v17 row_shr:1 row_mask:0xf bank_mask:0xf
	v_add_f64 v[16:17], v[16:17], v[18:19]
	;; [unrolled: 3-line block ×3, first 2 shown]
	v_cmp_eq_u32_e32 vcc, 63, v0
	v_mov_b32_dpp v18, v10 row_shr:2 row_mask:0xf bank_mask:0xf
	v_mov_b32_dpp v19, v11 row_shr:2 row_mask:0xf bank_mask:0xf
	v_add_f64 v[10:11], v[10:11], v[18:19]
	v_mov_b32_dpp v18, v12 row_shr:1 row_mask:0xf bank_mask:0xf
	v_mov_b32_dpp v19, v13 row_shr:1 row_mask:0xf bank_mask:0xf
	v_add_f64 v[12:13], v[12:13], v[18:19]
	v_mov_b32_dpp v18, v16 row_shr:2 row_mask:0xf bank_mask:0xf
	v_mov_b32_dpp v19, v10 row_shr:4 row_mask:0xf bank_mask:0xe
	v_mov_b32_dpp v20, v11 row_shr:4 row_mask:0xf bank_mask:0xe
	v_add_f64 v[10:11], v[10:11], v[19:20]
	v_mov_b32_dpp v19, v17 row_shr:2 row_mask:0xf bank_mask:0xf
	v_mov_b32_dpp v20, v12 row_shr:2 row_mask:0xf bank_mask:0xf
	v_mov_b32_dpp v21, v13 row_shr:2 row_mask:0xf bank_mask:0xf
	v_add_f64 v[16:17], v[16:17], v[18:19]
	v_mov_b32_dpp v18, v14 row_shr:2 row_mask:0xf bank_mask:0xf
	v_add_f64 v[12:13], v[12:13], v[20:21]
	v_mov_b32_dpp v19, v15 row_shr:2 row_mask:0xf bank_mask:0xf
	v_add_f64 v[14:15], v[14:15], v[18:19]
	v_mov_b32_dpp v20, v10 row_shr:8 row_mask:0xf bank_mask:0xc
	v_mov_b32_dpp v21, v11 row_shr:8 row_mask:0xf bank_mask:0xc
	v_add_f64 v[10:11], v[10:11], v[20:21]
	v_mov_b32_dpp v18, v16 row_shr:4 row_mask:0xf bank_mask:0xe
	v_mov_b32_dpp v19, v17 row_shr:4 row_mask:0xf bank_mask:0xe
	;; [unrolled: 1-line block ×3, first 2 shown]
	v_add_f64 v[16:17], v[16:17], v[18:19]
	v_mov_b32_dpp v21, v13 row_shr:4 row_mask:0xf bank_mask:0xe
	v_add_f64 v[12:13], v[12:13], v[20:21]
	v_mov_b32_dpp v19, v14 row_shr:4 row_mask:0xf bank_mask:0xe
	v_mov_b32_dpp v20, v15 row_shr:4 row_mask:0xf bank_mask:0xe
	v_add_f64 v[14:15], v[14:15], v[19:20]
	v_mov_b32_dpp v18, v10 row_bcast:15 row_mask:0xa bank_mask:0xf
	v_mov_b32_dpp v19, v11 row_bcast:15 row_mask:0xa bank_mask:0xf
	v_mov_b32_dpp v20, v16 row_shr:8 row_mask:0xf bank_mask:0xc
	v_mov_b32_dpp v21, v17 row_shr:8 row_mask:0xf bank_mask:0xc
	v_add_f64 v[16:17], v[16:17], v[20:21]
	v_mov_b32_dpp v20, v12 row_shr:8 row_mask:0xf bank_mask:0xc
	v_mov_b32_dpp v21, v13 row_shr:8 row_mask:0xf bank_mask:0xc
	v_add_f64 v[20:21], v[12:13], v[20:21]
	;; [unrolled: 3-line block ×3, first 2 shown]
	v_add_f64 v[10:11], v[10:11], v[18:19]
	v_mov_b32_dpp v12, v16 row_bcast:15 row_mask:0xa bank_mask:0xf
	v_mov_b32_dpp v13, v17 row_bcast:15 row_mask:0xa bank_mask:0xf
	v_add_f64 v[12:13], v[16:17], v[12:13]
	v_mov_b32_dpp v16, v20 row_bcast:15 row_mask:0xa bank_mask:0xf
	v_mov_b32_dpp v17, v21 row_bcast:15 row_mask:0xa bank_mask:0xf
	;; [unrolled: 3-line block ×4, first 2 shown]
	v_mov_b32_dpp v16, v12 row_bcast:31 row_mask:0xc bank_mask:0xf
	v_mov_b32_dpp v17, v13 row_bcast:31 row_mask:0xc bank_mask:0xf
	;; [unrolled: 1-line block ×6, first 2 shown]
	s_and_b64 exec, exec, vcc
	s_cbranch_execz .LBB257_21
; %bb.17:
	v_cmp_eq_f64_e32 vcc, 0, v[5:6]
	v_cmp_eq_f64_e64 s[0:1], 0, v[7:8]
	v_add_f64 v[10:11], v[10:11], v[24:25]
	v_add_f64 v[16:17], v[12:13], v[16:17]
	;; [unrolled: 1-line block ×4, first 2 shown]
	s_load_dwordx2 s[2:3], s[4:5], 0x48
	s_and_b64 s[0:1], vcc, s[0:1]
	s_and_saveexec_b64 s[4:5], s[0:1]
	s_xor_b64 s[0:1], exec, s[4:5]
	s_cbranch_execz .LBB257_19
; %bb.18:
	v_mul_f64 v[5:6], v[16:17], -v[3:4]
	v_mul_f64 v[7:8], v[1:2], v[16:17]
	v_mul_f64 v[16:17], v[14:15], -v[3:4]
	v_mul_f64 v[14:15], v[1:2], v[14:15]
	v_lshlrev_b32_e32 v9, 1, v9
	s_waitcnt lgkmcnt(0)
	v_mov_b32_e32 v18, s3
	v_fma_f64 v[5:6], v[1:2], v[10:11], v[5:6]
	v_fma_f64 v[7:8], v[3:4], v[10:11], v[7:8]
	;; [unrolled: 1-line block ×4, first 2 shown]
	v_ashrrev_i32_e32 v10, 31, v9
	v_lshlrev_b64 v[9:10], 4, v[9:10]
                                        ; implicit-def: $vgpr16_vgpr17
                                        ; implicit-def: $vgpr12_vgpr13
                                        ; implicit-def: $vgpr14_vgpr15
	v_add_co_u32_e32 v9, vcc, s2, v9
	v_addc_co_u32_e32 v10, vcc, v18, v10, vcc
	global_store_dwordx4 v[9:10], v[5:8], off
	global_store_dwordx4 v[9:10], v[0:3], off offset:16
                                        ; implicit-def: $vgpr9
                                        ; implicit-def: $vgpr10_vgpr11
                                        ; implicit-def: $vgpr7_vgpr8
                                        ; implicit-def: $vgpr3_vgpr4
.LBB257_19:
	s_andn2_saveexec_b64 s[0:1], s[0:1]
	s_cbranch_execz .LBB257_21
; %bb.20:
	v_lshlrev_b32_e32 v18, 1, v9
	v_ashrrev_i32_e32 v19, 31, v18
	v_lshlrev_b64 v[18:19], 4, v[18:19]
	s_waitcnt lgkmcnt(0)
	v_mov_b32_e32 v0, s3
	v_add_co_u32_e32 v26, vcc, s2, v18
	v_addc_co_u32_e32 v27, vcc, v0, v19, vcc
	global_load_dwordx4 v[18:21], v[26:27], off
	global_load_dwordx4 v[22:25], v[26:27], off offset:16
	v_mul_f64 v[28:29], v[16:17], -v[3:4]
	v_mul_f64 v[16:17], v[1:2], v[16:17]
	v_mul_f64 v[30:31], v[14:15], -v[3:4]
	v_mul_f64 v[14:15], v[1:2], v[14:15]
	v_fma_f64 v[28:29], v[1:2], v[10:11], v[28:29]
	v_fma_f64 v[9:10], v[3:4], v[10:11], v[16:17]
	;; [unrolled: 1-line block ×4, first 2 shown]
	s_waitcnt vmcnt(1)
	v_fma_f64 v[11:12], v[5:6], v[18:19], v[28:29]
	v_fma_f64 v[9:10], v[7:8], v[18:19], v[9:10]
	s_waitcnt vmcnt(0)
	v_fma_f64 v[13:14], v[5:6], v[22:23], v[0:1]
	v_fma_f64 v[15:16], v[7:8], v[22:23], v[2:3]
	v_fma_f64 v[0:1], -v[7:8], v[20:21], v[11:12]
	v_fma_f64 v[2:3], v[5:6], v[20:21], v[9:10]
	v_fma_f64 v[7:8], -v[7:8], v[24:25], v[13:14]
	v_fma_f64 v[9:10], v[5:6], v[24:25], v[15:16]
	global_store_dwordx4 v[26:27], v[0:3], off
	global_store_dwordx4 v[26:27], v[7:10], off offset:16
.LBB257_21:
	s_endpgm
	.section	.rodata,"a",@progbits
	.p2align	6, 0x0
	.amdhsa_kernel _ZN9rocsparseL19gebsrmvn_2xn_kernelILj128ELj7ELj64E21rocsparse_complex_numIdEEEvi20rocsparse_direction_NS_24const_host_device_scalarIT2_EEPKiS8_PKS5_SA_S6_PS5_21rocsparse_index_base_b
		.amdhsa_group_segment_fixed_size 0
		.amdhsa_private_segment_fixed_size 0
		.amdhsa_kernarg_size 88
		.amdhsa_user_sgpr_count 6
		.amdhsa_user_sgpr_private_segment_buffer 1
		.amdhsa_user_sgpr_dispatch_ptr 0
		.amdhsa_user_sgpr_queue_ptr 0
		.amdhsa_user_sgpr_kernarg_segment_ptr 1
		.amdhsa_user_sgpr_dispatch_id 0
		.amdhsa_user_sgpr_flat_scratch_init 0
		.amdhsa_user_sgpr_private_segment_size 0
		.amdhsa_uses_dynamic_stack 0
		.amdhsa_system_sgpr_private_segment_wavefront_offset 0
		.amdhsa_system_sgpr_workgroup_id_x 1
		.amdhsa_system_sgpr_workgroup_id_y 0
		.amdhsa_system_sgpr_workgroup_id_z 0
		.amdhsa_system_sgpr_workgroup_info 0
		.amdhsa_system_vgpr_workitem_id 0
		.amdhsa_next_free_vgpr 58
		.amdhsa_next_free_sgpr 16
		.amdhsa_reserve_vcc 1
		.amdhsa_reserve_flat_scratch 0
		.amdhsa_float_round_mode_32 0
		.amdhsa_float_round_mode_16_64 0
		.amdhsa_float_denorm_mode_32 3
		.amdhsa_float_denorm_mode_16_64 3
		.amdhsa_dx10_clamp 1
		.amdhsa_ieee_mode 1
		.amdhsa_fp16_overflow 0
		.amdhsa_exception_fp_ieee_invalid_op 0
		.amdhsa_exception_fp_denorm_src 0
		.amdhsa_exception_fp_ieee_div_zero 0
		.amdhsa_exception_fp_ieee_overflow 0
		.amdhsa_exception_fp_ieee_underflow 0
		.amdhsa_exception_fp_ieee_inexact 0
		.amdhsa_exception_int_div_zero 0
	.end_amdhsa_kernel
	.section	.text._ZN9rocsparseL19gebsrmvn_2xn_kernelILj128ELj7ELj64E21rocsparse_complex_numIdEEEvi20rocsparse_direction_NS_24const_host_device_scalarIT2_EEPKiS8_PKS5_SA_S6_PS5_21rocsparse_index_base_b,"axG",@progbits,_ZN9rocsparseL19gebsrmvn_2xn_kernelILj128ELj7ELj64E21rocsparse_complex_numIdEEEvi20rocsparse_direction_NS_24const_host_device_scalarIT2_EEPKiS8_PKS5_SA_S6_PS5_21rocsparse_index_base_b,comdat
.Lfunc_end257:
	.size	_ZN9rocsparseL19gebsrmvn_2xn_kernelILj128ELj7ELj64E21rocsparse_complex_numIdEEEvi20rocsparse_direction_NS_24const_host_device_scalarIT2_EEPKiS8_PKS5_SA_S6_PS5_21rocsparse_index_base_b, .Lfunc_end257-_ZN9rocsparseL19gebsrmvn_2xn_kernelILj128ELj7ELj64E21rocsparse_complex_numIdEEEvi20rocsparse_direction_NS_24const_host_device_scalarIT2_EEPKiS8_PKS5_SA_S6_PS5_21rocsparse_index_base_b
                                        ; -- End function
	.set _ZN9rocsparseL19gebsrmvn_2xn_kernelILj128ELj7ELj64E21rocsparse_complex_numIdEEEvi20rocsparse_direction_NS_24const_host_device_scalarIT2_EEPKiS8_PKS5_SA_S6_PS5_21rocsparse_index_base_b.num_vgpr, 58
	.set _ZN9rocsparseL19gebsrmvn_2xn_kernelILj128ELj7ELj64E21rocsparse_complex_numIdEEEvi20rocsparse_direction_NS_24const_host_device_scalarIT2_EEPKiS8_PKS5_SA_S6_PS5_21rocsparse_index_base_b.num_agpr, 0
	.set _ZN9rocsparseL19gebsrmvn_2xn_kernelILj128ELj7ELj64E21rocsparse_complex_numIdEEEvi20rocsparse_direction_NS_24const_host_device_scalarIT2_EEPKiS8_PKS5_SA_S6_PS5_21rocsparse_index_base_b.numbered_sgpr, 16
	.set _ZN9rocsparseL19gebsrmvn_2xn_kernelILj128ELj7ELj64E21rocsparse_complex_numIdEEEvi20rocsparse_direction_NS_24const_host_device_scalarIT2_EEPKiS8_PKS5_SA_S6_PS5_21rocsparse_index_base_b.num_named_barrier, 0
	.set _ZN9rocsparseL19gebsrmvn_2xn_kernelILj128ELj7ELj64E21rocsparse_complex_numIdEEEvi20rocsparse_direction_NS_24const_host_device_scalarIT2_EEPKiS8_PKS5_SA_S6_PS5_21rocsparse_index_base_b.private_seg_size, 0
	.set _ZN9rocsparseL19gebsrmvn_2xn_kernelILj128ELj7ELj64E21rocsparse_complex_numIdEEEvi20rocsparse_direction_NS_24const_host_device_scalarIT2_EEPKiS8_PKS5_SA_S6_PS5_21rocsparse_index_base_b.uses_vcc, 1
	.set _ZN9rocsparseL19gebsrmvn_2xn_kernelILj128ELj7ELj64E21rocsparse_complex_numIdEEEvi20rocsparse_direction_NS_24const_host_device_scalarIT2_EEPKiS8_PKS5_SA_S6_PS5_21rocsparse_index_base_b.uses_flat_scratch, 0
	.set _ZN9rocsparseL19gebsrmvn_2xn_kernelILj128ELj7ELj64E21rocsparse_complex_numIdEEEvi20rocsparse_direction_NS_24const_host_device_scalarIT2_EEPKiS8_PKS5_SA_S6_PS5_21rocsparse_index_base_b.has_dyn_sized_stack, 0
	.set _ZN9rocsparseL19gebsrmvn_2xn_kernelILj128ELj7ELj64E21rocsparse_complex_numIdEEEvi20rocsparse_direction_NS_24const_host_device_scalarIT2_EEPKiS8_PKS5_SA_S6_PS5_21rocsparse_index_base_b.has_recursion, 0
	.set _ZN9rocsparseL19gebsrmvn_2xn_kernelILj128ELj7ELj64E21rocsparse_complex_numIdEEEvi20rocsparse_direction_NS_24const_host_device_scalarIT2_EEPKiS8_PKS5_SA_S6_PS5_21rocsparse_index_base_b.has_indirect_call, 0
	.section	.AMDGPU.csdata,"",@progbits
; Kernel info:
; codeLenInByte = 3596
; TotalNumSgprs: 20
; NumVgprs: 58
; ScratchSize: 0
; MemoryBound: 0
; FloatMode: 240
; IeeeMode: 1
; LDSByteSize: 0 bytes/workgroup (compile time only)
; SGPRBlocks: 2
; VGPRBlocks: 14
; NumSGPRsForWavesPerEU: 20
; NumVGPRsForWavesPerEU: 58
; Occupancy: 4
; WaveLimiterHint : 1
; COMPUTE_PGM_RSRC2:SCRATCH_EN: 0
; COMPUTE_PGM_RSRC2:USER_SGPR: 6
; COMPUTE_PGM_RSRC2:TRAP_HANDLER: 0
; COMPUTE_PGM_RSRC2:TGID_X_EN: 1
; COMPUTE_PGM_RSRC2:TGID_Y_EN: 0
; COMPUTE_PGM_RSRC2:TGID_Z_EN: 0
; COMPUTE_PGM_RSRC2:TIDIG_COMP_CNT: 0
	.section	.text._ZN9rocsparseL19gebsrmvn_2xn_kernelILj128ELj8ELj4E21rocsparse_complex_numIdEEEvi20rocsparse_direction_NS_24const_host_device_scalarIT2_EEPKiS8_PKS5_SA_S6_PS5_21rocsparse_index_base_b,"axG",@progbits,_ZN9rocsparseL19gebsrmvn_2xn_kernelILj128ELj8ELj4E21rocsparse_complex_numIdEEEvi20rocsparse_direction_NS_24const_host_device_scalarIT2_EEPKiS8_PKS5_SA_S6_PS5_21rocsparse_index_base_b,comdat
	.globl	_ZN9rocsparseL19gebsrmvn_2xn_kernelILj128ELj8ELj4E21rocsparse_complex_numIdEEEvi20rocsparse_direction_NS_24const_host_device_scalarIT2_EEPKiS8_PKS5_SA_S6_PS5_21rocsparse_index_base_b ; -- Begin function _ZN9rocsparseL19gebsrmvn_2xn_kernelILj128ELj8ELj4E21rocsparse_complex_numIdEEEvi20rocsparse_direction_NS_24const_host_device_scalarIT2_EEPKiS8_PKS5_SA_S6_PS5_21rocsparse_index_base_b
	.p2align	8
	.type	_ZN9rocsparseL19gebsrmvn_2xn_kernelILj128ELj8ELj4E21rocsparse_complex_numIdEEEvi20rocsparse_direction_NS_24const_host_device_scalarIT2_EEPKiS8_PKS5_SA_S6_PS5_21rocsparse_index_base_b,@function
_ZN9rocsparseL19gebsrmvn_2xn_kernelILj128ELj8ELj4E21rocsparse_complex_numIdEEEvi20rocsparse_direction_NS_24const_host_device_scalarIT2_EEPKiS8_PKS5_SA_S6_PS5_21rocsparse_index_base_b: ; @_ZN9rocsparseL19gebsrmvn_2xn_kernelILj128ELj8ELj4E21rocsparse_complex_numIdEEEvi20rocsparse_direction_NS_24const_host_device_scalarIT2_EEPKiS8_PKS5_SA_S6_PS5_21rocsparse_index_base_b
; %bb.0:
	s_load_dwordx2 s[0:1], s[4:5], 0x8
	s_load_dwordx2 s[8:9], s[4:5], 0x38
	;; [unrolled: 1-line block ×3, first 2 shown]
	s_add_u32 s7, s4, 8
	s_addc_u32 s10, s5, 0
	s_add_u32 s11, s4, 56
	s_addc_u32 s12, s5, 0
	s_waitcnt lgkmcnt(0)
	s_bitcmp1_b32 s3, 0
	s_cselect_b32 s1, s10, s1
	s_cselect_b32 s0, s7, s0
	v_mov_b32_e32 v1, s0
	v_mov_b32_e32 v2, s1
	flat_load_dwordx4 v[1:4], v[1:2]
	s_cselect_b32 s0, s12, s9
	s_cselect_b32 s1, s11, s8
	v_mov_b32_e32 v5, s1
	v_mov_b32_e32 v6, s0
	flat_load_dwordx4 v[5:8], v[5:6]
	s_waitcnt vmcnt(0) lgkmcnt(0)
	v_cmp_eq_f64_e32 vcc, 0, v[1:2]
	v_cmp_eq_f64_e64 s[0:1], 0, v[3:4]
	s_and_b64 s[10:11], vcc, s[0:1]
	s_mov_b64 s[0:1], -1
	s_and_saveexec_b64 s[8:9], s[10:11]
	s_cbranch_execz .LBB258_2
; %bb.1:
	v_cmp_neq_f64_e32 vcc, 1.0, v[5:6]
	v_cmp_neq_f64_e64 s[0:1], 0, v[7:8]
	s_or_b64 s[0:1], vcc, s[0:1]
	s_orn2_b64 s[0:1], s[0:1], exec
.LBB258_2:
	s_or_b64 exec, exec, s[8:9]
	s_and_saveexec_b64 s[8:9], s[0:1]
	s_cbranch_execz .LBB258_21
; %bb.3:
	s_load_dwordx2 s[0:1], s[4:5], 0x0
	v_lshrrev_b32_e32 v9, 2, v0
	v_lshl_or_b32 v9, s6, 5, v9
	s_waitcnt lgkmcnt(0)
	v_cmp_gt_i32_e32 vcc, s0, v9
	s_and_b64 exec, exec, vcc
	s_cbranch_execz .LBB258_21
; %bb.4:
	s_load_dwordx8 s[8:15], s[4:5], 0x18
	v_ashrrev_i32_e32 v10, 31, v9
	v_lshlrev_b64 v[10:11], 2, v[9:10]
	v_and_b32_e32 v0, 3, v0
	s_cmp_lg_u32 s1, 0
	s_waitcnt lgkmcnt(0)
	v_mov_b32_e32 v12, s9
	v_add_co_u32_e32 v10, vcc, s8, v10
	v_addc_co_u32_e32 v11, vcc, v12, v11, vcc
	global_load_dwordx2 v[10:11], v[10:11], off
	s_waitcnt vmcnt(0)
	v_subrev_u32_e32 v10, s2, v10
	v_subrev_u32_e32 v23, s2, v11
	v_add_u32_e32 v10, v10, v0
	v_cmp_lt_i32_e64 s[0:1], v10, v23
	s_cbranch_scc0 .LBB258_10
; %bb.5:
	v_mov_b32_e32 v19, 0
	v_mov_b32_e32 v21, 0
	;; [unrolled: 1-line block ×8, first 2 shown]
	s_and_saveexec_b64 s[6:7], s[0:1]
	s_cbranch_execz .LBB258_9
; %bb.6:
	v_mov_b32_e32 v19, 0
	v_mov_b32_e32 v21, 0
	;; [unrolled: 1-line block ×4, first 2 shown]
	v_lshlrev_b32_e32 v11, 4, v10
	v_mov_b32_e32 v20, 0
	s_mov_b64 s[8:9], 0
	v_mov_b32_e32 v24, s11
	v_mov_b32_e32 v12, 0
	;; [unrolled: 1-line block ×8, first 2 shown]
.LBB258_7:                              ; =>This Inner Loop Header: Depth=1
	v_lshlrev_b64 v[27:28], 4, v[11:12]
	v_ashrrev_i32_e32 v14, 31, v13
	v_lshlrev_b64 v[29:30], 2, v[13:14]
	v_add_co_u32_e32 v35, vcc, s12, v27
	v_addc_co_u32_e32 v36, vcc, v25, v28, vcc
	v_add_co_u32_e32 v33, vcc, s10, v29
	v_addc_co_u32_e32 v34, vcc, v24, v30, vcc
	global_load_dwordx4 v[27:30], v[35:36], off
	global_load_dword v14, v[33:34], off
	v_mov_b32_e32 v32, v12
	v_add_u32_e32 v13, 4, v13
	v_add_u32_e32 v11, 64, v11
	s_waitcnt vmcnt(0)
	v_subrev_u32_e32 v14, s2, v14
	v_lshlrev_b32_e32 v31, 3, v14
	v_lshlrev_b64 v[31:32], 4, v[31:32]
	v_add_co_u32_e32 v37, vcc, s14, v31
	v_addc_co_u32_e32 v38, vcc, v26, v32, vcc
	global_load_dwordx4 v[31:34], v[37:38], off
	v_cmp_ge_i32_e32 vcc, v13, v23
	s_or_b64 s[8:9], vcc, s[8:9]
	s_waitcnt vmcnt(0)
	v_fma_f64 v[21:22], v[27:28], v[31:32], v[21:22]
	v_fma_f64 v[19:20], v[29:30], v[31:32], v[19:20]
	v_fma_f64 v[29:30], -v[29:30], v[33:34], v[21:22]
	v_fma_f64 v[27:28], v[27:28], v[33:34], v[19:20]
	global_load_dwordx4 v[19:22], v[35:36], off offset:16
	s_waitcnt vmcnt(0)
	v_fma_f64 v[17:18], v[19:20], v[31:32], v[17:18]
	v_fma_f64 v[14:15], v[21:22], v[31:32], v[15:16]
	v_fma_f64 v[31:32], -v[21:22], v[33:34], v[17:18]
	v_fma_f64 v[33:34], v[19:20], v[33:34], v[14:15]
	global_load_dwordx4 v[14:17], v[35:36], off offset:32
	global_load_dwordx4 v[18:21], v[37:38], off offset:16
	s_waitcnt vmcnt(0)
	v_fma_f64 v[29:30], v[14:15], v[18:19], v[29:30]
	v_fma_f64 v[27:28], v[16:17], v[18:19], v[27:28]
	v_fma_f64 v[29:30], -v[16:17], v[20:21], v[29:30]
	v_fma_f64 v[27:28], v[14:15], v[20:21], v[27:28]
	global_load_dwordx4 v[14:17], v[35:36], off offset:48
	s_waitcnt vmcnt(0)
	v_fma_f64 v[31:32], v[14:15], v[18:19], v[31:32]
	v_fma_f64 v[18:19], v[16:17], v[18:19], v[33:34]
	v_fma_f64 v[31:32], -v[16:17], v[20:21], v[31:32]
	v_fma_f64 v[33:34], v[14:15], v[20:21], v[18:19]
	global_load_dwordx4 v[14:17], v[35:36], off offset:64
	global_load_dwordx4 v[18:21], v[37:38], off offset:32
	;; [unrolled: 13-line block ×7, first 2 shown]
	global_load_dwordx4 v[31:34], v[37:38], off offset:112
	s_waitcnt vmcnt(0)
	v_fma_f64 v[20:21], v[14:15], v[31:32], v[39:40]
	v_fma_f64 v[35:36], v[16:17], v[31:32], v[41:42]
	;; [unrolled: 1-line block ×4, first 2 shown]
	v_fma_f64 v[21:22], -v[16:17], v[33:34], v[20:21]
	v_fma_f64 v[19:20], v[14:15], v[33:34], v[35:36]
	v_fma_f64 v[17:18], -v[29:30], v[33:34], v[37:38]
	v_fma_f64 v[15:16], v[27:28], v[33:34], v[31:32]
	s_andn2_b64 exec, exec, s[8:9]
	s_cbranch_execnz .LBB258_7
; %bb.8:
	s_or_b64 exec, exec, s[8:9]
.LBB258_9:
	s_or_b64 exec, exec, s[6:7]
	s_cbranch_execz .LBB258_11
	s_branch .LBB258_16
.LBB258_10:
                                        ; implicit-def: $vgpr19_vgpr20
                                        ; implicit-def: $vgpr21_vgpr22
                                        ; implicit-def: $vgpr17_vgpr18
                                        ; implicit-def: $vgpr15_vgpr16
.LBB258_11:
	v_mov_b32_e32 v19, 0
	v_mov_b32_e32 v21, 0
	;; [unrolled: 1-line block ×8, first 2 shown]
	s_and_saveexec_b64 s[6:7], s[0:1]
	s_cbranch_execz .LBB258_15
; %bb.12:
	v_mov_b32_e32 v19, 0
	v_mov_b32_e32 v21, 0
	;; [unrolled: 1-line block ×4, first 2 shown]
	v_lshlrev_b32_e32 v12, 4, v10
	v_mov_b32_e32 v20, 0
	s_mov_b64 s[0:1], 0
	v_mov_b32_e32 v14, s11
	v_mov_b32_e32 v13, 0
	;; [unrolled: 1-line block ×7, first 2 shown]
.LBB258_13:                             ; =>This Inner Loop Header: Depth=1
	v_lshlrev_b64 v[26:27], 4, v[12:13]
	v_ashrrev_i32_e32 v11, 31, v10
	v_lshlrev_b64 v[28:29], 2, v[10:11]
	v_add_co_u32_e32 v42, vcc, s12, v26
	v_addc_co_u32_e32 v43, vcc, v24, v27, vcc
	v_add_co_u32_e32 v36, vcc, s10, v28
	v_addc_co_u32_e32 v37, vcc, v14, v29, vcc
	global_load_dwordx4 v[26:29], v[42:43], off
	global_load_dwordx4 v[30:33], v[42:43], off offset:16
	global_load_dword v11, v[36:37], off
	v_mov_b32_e32 v35, v13
	v_add_u32_e32 v10, 4, v10
	v_add_u32_e32 v12, 64, v12
	s_waitcnt vmcnt(0)
	v_subrev_u32_e32 v11, s2, v11
	v_lshlrev_b32_e32 v34, 3, v11
	v_lshlrev_b64 v[34:35], 4, v[34:35]
	v_add_co_u32_e32 v44, vcc, s14, v34
	v_addc_co_u32_e32 v45, vcc, v25, v35, vcc
	global_load_dwordx4 v[34:37], v[44:45], off
	global_load_dwordx4 v[38:41], v[44:45], off offset:16
	v_cmp_ge_i32_e32 vcc, v10, v23
	s_or_b64 s[0:1], vcc, s[0:1]
	s_waitcnt vmcnt(1)
	v_fma_f64 v[21:22], v[26:27], v[34:35], v[21:22]
	v_fma_f64 v[19:20], v[28:29], v[34:35], v[19:20]
	v_fma_f64 v[46:47], -v[28:29], v[36:37], v[21:22]
	v_fma_f64 v[48:49], v[26:27], v[36:37], v[19:20]
	global_load_dwordx4 v[19:22], v[42:43], off offset:128
	global_load_dwordx4 v[26:29], v[42:43], off offset:144
	s_waitcnt vmcnt(1)
	v_fma_f64 v[17:18], v[19:20], v[34:35], v[17:18]
	v_fma_f64 v[15:16], v[21:22], v[34:35], v[15:16]
	v_fma_f64 v[34:35], -v[21:22], v[36:37], v[17:18]
	v_fma_f64 v[36:37], v[19:20], v[36:37], v[15:16]
	v_fma_f64 v[19:20], v[30:31], v[38:39], v[46:47]
	;; [unrolled: 1-line block ×3, first 2 shown]
	global_load_dwordx4 v[15:18], v[42:43], off offset:32
	v_fma_f64 v[46:47], -v[32:33], v[40:41], v[19:20]
	v_fma_f64 v[48:49], v[30:31], v[40:41], v[21:22]
	s_waitcnt vmcnt(1)
	v_fma_f64 v[30:31], v[26:27], v[38:39], v[34:35]
	v_fma_f64 v[32:33], v[28:29], v[38:39], v[36:37]
	global_load_dwordx4 v[19:22], v[42:43], off offset:48
	v_fma_f64 v[38:39], -v[28:29], v[40:41], v[30:31]
	v_fma_f64 v[40:41], v[26:27], v[40:41], v[32:33]
	global_load_dwordx4 v[26:29], v[44:45], off offset:32
	global_load_dwordx4 v[30:33], v[44:45], off offset:48
	s_waitcnt vmcnt(1)
	v_fma_f64 v[34:35], v[15:16], v[26:27], v[46:47]
	v_fma_f64 v[36:37], v[17:18], v[26:27], v[48:49]
	v_fma_f64 v[46:47], -v[17:18], v[28:29], v[34:35]
	v_fma_f64 v[48:49], v[15:16], v[28:29], v[36:37]
	global_load_dwordx4 v[15:18], v[42:43], off offset:160
	global_load_dwordx4 v[34:37], v[42:43], off offset:176
	s_waitcnt vmcnt(1)
	v_fma_f64 v[38:39], v[15:16], v[26:27], v[38:39]
	v_fma_f64 v[26:27], v[17:18], v[26:27], v[40:41]
	;; [unrolled: 1-line block ×3, first 2 shown]
	v_fma_f64 v[38:39], -v[17:18], v[28:29], v[38:39]
	v_fma_f64 v[26:27], v[15:16], v[28:29], v[26:27]
	v_fma_f64 v[28:29], v[19:20], v[30:31], v[46:47]
	global_load_dwordx4 v[15:18], v[42:43], off offset:64
	v_fma_f64 v[40:41], v[19:20], v[32:33], v[40:41]
	s_waitcnt vmcnt(1)
	v_fma_f64 v[26:27], v[36:37], v[30:31], v[26:27]
	v_fma_f64 v[46:47], -v[21:22], v[32:33], v[28:29]
	v_fma_f64 v[28:29], v[34:35], v[30:31], v[38:39]
	global_load_dwordx4 v[19:22], v[42:43], off offset:80
	v_fma_f64 v[48:49], v[34:35], v[32:33], v[26:27]
	v_fma_f64 v[38:39], -v[36:37], v[32:33], v[28:29]
	global_load_dwordx4 v[26:29], v[44:45], off offset:64
	global_load_dwordx4 v[30:33], v[44:45], off offset:80
	s_waitcnt vmcnt(1)
	v_fma_f64 v[34:35], v[15:16], v[26:27], v[46:47]
	v_fma_f64 v[36:37], v[17:18], v[26:27], v[40:41]
	v_fma_f64 v[40:41], -v[17:18], v[28:29], v[34:35]
	v_fma_f64 v[46:47], v[15:16], v[28:29], v[36:37]
	global_load_dwordx4 v[15:18], v[42:43], off offset:192
	global_load_dwordx4 v[34:37], v[42:43], off offset:208
	s_waitcnt vmcnt(1)
	v_fma_f64 v[38:39], v[15:16], v[26:27], v[38:39]
	v_fma_f64 v[26:27], v[17:18], v[26:27], v[48:49]
	v_fma_f64 v[38:39], -v[17:18], v[28:29], v[38:39]
	v_fma_f64 v[26:27], v[15:16], v[28:29], v[26:27]
	v_fma_f64 v[28:29], v[19:20], v[30:31], v[40:41]
	;; [unrolled: 1-line block ×3, first 2 shown]
	global_load_dwordx4 v[15:18], v[42:43], off offset:96
	s_waitcnt vmcnt(1)
	v_fma_f64 v[26:27], v[36:37], v[30:31], v[26:27]
	v_fma_f64 v[46:47], -v[21:22], v[32:33], v[28:29]
	v_fma_f64 v[28:29], v[34:35], v[30:31], v[38:39]
	v_fma_f64 v[40:41], v[19:20], v[32:33], v[40:41]
	global_load_dwordx4 v[19:22], v[42:43], off offset:112
	v_fma_f64 v[48:49], v[34:35], v[32:33], v[26:27]
	v_fma_f64 v[38:39], -v[36:37], v[32:33], v[28:29]
	global_load_dwordx4 v[26:29], v[44:45], off offset:96
	global_load_dwordx4 v[30:33], v[44:45], off offset:112
	s_waitcnt vmcnt(1)
	v_fma_f64 v[34:35], v[15:16], v[26:27], v[46:47]
	v_fma_f64 v[36:37], v[17:18], v[26:27], v[40:41]
	v_fma_f64 v[40:41], -v[17:18], v[28:29], v[34:35]
	v_fma_f64 v[44:45], v[15:16], v[28:29], v[36:37]
	global_load_dwordx4 v[15:18], v[42:43], off offset:224
	global_load_dwordx4 v[34:37], v[42:43], off offset:240
	s_waitcnt vmcnt(1)
	v_fma_f64 v[38:39], v[15:16], v[26:27], v[38:39]
	v_fma_f64 v[26:27], v[17:18], v[26:27], v[48:49]
	v_fma_f64 v[17:18], -v[17:18], v[28:29], v[38:39]
	v_fma_f64 v[15:16], v[15:16], v[28:29], v[26:27]
	v_fma_f64 v[26:27], v[19:20], v[30:31], v[40:41]
	;; [unrolled: 1-line block ×3, first 2 shown]
	s_waitcnt vmcnt(0)
	v_fma_f64 v[17:18], v[34:35], v[30:31], v[17:18]
	v_fma_f64 v[15:16], v[36:37], v[30:31], v[15:16]
	v_fma_f64 v[21:22], -v[21:22], v[32:33], v[26:27]
	v_fma_f64 v[19:20], v[19:20], v[32:33], v[28:29]
	v_fma_f64 v[17:18], -v[36:37], v[32:33], v[17:18]
	v_fma_f64 v[15:16], v[34:35], v[32:33], v[15:16]
	s_andn2_b64 exec, exec, s[0:1]
	s_cbranch_execnz .LBB258_13
; %bb.14:
	s_or_b64 exec, exec, s[0:1]
.LBB258_15:
	s_or_b64 exec, exec, s[6:7]
.LBB258_16:
	v_mov_b32_dpp v12, v19 row_shr:1 row_mask:0xf bank_mask:0xf
	v_mov_b32_dpp v13, v20 row_shr:1 row_mask:0xf bank_mask:0xf
	;; [unrolled: 1-line block ×4, first 2 shown]
	v_add_f64 v[12:13], v[19:20], v[12:13]
	v_mov_b32_dpp v19, v17 row_shr:1 row_mask:0xf bank_mask:0xf
	v_mov_b32_dpp v20, v18 row_shr:1 row_mask:0xf bank_mask:0xf
	v_add_f64 v[10:11], v[21:22], v[10:11]
	v_add_f64 v[18:19], v[17:18], v[19:20]
	v_mov_b32_dpp v20, v15 row_shr:1 row_mask:0xf bank_mask:0xf
	v_mov_b32_dpp v21, v16 row_shr:1 row_mask:0xf bank_mask:0xf
	v_add_f64 v[14:15], v[15:16], v[20:21]
	v_mov_b32_dpp v16, v12 row_shr:2 row_mask:0xf bank_mask:0xf
	v_mov_b32_dpp v17, v13 row_shr:2 row_mask:0xf bank_mask:0xf
	v_cmp_eq_u32_e32 vcc, 3, v0
	v_mov_b32_dpp v24, v10 row_shr:2 row_mask:0xf bank_mask:0xf
	v_mov_b32_dpp v25, v11 row_shr:2 row_mask:0xf bank_mask:0xf
	v_mov_b32_dpp v22, v18 row_shr:2 row_mask:0xf bank_mask:0xf
	v_mov_b32_dpp v23, v19 row_shr:2 row_mask:0xf bank_mask:0xf
	v_mov_b32_dpp v20, v14 row_shr:2 row_mask:0xf bank_mask:0xf
	v_mov_b32_dpp v21, v15 row_shr:2 row_mask:0xf bank_mask:0xf
	s_and_b64 exec, exec, vcc
	s_cbranch_execz .LBB258_21
; %bb.17:
	v_cmp_eq_f64_e32 vcc, 0, v[5:6]
	v_cmp_eq_f64_e64 s[0:1], 0, v[7:8]
	v_add_f64 v[10:11], v[10:11], v[24:25]
	v_add_f64 v[16:17], v[12:13], v[16:17]
	;; [unrolled: 1-line block ×4, first 2 shown]
	s_load_dwordx2 s[2:3], s[4:5], 0x48
	s_and_b64 s[0:1], vcc, s[0:1]
	s_and_saveexec_b64 s[4:5], s[0:1]
	s_xor_b64 s[0:1], exec, s[4:5]
	s_cbranch_execz .LBB258_19
; %bb.18:
	v_mul_f64 v[5:6], v[16:17], -v[3:4]
	v_mul_f64 v[7:8], v[1:2], v[16:17]
	v_mul_f64 v[16:17], v[14:15], -v[3:4]
	v_mul_f64 v[14:15], v[1:2], v[14:15]
	v_lshlrev_b32_e32 v9, 1, v9
	s_waitcnt lgkmcnt(0)
	v_mov_b32_e32 v18, s3
	v_fma_f64 v[5:6], v[1:2], v[10:11], v[5:6]
	v_fma_f64 v[7:8], v[3:4], v[10:11], v[7:8]
	;; [unrolled: 1-line block ×4, first 2 shown]
	v_ashrrev_i32_e32 v10, 31, v9
	v_lshlrev_b64 v[9:10], 4, v[9:10]
                                        ; implicit-def: $vgpr16_vgpr17
                                        ; implicit-def: $vgpr12_vgpr13
                                        ; implicit-def: $vgpr14_vgpr15
	v_add_co_u32_e32 v9, vcc, s2, v9
	v_addc_co_u32_e32 v10, vcc, v18, v10, vcc
	global_store_dwordx4 v[9:10], v[5:8], off
	global_store_dwordx4 v[9:10], v[0:3], off offset:16
                                        ; implicit-def: $vgpr9
                                        ; implicit-def: $vgpr10_vgpr11
                                        ; implicit-def: $vgpr7_vgpr8
                                        ; implicit-def: $vgpr3_vgpr4
.LBB258_19:
	s_andn2_saveexec_b64 s[0:1], s[0:1]
	s_cbranch_execz .LBB258_21
; %bb.20:
	v_lshlrev_b32_e32 v18, 1, v9
	v_ashrrev_i32_e32 v19, 31, v18
	v_lshlrev_b64 v[18:19], 4, v[18:19]
	s_waitcnt lgkmcnt(0)
	v_mov_b32_e32 v0, s3
	v_add_co_u32_e32 v26, vcc, s2, v18
	v_addc_co_u32_e32 v27, vcc, v0, v19, vcc
	global_load_dwordx4 v[18:21], v[26:27], off
	global_load_dwordx4 v[22:25], v[26:27], off offset:16
	v_mul_f64 v[28:29], v[16:17], -v[3:4]
	v_mul_f64 v[16:17], v[1:2], v[16:17]
	v_mul_f64 v[30:31], v[14:15], -v[3:4]
	v_mul_f64 v[14:15], v[1:2], v[14:15]
	v_fma_f64 v[28:29], v[1:2], v[10:11], v[28:29]
	v_fma_f64 v[9:10], v[3:4], v[10:11], v[16:17]
	;; [unrolled: 1-line block ×4, first 2 shown]
	s_waitcnt vmcnt(1)
	v_fma_f64 v[11:12], v[5:6], v[18:19], v[28:29]
	v_fma_f64 v[9:10], v[7:8], v[18:19], v[9:10]
	s_waitcnt vmcnt(0)
	v_fma_f64 v[13:14], v[5:6], v[22:23], v[0:1]
	v_fma_f64 v[15:16], v[7:8], v[22:23], v[2:3]
	v_fma_f64 v[0:1], -v[7:8], v[20:21], v[11:12]
	v_fma_f64 v[2:3], v[5:6], v[20:21], v[9:10]
	v_fma_f64 v[7:8], -v[7:8], v[24:25], v[13:14]
	v_fma_f64 v[9:10], v[5:6], v[24:25], v[15:16]
	global_store_dwordx4 v[26:27], v[0:3], off
	global_store_dwordx4 v[26:27], v[7:10], off offset:16
.LBB258_21:
	s_endpgm
	.section	.rodata,"a",@progbits
	.p2align	6, 0x0
	.amdhsa_kernel _ZN9rocsparseL19gebsrmvn_2xn_kernelILj128ELj8ELj4E21rocsparse_complex_numIdEEEvi20rocsparse_direction_NS_24const_host_device_scalarIT2_EEPKiS8_PKS5_SA_S6_PS5_21rocsparse_index_base_b
		.amdhsa_group_segment_fixed_size 0
		.amdhsa_private_segment_fixed_size 0
		.amdhsa_kernarg_size 88
		.amdhsa_user_sgpr_count 6
		.amdhsa_user_sgpr_private_segment_buffer 1
		.amdhsa_user_sgpr_dispatch_ptr 0
		.amdhsa_user_sgpr_queue_ptr 0
		.amdhsa_user_sgpr_kernarg_segment_ptr 1
		.amdhsa_user_sgpr_dispatch_id 0
		.amdhsa_user_sgpr_flat_scratch_init 0
		.amdhsa_user_sgpr_private_segment_size 0
		.amdhsa_uses_dynamic_stack 0
		.amdhsa_system_sgpr_private_segment_wavefront_offset 0
		.amdhsa_system_sgpr_workgroup_id_x 1
		.amdhsa_system_sgpr_workgroup_id_y 0
		.amdhsa_system_sgpr_workgroup_id_z 0
		.amdhsa_system_sgpr_workgroup_info 0
		.amdhsa_system_vgpr_workitem_id 0
		.amdhsa_next_free_vgpr 50
		.amdhsa_next_free_sgpr 16
		.amdhsa_reserve_vcc 1
		.amdhsa_reserve_flat_scratch 0
		.amdhsa_float_round_mode_32 0
		.amdhsa_float_round_mode_16_64 0
		.amdhsa_float_denorm_mode_32 3
		.amdhsa_float_denorm_mode_16_64 3
		.amdhsa_dx10_clamp 1
		.amdhsa_ieee_mode 1
		.amdhsa_fp16_overflow 0
		.amdhsa_exception_fp_ieee_invalid_op 0
		.amdhsa_exception_fp_denorm_src 0
		.amdhsa_exception_fp_ieee_div_zero 0
		.amdhsa_exception_fp_ieee_overflow 0
		.amdhsa_exception_fp_ieee_underflow 0
		.amdhsa_exception_fp_ieee_inexact 0
		.amdhsa_exception_int_div_zero 0
	.end_amdhsa_kernel
	.section	.text._ZN9rocsparseL19gebsrmvn_2xn_kernelILj128ELj8ELj4E21rocsparse_complex_numIdEEEvi20rocsparse_direction_NS_24const_host_device_scalarIT2_EEPKiS8_PKS5_SA_S6_PS5_21rocsparse_index_base_b,"axG",@progbits,_ZN9rocsparseL19gebsrmvn_2xn_kernelILj128ELj8ELj4E21rocsparse_complex_numIdEEEvi20rocsparse_direction_NS_24const_host_device_scalarIT2_EEPKiS8_PKS5_SA_S6_PS5_21rocsparse_index_base_b,comdat
.Lfunc_end258:
	.size	_ZN9rocsparseL19gebsrmvn_2xn_kernelILj128ELj8ELj4E21rocsparse_complex_numIdEEEvi20rocsparse_direction_NS_24const_host_device_scalarIT2_EEPKiS8_PKS5_SA_S6_PS5_21rocsparse_index_base_b, .Lfunc_end258-_ZN9rocsparseL19gebsrmvn_2xn_kernelILj128ELj8ELj4E21rocsparse_complex_numIdEEEvi20rocsparse_direction_NS_24const_host_device_scalarIT2_EEPKiS8_PKS5_SA_S6_PS5_21rocsparse_index_base_b
                                        ; -- End function
	.set _ZN9rocsparseL19gebsrmvn_2xn_kernelILj128ELj8ELj4E21rocsparse_complex_numIdEEEvi20rocsparse_direction_NS_24const_host_device_scalarIT2_EEPKiS8_PKS5_SA_S6_PS5_21rocsparse_index_base_b.num_vgpr, 50
	.set _ZN9rocsparseL19gebsrmvn_2xn_kernelILj128ELj8ELj4E21rocsparse_complex_numIdEEEvi20rocsparse_direction_NS_24const_host_device_scalarIT2_EEPKiS8_PKS5_SA_S6_PS5_21rocsparse_index_base_b.num_agpr, 0
	.set _ZN9rocsparseL19gebsrmvn_2xn_kernelILj128ELj8ELj4E21rocsparse_complex_numIdEEEvi20rocsparse_direction_NS_24const_host_device_scalarIT2_EEPKiS8_PKS5_SA_S6_PS5_21rocsparse_index_base_b.numbered_sgpr, 16
	.set _ZN9rocsparseL19gebsrmvn_2xn_kernelILj128ELj8ELj4E21rocsparse_complex_numIdEEEvi20rocsparse_direction_NS_24const_host_device_scalarIT2_EEPKiS8_PKS5_SA_S6_PS5_21rocsparse_index_base_b.num_named_barrier, 0
	.set _ZN9rocsparseL19gebsrmvn_2xn_kernelILj128ELj8ELj4E21rocsparse_complex_numIdEEEvi20rocsparse_direction_NS_24const_host_device_scalarIT2_EEPKiS8_PKS5_SA_S6_PS5_21rocsparse_index_base_b.private_seg_size, 0
	.set _ZN9rocsparseL19gebsrmvn_2xn_kernelILj128ELj8ELj4E21rocsparse_complex_numIdEEEvi20rocsparse_direction_NS_24const_host_device_scalarIT2_EEPKiS8_PKS5_SA_S6_PS5_21rocsparse_index_base_b.uses_vcc, 1
	.set _ZN9rocsparseL19gebsrmvn_2xn_kernelILj128ELj8ELj4E21rocsparse_complex_numIdEEEvi20rocsparse_direction_NS_24const_host_device_scalarIT2_EEPKiS8_PKS5_SA_S6_PS5_21rocsparse_index_base_b.uses_flat_scratch, 0
	.set _ZN9rocsparseL19gebsrmvn_2xn_kernelILj128ELj8ELj4E21rocsparse_complex_numIdEEEvi20rocsparse_direction_NS_24const_host_device_scalarIT2_EEPKiS8_PKS5_SA_S6_PS5_21rocsparse_index_base_b.has_dyn_sized_stack, 0
	.set _ZN9rocsparseL19gebsrmvn_2xn_kernelILj128ELj8ELj4E21rocsparse_complex_numIdEEEvi20rocsparse_direction_NS_24const_host_device_scalarIT2_EEPKiS8_PKS5_SA_S6_PS5_21rocsparse_index_base_b.has_recursion, 0
	.set _ZN9rocsparseL19gebsrmvn_2xn_kernelILj128ELj8ELj4E21rocsparse_complex_numIdEEEvi20rocsparse_direction_NS_24const_host_device_scalarIT2_EEPKiS8_PKS5_SA_S6_PS5_21rocsparse_index_base_b.has_indirect_call, 0
	.section	.AMDGPU.csdata,"",@progbits
; Kernel info:
; codeLenInByte = 2776
; TotalNumSgprs: 20
; NumVgprs: 50
; ScratchSize: 0
; MemoryBound: 1
; FloatMode: 240
; IeeeMode: 1
; LDSByteSize: 0 bytes/workgroup (compile time only)
; SGPRBlocks: 2
; VGPRBlocks: 12
; NumSGPRsForWavesPerEU: 20
; NumVGPRsForWavesPerEU: 50
; Occupancy: 4
; WaveLimiterHint : 1
; COMPUTE_PGM_RSRC2:SCRATCH_EN: 0
; COMPUTE_PGM_RSRC2:USER_SGPR: 6
; COMPUTE_PGM_RSRC2:TRAP_HANDLER: 0
; COMPUTE_PGM_RSRC2:TGID_X_EN: 1
; COMPUTE_PGM_RSRC2:TGID_Y_EN: 0
; COMPUTE_PGM_RSRC2:TGID_Z_EN: 0
; COMPUTE_PGM_RSRC2:TIDIG_COMP_CNT: 0
	.section	.text._ZN9rocsparseL19gebsrmvn_2xn_kernelILj128ELj8ELj8E21rocsparse_complex_numIdEEEvi20rocsparse_direction_NS_24const_host_device_scalarIT2_EEPKiS8_PKS5_SA_S6_PS5_21rocsparse_index_base_b,"axG",@progbits,_ZN9rocsparseL19gebsrmvn_2xn_kernelILj128ELj8ELj8E21rocsparse_complex_numIdEEEvi20rocsparse_direction_NS_24const_host_device_scalarIT2_EEPKiS8_PKS5_SA_S6_PS5_21rocsparse_index_base_b,comdat
	.globl	_ZN9rocsparseL19gebsrmvn_2xn_kernelILj128ELj8ELj8E21rocsparse_complex_numIdEEEvi20rocsparse_direction_NS_24const_host_device_scalarIT2_EEPKiS8_PKS5_SA_S6_PS5_21rocsparse_index_base_b ; -- Begin function _ZN9rocsparseL19gebsrmvn_2xn_kernelILj128ELj8ELj8E21rocsparse_complex_numIdEEEvi20rocsparse_direction_NS_24const_host_device_scalarIT2_EEPKiS8_PKS5_SA_S6_PS5_21rocsparse_index_base_b
	.p2align	8
	.type	_ZN9rocsparseL19gebsrmvn_2xn_kernelILj128ELj8ELj8E21rocsparse_complex_numIdEEEvi20rocsparse_direction_NS_24const_host_device_scalarIT2_EEPKiS8_PKS5_SA_S6_PS5_21rocsparse_index_base_b,@function
_ZN9rocsparseL19gebsrmvn_2xn_kernelILj128ELj8ELj8E21rocsparse_complex_numIdEEEvi20rocsparse_direction_NS_24const_host_device_scalarIT2_EEPKiS8_PKS5_SA_S6_PS5_21rocsparse_index_base_b: ; @_ZN9rocsparseL19gebsrmvn_2xn_kernelILj128ELj8ELj8E21rocsparse_complex_numIdEEEvi20rocsparse_direction_NS_24const_host_device_scalarIT2_EEPKiS8_PKS5_SA_S6_PS5_21rocsparse_index_base_b
; %bb.0:
	s_load_dwordx2 s[0:1], s[4:5], 0x8
	s_load_dwordx2 s[8:9], s[4:5], 0x38
	;; [unrolled: 1-line block ×3, first 2 shown]
	s_add_u32 s7, s4, 8
	s_addc_u32 s10, s5, 0
	s_add_u32 s11, s4, 56
	s_addc_u32 s12, s5, 0
	s_waitcnt lgkmcnt(0)
	s_bitcmp1_b32 s3, 0
	s_cselect_b32 s1, s10, s1
	s_cselect_b32 s0, s7, s0
	v_mov_b32_e32 v1, s0
	v_mov_b32_e32 v2, s1
	flat_load_dwordx4 v[1:4], v[1:2]
	s_cselect_b32 s0, s12, s9
	s_cselect_b32 s1, s11, s8
	v_mov_b32_e32 v5, s1
	v_mov_b32_e32 v6, s0
	flat_load_dwordx4 v[5:8], v[5:6]
	s_waitcnt vmcnt(0) lgkmcnt(0)
	v_cmp_eq_f64_e32 vcc, 0, v[1:2]
	v_cmp_eq_f64_e64 s[0:1], 0, v[3:4]
	s_and_b64 s[10:11], vcc, s[0:1]
	s_mov_b64 s[0:1], -1
	s_and_saveexec_b64 s[8:9], s[10:11]
	s_cbranch_execz .LBB259_2
; %bb.1:
	v_cmp_neq_f64_e32 vcc, 1.0, v[5:6]
	v_cmp_neq_f64_e64 s[0:1], 0, v[7:8]
	s_or_b64 s[0:1], vcc, s[0:1]
	s_orn2_b64 s[0:1], s[0:1], exec
.LBB259_2:
	s_or_b64 exec, exec, s[8:9]
	s_and_saveexec_b64 s[8:9], s[0:1]
	s_cbranch_execz .LBB259_21
; %bb.3:
	s_load_dwordx2 s[0:1], s[4:5], 0x0
	v_lshrrev_b32_e32 v9, 3, v0
	v_lshl_or_b32 v9, s6, 4, v9
	s_waitcnt lgkmcnt(0)
	v_cmp_gt_i32_e32 vcc, s0, v9
	s_and_b64 exec, exec, vcc
	s_cbranch_execz .LBB259_21
; %bb.4:
	s_load_dwordx8 s[8:15], s[4:5], 0x18
	v_ashrrev_i32_e32 v10, 31, v9
	v_lshlrev_b64 v[10:11], 2, v[9:10]
	v_and_b32_e32 v0, 7, v0
	s_cmp_lg_u32 s1, 0
	s_waitcnt lgkmcnt(0)
	v_mov_b32_e32 v12, s9
	v_add_co_u32_e32 v10, vcc, s8, v10
	v_addc_co_u32_e32 v11, vcc, v12, v11, vcc
	global_load_dwordx2 v[10:11], v[10:11], off
	s_waitcnt vmcnt(0)
	v_subrev_u32_e32 v10, s2, v10
	v_subrev_u32_e32 v23, s2, v11
	v_add_u32_e32 v10, v10, v0
	v_cmp_lt_i32_e64 s[0:1], v10, v23
	s_cbranch_scc0 .LBB259_10
; %bb.5:
	v_mov_b32_e32 v19, 0
	v_mov_b32_e32 v21, 0
	;; [unrolled: 1-line block ×8, first 2 shown]
	s_and_saveexec_b64 s[6:7], s[0:1]
	s_cbranch_execz .LBB259_9
; %bb.6:
	v_mov_b32_e32 v19, 0
	v_mov_b32_e32 v21, 0
	;; [unrolled: 1-line block ×4, first 2 shown]
	v_lshlrev_b32_e32 v11, 4, v10
	v_mov_b32_e32 v20, 0
	s_mov_b64 s[8:9], 0
	v_mov_b32_e32 v24, s11
	v_mov_b32_e32 v12, 0
	;; [unrolled: 1-line block ×8, first 2 shown]
.LBB259_7:                              ; =>This Inner Loop Header: Depth=1
	v_lshlrev_b64 v[27:28], 4, v[11:12]
	v_ashrrev_i32_e32 v14, 31, v13
	v_lshlrev_b64 v[29:30], 2, v[13:14]
	v_add_co_u32_e32 v35, vcc, s12, v27
	v_addc_co_u32_e32 v36, vcc, v25, v28, vcc
	v_add_co_u32_e32 v33, vcc, s10, v29
	v_addc_co_u32_e32 v34, vcc, v24, v30, vcc
	global_load_dwordx4 v[27:30], v[35:36], off
	global_load_dword v14, v[33:34], off
	v_mov_b32_e32 v32, v12
	v_add_u32_e32 v13, 8, v13
	v_add_u32_e32 v11, 0x80, v11
	s_waitcnt vmcnt(0)
	v_subrev_u32_e32 v14, s2, v14
	v_lshlrev_b32_e32 v31, 3, v14
	v_lshlrev_b64 v[31:32], 4, v[31:32]
	v_add_co_u32_e32 v37, vcc, s14, v31
	v_addc_co_u32_e32 v38, vcc, v26, v32, vcc
	global_load_dwordx4 v[31:34], v[37:38], off
	v_cmp_ge_i32_e32 vcc, v13, v23
	s_or_b64 s[8:9], vcc, s[8:9]
	s_waitcnt vmcnt(0)
	v_fma_f64 v[21:22], v[27:28], v[31:32], v[21:22]
	v_fma_f64 v[19:20], v[29:30], v[31:32], v[19:20]
	v_fma_f64 v[29:30], -v[29:30], v[33:34], v[21:22]
	v_fma_f64 v[27:28], v[27:28], v[33:34], v[19:20]
	global_load_dwordx4 v[19:22], v[35:36], off offset:16
	s_waitcnt vmcnt(0)
	v_fma_f64 v[17:18], v[19:20], v[31:32], v[17:18]
	v_fma_f64 v[14:15], v[21:22], v[31:32], v[15:16]
	v_fma_f64 v[31:32], -v[21:22], v[33:34], v[17:18]
	v_fma_f64 v[33:34], v[19:20], v[33:34], v[14:15]
	global_load_dwordx4 v[14:17], v[35:36], off offset:32
	global_load_dwordx4 v[18:21], v[37:38], off offset:16
	s_waitcnt vmcnt(0)
	v_fma_f64 v[29:30], v[14:15], v[18:19], v[29:30]
	v_fma_f64 v[27:28], v[16:17], v[18:19], v[27:28]
	v_fma_f64 v[29:30], -v[16:17], v[20:21], v[29:30]
	v_fma_f64 v[27:28], v[14:15], v[20:21], v[27:28]
	global_load_dwordx4 v[14:17], v[35:36], off offset:48
	s_waitcnt vmcnt(0)
	v_fma_f64 v[31:32], v[14:15], v[18:19], v[31:32]
	v_fma_f64 v[18:19], v[16:17], v[18:19], v[33:34]
	v_fma_f64 v[31:32], -v[16:17], v[20:21], v[31:32]
	v_fma_f64 v[33:34], v[14:15], v[20:21], v[18:19]
	global_load_dwordx4 v[14:17], v[35:36], off offset:64
	global_load_dwordx4 v[18:21], v[37:38], off offset:32
	;; [unrolled: 13-line block ×7, first 2 shown]
	global_load_dwordx4 v[31:34], v[37:38], off offset:112
	s_waitcnt vmcnt(0)
	v_fma_f64 v[20:21], v[14:15], v[31:32], v[39:40]
	v_fma_f64 v[35:36], v[16:17], v[31:32], v[41:42]
	;; [unrolled: 1-line block ×4, first 2 shown]
	v_fma_f64 v[21:22], -v[16:17], v[33:34], v[20:21]
	v_fma_f64 v[19:20], v[14:15], v[33:34], v[35:36]
	v_fma_f64 v[17:18], -v[29:30], v[33:34], v[37:38]
	v_fma_f64 v[15:16], v[27:28], v[33:34], v[31:32]
	s_andn2_b64 exec, exec, s[8:9]
	s_cbranch_execnz .LBB259_7
; %bb.8:
	s_or_b64 exec, exec, s[8:9]
.LBB259_9:
	s_or_b64 exec, exec, s[6:7]
	s_cbranch_execz .LBB259_11
	s_branch .LBB259_16
.LBB259_10:
                                        ; implicit-def: $vgpr19_vgpr20
                                        ; implicit-def: $vgpr21_vgpr22
                                        ; implicit-def: $vgpr17_vgpr18
                                        ; implicit-def: $vgpr15_vgpr16
.LBB259_11:
	v_mov_b32_e32 v19, 0
	v_mov_b32_e32 v21, 0
	;; [unrolled: 1-line block ×8, first 2 shown]
	s_and_saveexec_b64 s[6:7], s[0:1]
	s_cbranch_execz .LBB259_15
; %bb.12:
	v_mov_b32_e32 v19, 0
	v_mov_b32_e32 v21, 0
	;; [unrolled: 1-line block ×4, first 2 shown]
	v_lshlrev_b32_e32 v12, 4, v10
	v_mov_b32_e32 v20, 0
	s_mov_b64 s[0:1], 0
	v_mov_b32_e32 v14, s11
	v_mov_b32_e32 v13, 0
	;; [unrolled: 1-line block ×7, first 2 shown]
.LBB259_13:                             ; =>This Inner Loop Header: Depth=1
	v_lshlrev_b64 v[26:27], 4, v[12:13]
	v_ashrrev_i32_e32 v11, 31, v10
	v_lshlrev_b64 v[28:29], 2, v[10:11]
	v_add_co_u32_e32 v42, vcc, s12, v26
	v_addc_co_u32_e32 v43, vcc, v24, v27, vcc
	v_add_co_u32_e32 v36, vcc, s10, v28
	v_addc_co_u32_e32 v37, vcc, v14, v29, vcc
	global_load_dwordx4 v[26:29], v[42:43], off
	global_load_dwordx4 v[30:33], v[42:43], off offset:16
	global_load_dword v11, v[36:37], off
	v_mov_b32_e32 v35, v13
	v_add_u32_e32 v10, 8, v10
	v_add_u32_e32 v12, 0x80, v12
	s_waitcnt vmcnt(0)
	v_subrev_u32_e32 v11, s2, v11
	v_lshlrev_b32_e32 v34, 3, v11
	v_lshlrev_b64 v[34:35], 4, v[34:35]
	v_add_co_u32_e32 v44, vcc, s14, v34
	v_addc_co_u32_e32 v45, vcc, v25, v35, vcc
	global_load_dwordx4 v[34:37], v[44:45], off
	global_load_dwordx4 v[38:41], v[44:45], off offset:16
	v_cmp_ge_i32_e32 vcc, v10, v23
	s_or_b64 s[0:1], vcc, s[0:1]
	s_waitcnt vmcnt(1)
	v_fma_f64 v[21:22], v[26:27], v[34:35], v[21:22]
	v_fma_f64 v[19:20], v[28:29], v[34:35], v[19:20]
	v_fma_f64 v[46:47], -v[28:29], v[36:37], v[21:22]
	v_fma_f64 v[48:49], v[26:27], v[36:37], v[19:20]
	global_load_dwordx4 v[19:22], v[42:43], off offset:128
	global_load_dwordx4 v[26:29], v[42:43], off offset:144
	s_waitcnt vmcnt(1)
	v_fma_f64 v[17:18], v[19:20], v[34:35], v[17:18]
	v_fma_f64 v[15:16], v[21:22], v[34:35], v[15:16]
	v_fma_f64 v[34:35], -v[21:22], v[36:37], v[17:18]
	v_fma_f64 v[36:37], v[19:20], v[36:37], v[15:16]
	v_fma_f64 v[19:20], v[30:31], v[38:39], v[46:47]
	v_fma_f64 v[21:22], v[32:33], v[38:39], v[48:49]
	global_load_dwordx4 v[15:18], v[42:43], off offset:32
	v_fma_f64 v[46:47], -v[32:33], v[40:41], v[19:20]
	v_fma_f64 v[48:49], v[30:31], v[40:41], v[21:22]
	s_waitcnt vmcnt(1)
	v_fma_f64 v[30:31], v[26:27], v[38:39], v[34:35]
	v_fma_f64 v[32:33], v[28:29], v[38:39], v[36:37]
	global_load_dwordx4 v[19:22], v[42:43], off offset:48
	v_fma_f64 v[38:39], -v[28:29], v[40:41], v[30:31]
	v_fma_f64 v[40:41], v[26:27], v[40:41], v[32:33]
	global_load_dwordx4 v[26:29], v[44:45], off offset:32
	global_load_dwordx4 v[30:33], v[44:45], off offset:48
	s_waitcnt vmcnt(1)
	v_fma_f64 v[34:35], v[15:16], v[26:27], v[46:47]
	v_fma_f64 v[36:37], v[17:18], v[26:27], v[48:49]
	v_fma_f64 v[46:47], -v[17:18], v[28:29], v[34:35]
	v_fma_f64 v[48:49], v[15:16], v[28:29], v[36:37]
	global_load_dwordx4 v[15:18], v[42:43], off offset:160
	global_load_dwordx4 v[34:37], v[42:43], off offset:176
	s_waitcnt vmcnt(1)
	v_fma_f64 v[38:39], v[15:16], v[26:27], v[38:39]
	v_fma_f64 v[26:27], v[17:18], v[26:27], v[40:41]
	;; [unrolled: 1-line block ×3, first 2 shown]
	v_fma_f64 v[38:39], -v[17:18], v[28:29], v[38:39]
	v_fma_f64 v[26:27], v[15:16], v[28:29], v[26:27]
	v_fma_f64 v[28:29], v[19:20], v[30:31], v[46:47]
	global_load_dwordx4 v[15:18], v[42:43], off offset:64
	v_fma_f64 v[40:41], v[19:20], v[32:33], v[40:41]
	s_waitcnt vmcnt(1)
	v_fma_f64 v[26:27], v[36:37], v[30:31], v[26:27]
	v_fma_f64 v[46:47], -v[21:22], v[32:33], v[28:29]
	v_fma_f64 v[28:29], v[34:35], v[30:31], v[38:39]
	global_load_dwordx4 v[19:22], v[42:43], off offset:80
	v_fma_f64 v[48:49], v[34:35], v[32:33], v[26:27]
	v_fma_f64 v[38:39], -v[36:37], v[32:33], v[28:29]
	global_load_dwordx4 v[26:29], v[44:45], off offset:64
	global_load_dwordx4 v[30:33], v[44:45], off offset:80
	s_waitcnt vmcnt(1)
	v_fma_f64 v[34:35], v[15:16], v[26:27], v[46:47]
	v_fma_f64 v[36:37], v[17:18], v[26:27], v[40:41]
	v_fma_f64 v[40:41], -v[17:18], v[28:29], v[34:35]
	v_fma_f64 v[46:47], v[15:16], v[28:29], v[36:37]
	global_load_dwordx4 v[15:18], v[42:43], off offset:192
	global_load_dwordx4 v[34:37], v[42:43], off offset:208
	s_waitcnt vmcnt(1)
	v_fma_f64 v[38:39], v[15:16], v[26:27], v[38:39]
	v_fma_f64 v[26:27], v[17:18], v[26:27], v[48:49]
	v_fma_f64 v[38:39], -v[17:18], v[28:29], v[38:39]
	v_fma_f64 v[26:27], v[15:16], v[28:29], v[26:27]
	v_fma_f64 v[28:29], v[19:20], v[30:31], v[40:41]
	;; [unrolled: 1-line block ×3, first 2 shown]
	global_load_dwordx4 v[15:18], v[42:43], off offset:96
	s_waitcnt vmcnt(1)
	v_fma_f64 v[26:27], v[36:37], v[30:31], v[26:27]
	v_fma_f64 v[46:47], -v[21:22], v[32:33], v[28:29]
	v_fma_f64 v[28:29], v[34:35], v[30:31], v[38:39]
	v_fma_f64 v[40:41], v[19:20], v[32:33], v[40:41]
	global_load_dwordx4 v[19:22], v[42:43], off offset:112
	v_fma_f64 v[48:49], v[34:35], v[32:33], v[26:27]
	v_fma_f64 v[38:39], -v[36:37], v[32:33], v[28:29]
	global_load_dwordx4 v[26:29], v[44:45], off offset:96
	global_load_dwordx4 v[30:33], v[44:45], off offset:112
	s_waitcnt vmcnt(1)
	v_fma_f64 v[34:35], v[15:16], v[26:27], v[46:47]
	v_fma_f64 v[36:37], v[17:18], v[26:27], v[40:41]
	v_fma_f64 v[40:41], -v[17:18], v[28:29], v[34:35]
	v_fma_f64 v[44:45], v[15:16], v[28:29], v[36:37]
	global_load_dwordx4 v[15:18], v[42:43], off offset:224
	global_load_dwordx4 v[34:37], v[42:43], off offset:240
	s_waitcnt vmcnt(1)
	v_fma_f64 v[38:39], v[15:16], v[26:27], v[38:39]
	v_fma_f64 v[26:27], v[17:18], v[26:27], v[48:49]
	v_fma_f64 v[17:18], -v[17:18], v[28:29], v[38:39]
	v_fma_f64 v[15:16], v[15:16], v[28:29], v[26:27]
	v_fma_f64 v[26:27], v[19:20], v[30:31], v[40:41]
	;; [unrolled: 1-line block ×3, first 2 shown]
	s_waitcnt vmcnt(0)
	v_fma_f64 v[17:18], v[34:35], v[30:31], v[17:18]
	v_fma_f64 v[15:16], v[36:37], v[30:31], v[15:16]
	v_fma_f64 v[21:22], -v[21:22], v[32:33], v[26:27]
	v_fma_f64 v[19:20], v[19:20], v[32:33], v[28:29]
	v_fma_f64 v[17:18], -v[36:37], v[32:33], v[17:18]
	v_fma_f64 v[15:16], v[34:35], v[32:33], v[15:16]
	s_andn2_b64 exec, exec, s[0:1]
	s_cbranch_execnz .LBB259_13
; %bb.14:
	s_or_b64 exec, exec, s[0:1]
.LBB259_15:
	s_or_b64 exec, exec, s[6:7]
.LBB259_16:
	v_mov_b32_dpp v10, v21 row_shr:1 row_mask:0xf bank_mask:0xf
	v_mov_b32_dpp v11, v22 row_shr:1 row_mask:0xf bank_mask:0xf
	v_add_f64 v[10:11], v[21:22], v[10:11]
	v_mov_b32_dpp v12, v19 row_shr:1 row_mask:0xf bank_mask:0xf
	v_mov_b32_dpp v13, v20 row_shr:1 row_mask:0xf bank_mask:0xf
	;; [unrolled: 1-line block ×4, first 2 shown]
	v_add_f64 v[12:13], v[19:20], v[12:13]
	v_add_f64 v[17:18], v[17:18], v[21:22]
	v_mov_b32_dpp v21, v15 row_shr:1 row_mask:0xf bank_mask:0xf
	v_mov_b32_dpp v22, v16 row_shr:1 row_mask:0xf bank_mask:0xf
	v_add_f64 v[14:15], v[15:16], v[21:22]
	v_mov_b32_dpp v19, v10 row_shr:2 row_mask:0xf bank_mask:0xf
	v_mov_b32_dpp v20, v11 row_shr:2 row_mask:0xf bank_mask:0xf
	v_add_f64 v[10:11], v[10:11], v[19:20]
	v_mov_b32_dpp v19, v12 row_shr:2 row_mask:0xf bank_mask:0xf
	v_mov_b32_dpp v20, v13 row_shr:2 row_mask:0xf bank_mask:0xf
	v_add_f64 v[12:13], v[12:13], v[19:20]
	v_mov_b32_dpp v19, v17 row_shr:2 row_mask:0xf bank_mask:0xf
	v_mov_b32_dpp v20, v18 row_shr:2 row_mask:0xf bank_mask:0xf
	v_add_f64 v[18:19], v[17:18], v[19:20]
	v_mov_b32_dpp v16, v14 row_shr:2 row_mask:0xf bank_mask:0xf
	v_mov_b32_dpp v17, v15 row_shr:2 row_mask:0xf bank_mask:0xf
	v_add_f64 v[14:15], v[14:15], v[16:17]
	v_mov_b32_dpp v24, v10 row_shr:4 row_mask:0xf bank_mask:0xe
	v_mov_b32_dpp v25, v11 row_shr:4 row_mask:0xf bank_mask:0xe
	v_mov_b32_dpp v16, v12 row_shr:4 row_mask:0xf bank_mask:0xe
	v_mov_b32_dpp v17, v13 row_shr:4 row_mask:0xf bank_mask:0xe
	;; [unrolled: 1-line block ×4, first 2 shown]
	v_cmp_eq_u32_e32 vcc, 7, v0
	v_mov_b32_dpp v20, v14 row_shr:4 row_mask:0xf bank_mask:0xe
	v_mov_b32_dpp v21, v15 row_shr:4 row_mask:0xf bank_mask:0xe
	s_and_b64 exec, exec, vcc
	s_cbranch_execz .LBB259_21
; %bb.17:
	v_cmp_eq_f64_e32 vcc, 0, v[5:6]
	v_cmp_eq_f64_e64 s[0:1], 0, v[7:8]
	v_add_f64 v[10:11], v[10:11], v[24:25]
	v_add_f64 v[16:17], v[12:13], v[16:17]
	;; [unrolled: 1-line block ×4, first 2 shown]
	s_load_dwordx2 s[2:3], s[4:5], 0x48
	s_and_b64 s[0:1], vcc, s[0:1]
	s_and_saveexec_b64 s[4:5], s[0:1]
	s_xor_b64 s[0:1], exec, s[4:5]
	s_cbranch_execz .LBB259_19
; %bb.18:
	v_mul_f64 v[5:6], v[16:17], -v[3:4]
	v_mul_f64 v[7:8], v[1:2], v[16:17]
	v_mul_f64 v[16:17], v[14:15], -v[3:4]
	v_mul_f64 v[14:15], v[1:2], v[14:15]
	v_lshlrev_b32_e32 v9, 1, v9
	s_waitcnt lgkmcnt(0)
	v_mov_b32_e32 v18, s3
	v_fma_f64 v[5:6], v[1:2], v[10:11], v[5:6]
	v_fma_f64 v[7:8], v[3:4], v[10:11], v[7:8]
	;; [unrolled: 1-line block ×4, first 2 shown]
	v_ashrrev_i32_e32 v10, 31, v9
	v_lshlrev_b64 v[9:10], 4, v[9:10]
                                        ; implicit-def: $vgpr16_vgpr17
                                        ; implicit-def: $vgpr12_vgpr13
                                        ; implicit-def: $vgpr14_vgpr15
	v_add_co_u32_e32 v9, vcc, s2, v9
	v_addc_co_u32_e32 v10, vcc, v18, v10, vcc
	global_store_dwordx4 v[9:10], v[5:8], off
	global_store_dwordx4 v[9:10], v[0:3], off offset:16
                                        ; implicit-def: $vgpr9
                                        ; implicit-def: $vgpr10_vgpr11
                                        ; implicit-def: $vgpr7_vgpr8
                                        ; implicit-def: $vgpr3_vgpr4
.LBB259_19:
	s_andn2_saveexec_b64 s[0:1], s[0:1]
	s_cbranch_execz .LBB259_21
; %bb.20:
	v_lshlrev_b32_e32 v18, 1, v9
	v_ashrrev_i32_e32 v19, 31, v18
	v_lshlrev_b64 v[18:19], 4, v[18:19]
	s_waitcnt lgkmcnt(0)
	v_mov_b32_e32 v0, s3
	v_add_co_u32_e32 v26, vcc, s2, v18
	v_addc_co_u32_e32 v27, vcc, v0, v19, vcc
	global_load_dwordx4 v[18:21], v[26:27], off
	global_load_dwordx4 v[22:25], v[26:27], off offset:16
	v_mul_f64 v[28:29], v[16:17], -v[3:4]
	v_mul_f64 v[16:17], v[1:2], v[16:17]
	v_mul_f64 v[30:31], v[14:15], -v[3:4]
	v_mul_f64 v[14:15], v[1:2], v[14:15]
	v_fma_f64 v[28:29], v[1:2], v[10:11], v[28:29]
	v_fma_f64 v[9:10], v[3:4], v[10:11], v[16:17]
	;; [unrolled: 1-line block ×4, first 2 shown]
	s_waitcnt vmcnt(1)
	v_fma_f64 v[11:12], v[5:6], v[18:19], v[28:29]
	v_fma_f64 v[9:10], v[7:8], v[18:19], v[9:10]
	s_waitcnt vmcnt(0)
	v_fma_f64 v[13:14], v[5:6], v[22:23], v[0:1]
	v_fma_f64 v[15:16], v[7:8], v[22:23], v[2:3]
	v_fma_f64 v[0:1], -v[7:8], v[20:21], v[11:12]
	v_fma_f64 v[2:3], v[5:6], v[20:21], v[9:10]
	v_fma_f64 v[7:8], -v[7:8], v[24:25], v[13:14]
	v_fma_f64 v[9:10], v[5:6], v[24:25], v[15:16]
	global_store_dwordx4 v[26:27], v[0:3], off
	global_store_dwordx4 v[26:27], v[7:10], off offset:16
.LBB259_21:
	s_endpgm
	.section	.rodata,"a",@progbits
	.p2align	6, 0x0
	.amdhsa_kernel _ZN9rocsparseL19gebsrmvn_2xn_kernelILj128ELj8ELj8E21rocsparse_complex_numIdEEEvi20rocsparse_direction_NS_24const_host_device_scalarIT2_EEPKiS8_PKS5_SA_S6_PS5_21rocsparse_index_base_b
		.amdhsa_group_segment_fixed_size 0
		.amdhsa_private_segment_fixed_size 0
		.amdhsa_kernarg_size 88
		.amdhsa_user_sgpr_count 6
		.amdhsa_user_sgpr_private_segment_buffer 1
		.amdhsa_user_sgpr_dispatch_ptr 0
		.amdhsa_user_sgpr_queue_ptr 0
		.amdhsa_user_sgpr_kernarg_segment_ptr 1
		.amdhsa_user_sgpr_dispatch_id 0
		.amdhsa_user_sgpr_flat_scratch_init 0
		.amdhsa_user_sgpr_private_segment_size 0
		.amdhsa_uses_dynamic_stack 0
		.amdhsa_system_sgpr_private_segment_wavefront_offset 0
		.amdhsa_system_sgpr_workgroup_id_x 1
		.amdhsa_system_sgpr_workgroup_id_y 0
		.amdhsa_system_sgpr_workgroup_id_z 0
		.amdhsa_system_sgpr_workgroup_info 0
		.amdhsa_system_vgpr_workitem_id 0
		.amdhsa_next_free_vgpr 50
		.amdhsa_next_free_sgpr 16
		.amdhsa_reserve_vcc 1
		.amdhsa_reserve_flat_scratch 0
		.amdhsa_float_round_mode_32 0
		.amdhsa_float_round_mode_16_64 0
		.amdhsa_float_denorm_mode_32 3
		.amdhsa_float_denorm_mode_16_64 3
		.amdhsa_dx10_clamp 1
		.amdhsa_ieee_mode 1
		.amdhsa_fp16_overflow 0
		.amdhsa_exception_fp_ieee_invalid_op 0
		.amdhsa_exception_fp_denorm_src 0
		.amdhsa_exception_fp_ieee_div_zero 0
		.amdhsa_exception_fp_ieee_overflow 0
		.amdhsa_exception_fp_ieee_underflow 0
		.amdhsa_exception_fp_ieee_inexact 0
		.amdhsa_exception_int_div_zero 0
	.end_amdhsa_kernel
	.section	.text._ZN9rocsparseL19gebsrmvn_2xn_kernelILj128ELj8ELj8E21rocsparse_complex_numIdEEEvi20rocsparse_direction_NS_24const_host_device_scalarIT2_EEPKiS8_PKS5_SA_S6_PS5_21rocsparse_index_base_b,"axG",@progbits,_ZN9rocsparseL19gebsrmvn_2xn_kernelILj128ELj8ELj8E21rocsparse_complex_numIdEEEvi20rocsparse_direction_NS_24const_host_device_scalarIT2_EEPKiS8_PKS5_SA_S6_PS5_21rocsparse_index_base_b,comdat
.Lfunc_end259:
	.size	_ZN9rocsparseL19gebsrmvn_2xn_kernelILj128ELj8ELj8E21rocsparse_complex_numIdEEEvi20rocsparse_direction_NS_24const_host_device_scalarIT2_EEPKiS8_PKS5_SA_S6_PS5_21rocsparse_index_base_b, .Lfunc_end259-_ZN9rocsparseL19gebsrmvn_2xn_kernelILj128ELj8ELj8E21rocsparse_complex_numIdEEEvi20rocsparse_direction_NS_24const_host_device_scalarIT2_EEPKiS8_PKS5_SA_S6_PS5_21rocsparse_index_base_b
                                        ; -- End function
	.set _ZN9rocsparseL19gebsrmvn_2xn_kernelILj128ELj8ELj8E21rocsparse_complex_numIdEEEvi20rocsparse_direction_NS_24const_host_device_scalarIT2_EEPKiS8_PKS5_SA_S6_PS5_21rocsparse_index_base_b.num_vgpr, 50
	.set _ZN9rocsparseL19gebsrmvn_2xn_kernelILj128ELj8ELj8E21rocsparse_complex_numIdEEEvi20rocsparse_direction_NS_24const_host_device_scalarIT2_EEPKiS8_PKS5_SA_S6_PS5_21rocsparse_index_base_b.num_agpr, 0
	.set _ZN9rocsparseL19gebsrmvn_2xn_kernelILj128ELj8ELj8E21rocsparse_complex_numIdEEEvi20rocsparse_direction_NS_24const_host_device_scalarIT2_EEPKiS8_PKS5_SA_S6_PS5_21rocsparse_index_base_b.numbered_sgpr, 16
	.set _ZN9rocsparseL19gebsrmvn_2xn_kernelILj128ELj8ELj8E21rocsparse_complex_numIdEEEvi20rocsparse_direction_NS_24const_host_device_scalarIT2_EEPKiS8_PKS5_SA_S6_PS5_21rocsparse_index_base_b.num_named_barrier, 0
	.set _ZN9rocsparseL19gebsrmvn_2xn_kernelILj128ELj8ELj8E21rocsparse_complex_numIdEEEvi20rocsparse_direction_NS_24const_host_device_scalarIT2_EEPKiS8_PKS5_SA_S6_PS5_21rocsparse_index_base_b.private_seg_size, 0
	.set _ZN9rocsparseL19gebsrmvn_2xn_kernelILj128ELj8ELj8E21rocsparse_complex_numIdEEEvi20rocsparse_direction_NS_24const_host_device_scalarIT2_EEPKiS8_PKS5_SA_S6_PS5_21rocsparse_index_base_b.uses_vcc, 1
	.set _ZN9rocsparseL19gebsrmvn_2xn_kernelILj128ELj8ELj8E21rocsparse_complex_numIdEEEvi20rocsparse_direction_NS_24const_host_device_scalarIT2_EEPKiS8_PKS5_SA_S6_PS5_21rocsparse_index_base_b.uses_flat_scratch, 0
	.set _ZN9rocsparseL19gebsrmvn_2xn_kernelILj128ELj8ELj8E21rocsparse_complex_numIdEEEvi20rocsparse_direction_NS_24const_host_device_scalarIT2_EEPKiS8_PKS5_SA_S6_PS5_21rocsparse_index_base_b.has_dyn_sized_stack, 0
	.set _ZN9rocsparseL19gebsrmvn_2xn_kernelILj128ELj8ELj8E21rocsparse_complex_numIdEEEvi20rocsparse_direction_NS_24const_host_device_scalarIT2_EEPKiS8_PKS5_SA_S6_PS5_21rocsparse_index_base_b.has_recursion, 0
	.set _ZN9rocsparseL19gebsrmvn_2xn_kernelILj128ELj8ELj8E21rocsparse_complex_numIdEEEvi20rocsparse_direction_NS_24const_host_device_scalarIT2_EEPKiS8_PKS5_SA_S6_PS5_21rocsparse_index_base_b.has_indirect_call, 0
	.section	.AMDGPU.csdata,"",@progbits
; Kernel info:
; codeLenInByte = 2880
; TotalNumSgprs: 20
; NumVgprs: 50
; ScratchSize: 0
; MemoryBound: 1
; FloatMode: 240
; IeeeMode: 1
; LDSByteSize: 0 bytes/workgroup (compile time only)
; SGPRBlocks: 2
; VGPRBlocks: 12
; NumSGPRsForWavesPerEU: 20
; NumVGPRsForWavesPerEU: 50
; Occupancy: 4
; WaveLimiterHint : 1
; COMPUTE_PGM_RSRC2:SCRATCH_EN: 0
; COMPUTE_PGM_RSRC2:USER_SGPR: 6
; COMPUTE_PGM_RSRC2:TRAP_HANDLER: 0
; COMPUTE_PGM_RSRC2:TGID_X_EN: 1
; COMPUTE_PGM_RSRC2:TGID_Y_EN: 0
; COMPUTE_PGM_RSRC2:TGID_Z_EN: 0
; COMPUTE_PGM_RSRC2:TIDIG_COMP_CNT: 0
	.section	.text._ZN9rocsparseL19gebsrmvn_2xn_kernelILj128ELj8ELj16E21rocsparse_complex_numIdEEEvi20rocsparse_direction_NS_24const_host_device_scalarIT2_EEPKiS8_PKS5_SA_S6_PS5_21rocsparse_index_base_b,"axG",@progbits,_ZN9rocsparseL19gebsrmvn_2xn_kernelILj128ELj8ELj16E21rocsparse_complex_numIdEEEvi20rocsparse_direction_NS_24const_host_device_scalarIT2_EEPKiS8_PKS5_SA_S6_PS5_21rocsparse_index_base_b,comdat
	.globl	_ZN9rocsparseL19gebsrmvn_2xn_kernelILj128ELj8ELj16E21rocsparse_complex_numIdEEEvi20rocsparse_direction_NS_24const_host_device_scalarIT2_EEPKiS8_PKS5_SA_S6_PS5_21rocsparse_index_base_b ; -- Begin function _ZN9rocsparseL19gebsrmvn_2xn_kernelILj128ELj8ELj16E21rocsparse_complex_numIdEEEvi20rocsparse_direction_NS_24const_host_device_scalarIT2_EEPKiS8_PKS5_SA_S6_PS5_21rocsparse_index_base_b
	.p2align	8
	.type	_ZN9rocsparseL19gebsrmvn_2xn_kernelILj128ELj8ELj16E21rocsparse_complex_numIdEEEvi20rocsparse_direction_NS_24const_host_device_scalarIT2_EEPKiS8_PKS5_SA_S6_PS5_21rocsparse_index_base_b,@function
_ZN9rocsparseL19gebsrmvn_2xn_kernelILj128ELj8ELj16E21rocsparse_complex_numIdEEEvi20rocsparse_direction_NS_24const_host_device_scalarIT2_EEPKiS8_PKS5_SA_S6_PS5_21rocsparse_index_base_b: ; @_ZN9rocsparseL19gebsrmvn_2xn_kernelILj128ELj8ELj16E21rocsparse_complex_numIdEEEvi20rocsparse_direction_NS_24const_host_device_scalarIT2_EEPKiS8_PKS5_SA_S6_PS5_21rocsparse_index_base_b
; %bb.0:
	s_load_dwordx2 s[0:1], s[4:5], 0x8
	s_load_dwordx2 s[8:9], s[4:5], 0x38
	;; [unrolled: 1-line block ×3, first 2 shown]
	s_add_u32 s7, s4, 8
	s_addc_u32 s10, s5, 0
	s_add_u32 s11, s4, 56
	s_addc_u32 s12, s5, 0
	s_waitcnt lgkmcnt(0)
	s_bitcmp1_b32 s3, 0
	s_cselect_b32 s1, s10, s1
	s_cselect_b32 s0, s7, s0
	v_mov_b32_e32 v1, s0
	v_mov_b32_e32 v2, s1
	flat_load_dwordx4 v[1:4], v[1:2]
	s_cselect_b32 s0, s12, s9
	s_cselect_b32 s1, s11, s8
	v_mov_b32_e32 v5, s1
	v_mov_b32_e32 v6, s0
	flat_load_dwordx4 v[5:8], v[5:6]
	s_waitcnt vmcnt(0) lgkmcnt(0)
	v_cmp_eq_f64_e32 vcc, 0, v[1:2]
	v_cmp_eq_f64_e64 s[0:1], 0, v[3:4]
	s_and_b64 s[10:11], vcc, s[0:1]
	s_mov_b64 s[0:1], -1
	s_and_saveexec_b64 s[8:9], s[10:11]
	s_cbranch_execz .LBB260_2
; %bb.1:
	v_cmp_neq_f64_e32 vcc, 1.0, v[5:6]
	v_cmp_neq_f64_e64 s[0:1], 0, v[7:8]
	s_or_b64 s[0:1], vcc, s[0:1]
	s_orn2_b64 s[0:1], s[0:1], exec
.LBB260_2:
	s_or_b64 exec, exec, s[8:9]
	s_and_saveexec_b64 s[8:9], s[0:1]
	s_cbranch_execz .LBB260_21
; %bb.3:
	s_load_dwordx2 s[0:1], s[4:5], 0x0
	v_lshrrev_b32_e32 v9, 4, v0
	v_lshl_or_b32 v9, s6, 3, v9
	s_waitcnt lgkmcnt(0)
	v_cmp_gt_i32_e32 vcc, s0, v9
	s_and_b64 exec, exec, vcc
	s_cbranch_execz .LBB260_21
; %bb.4:
	s_load_dwordx8 s[8:15], s[4:5], 0x18
	v_ashrrev_i32_e32 v10, 31, v9
	v_lshlrev_b64 v[10:11], 2, v[9:10]
	v_and_b32_e32 v0, 15, v0
	s_cmp_lg_u32 s1, 0
	s_waitcnt lgkmcnt(0)
	v_mov_b32_e32 v12, s9
	v_add_co_u32_e32 v10, vcc, s8, v10
	v_addc_co_u32_e32 v11, vcc, v12, v11, vcc
	global_load_dwordx2 v[10:11], v[10:11], off
	s_waitcnt vmcnt(0)
	v_subrev_u32_e32 v10, s2, v10
	v_subrev_u32_e32 v23, s2, v11
	v_add_u32_e32 v10, v10, v0
	v_cmp_lt_i32_e64 s[0:1], v10, v23
	s_cbranch_scc0 .LBB260_10
; %bb.5:
	v_mov_b32_e32 v19, 0
	v_mov_b32_e32 v21, 0
	;; [unrolled: 1-line block ×8, first 2 shown]
	s_and_saveexec_b64 s[6:7], s[0:1]
	s_cbranch_execz .LBB260_9
; %bb.6:
	v_mov_b32_e32 v19, 0
	v_mov_b32_e32 v21, 0
	;; [unrolled: 1-line block ×4, first 2 shown]
	v_lshlrev_b32_e32 v11, 4, v10
	v_mov_b32_e32 v20, 0
	s_mov_b64 s[8:9], 0
	v_mov_b32_e32 v24, s11
	v_mov_b32_e32 v12, 0
	;; [unrolled: 1-line block ×8, first 2 shown]
.LBB260_7:                              ; =>This Inner Loop Header: Depth=1
	v_lshlrev_b64 v[27:28], 4, v[11:12]
	v_ashrrev_i32_e32 v14, 31, v13
	v_lshlrev_b64 v[29:30], 2, v[13:14]
	v_add_co_u32_e32 v35, vcc, s12, v27
	v_addc_co_u32_e32 v36, vcc, v25, v28, vcc
	v_add_co_u32_e32 v33, vcc, s10, v29
	v_addc_co_u32_e32 v34, vcc, v24, v30, vcc
	global_load_dwordx4 v[27:30], v[35:36], off
	global_load_dword v14, v[33:34], off
	v_mov_b32_e32 v32, v12
	v_add_u32_e32 v13, 16, v13
	v_add_u32_e32 v11, 0x100, v11
	s_waitcnt vmcnt(0)
	v_subrev_u32_e32 v14, s2, v14
	v_lshlrev_b32_e32 v31, 3, v14
	v_lshlrev_b64 v[31:32], 4, v[31:32]
	v_add_co_u32_e32 v37, vcc, s14, v31
	v_addc_co_u32_e32 v38, vcc, v26, v32, vcc
	global_load_dwordx4 v[31:34], v[37:38], off
	v_cmp_ge_i32_e32 vcc, v13, v23
	s_or_b64 s[8:9], vcc, s[8:9]
	s_waitcnt vmcnt(0)
	v_fma_f64 v[21:22], v[27:28], v[31:32], v[21:22]
	v_fma_f64 v[19:20], v[29:30], v[31:32], v[19:20]
	v_fma_f64 v[29:30], -v[29:30], v[33:34], v[21:22]
	v_fma_f64 v[27:28], v[27:28], v[33:34], v[19:20]
	global_load_dwordx4 v[19:22], v[35:36], off offset:16
	s_waitcnt vmcnt(0)
	v_fma_f64 v[14:15], v[19:20], v[31:32], v[15:16]
	v_fma_f64 v[16:17], v[21:22], v[31:32], v[17:18]
	v_fma_f64 v[31:32], -v[21:22], v[33:34], v[14:15]
	v_fma_f64 v[33:34], v[19:20], v[33:34], v[16:17]
	global_load_dwordx4 v[14:17], v[35:36], off offset:32
	global_load_dwordx4 v[18:21], v[37:38], off offset:16
	s_waitcnt vmcnt(0)
	v_fma_f64 v[29:30], v[14:15], v[18:19], v[29:30]
	v_fma_f64 v[27:28], v[16:17], v[18:19], v[27:28]
	v_fma_f64 v[29:30], -v[16:17], v[20:21], v[29:30]
	v_fma_f64 v[27:28], v[14:15], v[20:21], v[27:28]
	global_load_dwordx4 v[14:17], v[35:36], off offset:48
	s_waitcnt vmcnt(0)
	v_fma_f64 v[31:32], v[14:15], v[18:19], v[31:32]
	v_fma_f64 v[18:19], v[16:17], v[18:19], v[33:34]
	v_fma_f64 v[31:32], -v[16:17], v[20:21], v[31:32]
	v_fma_f64 v[33:34], v[14:15], v[20:21], v[18:19]
	global_load_dwordx4 v[14:17], v[35:36], off offset:64
	global_load_dwordx4 v[18:21], v[37:38], off offset:32
	;; [unrolled: 13-line block ×7, first 2 shown]
	global_load_dwordx4 v[31:34], v[37:38], off offset:112
	s_waitcnt vmcnt(0)
	v_fma_f64 v[20:21], v[14:15], v[31:32], v[39:40]
	v_fma_f64 v[35:36], v[16:17], v[31:32], v[41:42]
	v_fma_f64 v[37:38], v[27:28], v[31:32], v[43:44]
	v_fma_f64 v[31:32], v[29:30], v[31:32], v[18:19]
	v_fma_f64 v[21:22], -v[16:17], v[33:34], v[20:21]
	v_fma_f64 v[19:20], v[14:15], v[33:34], v[35:36]
	v_fma_f64 v[15:16], -v[29:30], v[33:34], v[37:38]
	v_fma_f64 v[17:18], v[27:28], v[33:34], v[31:32]
	s_andn2_b64 exec, exec, s[8:9]
	s_cbranch_execnz .LBB260_7
; %bb.8:
	s_or_b64 exec, exec, s[8:9]
.LBB260_9:
	s_or_b64 exec, exec, s[6:7]
	s_cbranch_execz .LBB260_11
	s_branch .LBB260_16
.LBB260_10:
                                        ; implicit-def: $vgpr19_vgpr20
                                        ; implicit-def: $vgpr21_vgpr22
                                        ; implicit-def: $vgpr15_vgpr16
                                        ; implicit-def: $vgpr17_vgpr18
.LBB260_11:
	v_mov_b32_e32 v19, 0
	v_mov_b32_e32 v21, 0
	v_mov_b32_e32 v15, 0
	v_mov_b32_e32 v17, 0
	v_mov_b32_e32 v20, 0
	v_mov_b32_e32 v22, 0
	v_mov_b32_e32 v16, 0
	v_mov_b32_e32 v18, 0
	s_and_saveexec_b64 s[6:7], s[0:1]
	s_cbranch_execz .LBB260_15
; %bb.12:
	v_mov_b32_e32 v19, 0
	v_mov_b32_e32 v21, 0
	;; [unrolled: 1-line block ×4, first 2 shown]
	v_lshlrev_b32_e32 v12, 4, v10
	v_mov_b32_e32 v20, 0
	s_mov_b64 s[0:1], 0
	v_mov_b32_e32 v14, s11
	v_mov_b32_e32 v13, 0
	;; [unrolled: 1-line block ×7, first 2 shown]
.LBB260_13:                             ; =>This Inner Loop Header: Depth=1
	v_lshlrev_b64 v[26:27], 4, v[12:13]
	v_ashrrev_i32_e32 v11, 31, v10
	v_lshlrev_b64 v[28:29], 2, v[10:11]
	v_add_co_u32_e32 v42, vcc, s12, v26
	v_addc_co_u32_e32 v43, vcc, v24, v27, vcc
	v_add_co_u32_e32 v36, vcc, s10, v28
	v_addc_co_u32_e32 v37, vcc, v14, v29, vcc
	global_load_dwordx4 v[26:29], v[42:43], off
	global_load_dwordx4 v[30:33], v[42:43], off offset:16
	global_load_dword v11, v[36:37], off
	v_mov_b32_e32 v35, v13
	v_add_u32_e32 v10, 16, v10
	v_add_u32_e32 v12, 0x100, v12
	s_waitcnt vmcnt(0)
	v_subrev_u32_e32 v11, s2, v11
	v_lshlrev_b32_e32 v34, 3, v11
	v_lshlrev_b64 v[34:35], 4, v[34:35]
	v_add_co_u32_e32 v44, vcc, s14, v34
	v_addc_co_u32_e32 v45, vcc, v25, v35, vcc
	global_load_dwordx4 v[34:37], v[44:45], off
	global_load_dwordx4 v[38:41], v[44:45], off offset:16
	v_cmp_ge_i32_e32 vcc, v10, v23
	s_or_b64 s[0:1], vcc, s[0:1]
	s_waitcnt vmcnt(1)
	v_fma_f64 v[21:22], v[26:27], v[34:35], v[21:22]
	v_fma_f64 v[19:20], v[28:29], v[34:35], v[19:20]
	v_fma_f64 v[46:47], -v[28:29], v[36:37], v[21:22]
	v_fma_f64 v[48:49], v[26:27], v[36:37], v[19:20]
	global_load_dwordx4 v[19:22], v[42:43], off offset:128
	global_load_dwordx4 v[26:29], v[42:43], off offset:144
	s_waitcnt vmcnt(1)
	v_fma_f64 v[15:16], v[19:20], v[34:35], v[15:16]
	v_fma_f64 v[17:18], v[21:22], v[34:35], v[17:18]
	v_fma_f64 v[34:35], -v[21:22], v[36:37], v[15:16]
	v_fma_f64 v[36:37], v[19:20], v[36:37], v[17:18]
	v_fma_f64 v[19:20], v[30:31], v[38:39], v[46:47]
	;; [unrolled: 1-line block ×3, first 2 shown]
	global_load_dwordx4 v[15:18], v[42:43], off offset:32
	v_fma_f64 v[46:47], -v[32:33], v[40:41], v[19:20]
	v_fma_f64 v[48:49], v[30:31], v[40:41], v[21:22]
	s_waitcnt vmcnt(1)
	v_fma_f64 v[30:31], v[26:27], v[38:39], v[34:35]
	v_fma_f64 v[32:33], v[28:29], v[38:39], v[36:37]
	global_load_dwordx4 v[19:22], v[42:43], off offset:48
	v_fma_f64 v[38:39], -v[28:29], v[40:41], v[30:31]
	v_fma_f64 v[40:41], v[26:27], v[40:41], v[32:33]
	global_load_dwordx4 v[26:29], v[44:45], off offset:32
	global_load_dwordx4 v[30:33], v[44:45], off offset:48
	s_waitcnt vmcnt(1)
	v_fma_f64 v[34:35], v[15:16], v[26:27], v[46:47]
	v_fma_f64 v[36:37], v[17:18], v[26:27], v[48:49]
	v_fma_f64 v[46:47], -v[17:18], v[28:29], v[34:35]
	v_fma_f64 v[48:49], v[15:16], v[28:29], v[36:37]
	global_load_dwordx4 v[15:18], v[42:43], off offset:160
	global_load_dwordx4 v[34:37], v[42:43], off offset:176
	s_waitcnt vmcnt(1)
	v_fma_f64 v[38:39], v[15:16], v[26:27], v[38:39]
	v_fma_f64 v[26:27], v[17:18], v[26:27], v[40:41]
	;; [unrolled: 1-line block ×3, first 2 shown]
	v_fma_f64 v[38:39], -v[17:18], v[28:29], v[38:39]
	v_fma_f64 v[26:27], v[15:16], v[28:29], v[26:27]
	v_fma_f64 v[28:29], v[19:20], v[30:31], v[46:47]
	global_load_dwordx4 v[15:18], v[42:43], off offset:64
	v_fma_f64 v[40:41], v[19:20], v[32:33], v[40:41]
	s_waitcnt vmcnt(1)
	v_fma_f64 v[26:27], v[36:37], v[30:31], v[26:27]
	v_fma_f64 v[46:47], -v[21:22], v[32:33], v[28:29]
	v_fma_f64 v[28:29], v[34:35], v[30:31], v[38:39]
	global_load_dwordx4 v[19:22], v[42:43], off offset:80
	v_fma_f64 v[48:49], v[34:35], v[32:33], v[26:27]
	v_fma_f64 v[38:39], -v[36:37], v[32:33], v[28:29]
	global_load_dwordx4 v[26:29], v[44:45], off offset:64
	global_load_dwordx4 v[30:33], v[44:45], off offset:80
	s_waitcnt vmcnt(1)
	v_fma_f64 v[34:35], v[15:16], v[26:27], v[46:47]
	v_fma_f64 v[36:37], v[17:18], v[26:27], v[40:41]
	v_fma_f64 v[40:41], -v[17:18], v[28:29], v[34:35]
	v_fma_f64 v[46:47], v[15:16], v[28:29], v[36:37]
	global_load_dwordx4 v[15:18], v[42:43], off offset:192
	global_load_dwordx4 v[34:37], v[42:43], off offset:208
	s_waitcnt vmcnt(1)
	v_fma_f64 v[38:39], v[15:16], v[26:27], v[38:39]
	v_fma_f64 v[26:27], v[17:18], v[26:27], v[48:49]
	v_fma_f64 v[38:39], -v[17:18], v[28:29], v[38:39]
	v_fma_f64 v[26:27], v[15:16], v[28:29], v[26:27]
	v_fma_f64 v[28:29], v[19:20], v[30:31], v[40:41]
	;; [unrolled: 1-line block ×3, first 2 shown]
	global_load_dwordx4 v[15:18], v[42:43], off offset:96
	s_waitcnt vmcnt(1)
	v_fma_f64 v[26:27], v[36:37], v[30:31], v[26:27]
	v_fma_f64 v[46:47], -v[21:22], v[32:33], v[28:29]
	v_fma_f64 v[28:29], v[34:35], v[30:31], v[38:39]
	v_fma_f64 v[40:41], v[19:20], v[32:33], v[40:41]
	global_load_dwordx4 v[19:22], v[42:43], off offset:112
	v_fma_f64 v[48:49], v[34:35], v[32:33], v[26:27]
	v_fma_f64 v[38:39], -v[36:37], v[32:33], v[28:29]
	global_load_dwordx4 v[26:29], v[44:45], off offset:96
	global_load_dwordx4 v[30:33], v[44:45], off offset:112
	s_waitcnt vmcnt(1)
	v_fma_f64 v[34:35], v[15:16], v[26:27], v[46:47]
	v_fma_f64 v[36:37], v[17:18], v[26:27], v[40:41]
	v_fma_f64 v[40:41], -v[17:18], v[28:29], v[34:35]
	v_fma_f64 v[44:45], v[15:16], v[28:29], v[36:37]
	global_load_dwordx4 v[15:18], v[42:43], off offset:224
	global_load_dwordx4 v[34:37], v[42:43], off offset:240
	s_waitcnt vmcnt(1)
	v_fma_f64 v[38:39], v[15:16], v[26:27], v[38:39]
	v_fma_f64 v[26:27], v[17:18], v[26:27], v[48:49]
	v_fma_f64 v[17:18], -v[17:18], v[28:29], v[38:39]
	v_fma_f64 v[15:16], v[15:16], v[28:29], v[26:27]
	v_fma_f64 v[26:27], v[19:20], v[30:31], v[40:41]
	;; [unrolled: 1-line block ×3, first 2 shown]
	s_waitcnt vmcnt(0)
	v_fma_f64 v[17:18], v[34:35], v[30:31], v[17:18]
	v_fma_f64 v[30:31], v[36:37], v[30:31], v[15:16]
	v_fma_f64 v[21:22], -v[21:22], v[32:33], v[26:27]
	v_fma_f64 v[19:20], v[19:20], v[32:33], v[28:29]
	v_fma_f64 v[15:16], -v[36:37], v[32:33], v[17:18]
	v_fma_f64 v[17:18], v[34:35], v[32:33], v[30:31]
	s_andn2_b64 exec, exec, s[0:1]
	s_cbranch_execnz .LBB260_13
; %bb.14:
	s_or_b64 exec, exec, s[0:1]
.LBB260_15:
	s_or_b64 exec, exec, s[6:7]
.LBB260_16:
	v_mov_b32_dpp v10, v21 row_shr:1 row_mask:0xf bank_mask:0xf
	v_mov_b32_dpp v11, v22 row_shr:1 row_mask:0xf bank_mask:0xf
	v_add_f64 v[10:11], v[21:22], v[10:11]
	v_mov_b32_dpp v12, v19 row_shr:1 row_mask:0xf bank_mask:0xf
	v_mov_b32_dpp v13, v20 row_shr:1 row_mask:0xf bank_mask:0xf
	;; [unrolled: 1-line block ×3, first 2 shown]
	v_add_f64 v[12:13], v[19:20], v[12:13]
	v_mov_b32_dpp v22, v16 row_shr:1 row_mask:0xf bank_mask:0xf
	v_mov_b32_dpp v14, v17 row_shr:1 row_mask:0xf bank_mask:0xf
	v_cmp_eq_u32_e32 vcc, 15, v0
	v_mov_b32_dpp v19, v10 row_shr:2 row_mask:0xf bank_mask:0xf
	v_mov_b32_dpp v20, v11 row_shr:2 row_mask:0xf bank_mask:0xf
	v_add_f64 v[10:11], v[10:11], v[19:20]
	v_add_f64 v[19:20], v[15:16], v[21:22]
	v_mov_b32_dpp v15, v18 row_shr:1 row_mask:0xf bank_mask:0xf
	v_add_f64 v[14:15], v[17:18], v[14:15]
	v_mov_b32_dpp v16, v12 row_shr:2 row_mask:0xf bank_mask:0xf
	v_mov_b32_dpp v17, v13 row_shr:2 row_mask:0xf bank_mask:0xf
	v_add_f64 v[12:13], v[12:13], v[16:17]
	v_mov_b32_dpp v21, v10 row_shr:4 row_mask:0xf bank_mask:0xe
	v_mov_b32_dpp v16, v19 row_shr:2 row_mask:0xf bank_mask:0xf
	;; [unrolled: 1-line block ×3, first 2 shown]
	v_add_f64 v[16:17], v[19:20], v[16:17]
	v_mov_b32_dpp v18, v14 row_shr:2 row_mask:0xf bank_mask:0xf
	v_mov_b32_dpp v19, v15 row_shr:2 row_mask:0xf bank_mask:0xf
	v_add_f64 v[14:15], v[14:15], v[18:19]
	v_mov_b32_dpp v18, v12 row_shr:4 row_mask:0xf bank_mask:0xe
	v_mov_b32_dpp v19, v13 row_shr:4 row_mask:0xf bank_mask:0xe
	;; [unrolled: 3-line block ×3, first 2 shown]
	v_mov_b32_dpp v19, v17 row_shr:4 row_mask:0xf bank_mask:0xe
	v_add_f64 v[18:19], v[16:17], v[18:19]
	v_mov_b32_dpp v16, v14 row_shr:4 row_mask:0xf bank_mask:0xe
	v_mov_b32_dpp v17, v15 row_shr:4 row_mask:0xf bank_mask:0xe
	v_add_f64 v[10:11], v[10:11], v[21:22]
	v_add_f64 v[14:15], v[14:15], v[16:17]
	v_mov_b32_dpp v16, v12 row_shr:8 row_mask:0xf bank_mask:0xc
	v_mov_b32_dpp v17, v13 row_shr:8 row_mask:0xf bank_mask:0xc
	;; [unrolled: 1-line block ×8, first 2 shown]
	s_and_b64 exec, exec, vcc
	s_cbranch_execz .LBB260_21
; %bb.17:
	v_cmp_eq_f64_e32 vcc, 0, v[5:6]
	v_cmp_eq_f64_e64 s[0:1], 0, v[7:8]
	v_add_f64 v[10:11], v[10:11], v[24:25]
	v_add_f64 v[16:17], v[12:13], v[16:17]
	;; [unrolled: 1-line block ×4, first 2 shown]
	s_load_dwordx2 s[2:3], s[4:5], 0x48
	s_and_b64 s[0:1], vcc, s[0:1]
	s_and_saveexec_b64 s[4:5], s[0:1]
	s_xor_b64 s[0:1], exec, s[4:5]
	s_cbranch_execz .LBB260_19
; %bb.18:
	v_mul_f64 v[5:6], v[16:17], -v[3:4]
	v_mul_f64 v[7:8], v[1:2], v[16:17]
	v_mul_f64 v[16:17], v[14:15], -v[3:4]
	v_mul_f64 v[14:15], v[1:2], v[14:15]
	v_lshlrev_b32_e32 v9, 1, v9
	s_waitcnt lgkmcnt(0)
	v_mov_b32_e32 v18, s3
	v_fma_f64 v[5:6], v[1:2], v[10:11], v[5:6]
	v_fma_f64 v[7:8], v[3:4], v[10:11], v[7:8]
	;; [unrolled: 1-line block ×4, first 2 shown]
	v_ashrrev_i32_e32 v10, 31, v9
	v_lshlrev_b64 v[9:10], 4, v[9:10]
                                        ; implicit-def: $vgpr16_vgpr17
                                        ; implicit-def: $vgpr12_vgpr13
                                        ; implicit-def: $vgpr14_vgpr15
	v_add_co_u32_e32 v9, vcc, s2, v9
	v_addc_co_u32_e32 v10, vcc, v18, v10, vcc
	global_store_dwordx4 v[9:10], v[5:8], off
	global_store_dwordx4 v[9:10], v[0:3], off offset:16
                                        ; implicit-def: $vgpr9
                                        ; implicit-def: $vgpr10_vgpr11
                                        ; implicit-def: $vgpr7_vgpr8
                                        ; implicit-def: $vgpr3_vgpr4
.LBB260_19:
	s_andn2_saveexec_b64 s[0:1], s[0:1]
	s_cbranch_execz .LBB260_21
; %bb.20:
	v_lshlrev_b32_e32 v18, 1, v9
	v_ashrrev_i32_e32 v19, 31, v18
	v_lshlrev_b64 v[18:19], 4, v[18:19]
	s_waitcnt lgkmcnt(0)
	v_mov_b32_e32 v0, s3
	v_add_co_u32_e32 v26, vcc, s2, v18
	v_addc_co_u32_e32 v27, vcc, v0, v19, vcc
	global_load_dwordx4 v[18:21], v[26:27], off
	global_load_dwordx4 v[22:25], v[26:27], off offset:16
	v_mul_f64 v[28:29], v[16:17], -v[3:4]
	v_mul_f64 v[16:17], v[1:2], v[16:17]
	v_mul_f64 v[30:31], v[14:15], -v[3:4]
	v_mul_f64 v[14:15], v[1:2], v[14:15]
	v_fma_f64 v[28:29], v[1:2], v[10:11], v[28:29]
	v_fma_f64 v[9:10], v[3:4], v[10:11], v[16:17]
	;; [unrolled: 1-line block ×4, first 2 shown]
	s_waitcnt vmcnt(1)
	v_fma_f64 v[11:12], v[5:6], v[18:19], v[28:29]
	v_fma_f64 v[9:10], v[7:8], v[18:19], v[9:10]
	s_waitcnt vmcnt(0)
	v_fma_f64 v[13:14], v[5:6], v[22:23], v[0:1]
	v_fma_f64 v[15:16], v[7:8], v[22:23], v[2:3]
	v_fma_f64 v[0:1], -v[7:8], v[20:21], v[11:12]
	v_fma_f64 v[2:3], v[5:6], v[20:21], v[9:10]
	v_fma_f64 v[7:8], -v[7:8], v[24:25], v[13:14]
	v_fma_f64 v[9:10], v[5:6], v[24:25], v[15:16]
	global_store_dwordx4 v[26:27], v[0:3], off
	global_store_dwordx4 v[26:27], v[7:10], off offset:16
.LBB260_21:
	s_endpgm
	.section	.rodata,"a",@progbits
	.p2align	6, 0x0
	.amdhsa_kernel _ZN9rocsparseL19gebsrmvn_2xn_kernelILj128ELj8ELj16E21rocsparse_complex_numIdEEEvi20rocsparse_direction_NS_24const_host_device_scalarIT2_EEPKiS8_PKS5_SA_S6_PS5_21rocsparse_index_base_b
		.amdhsa_group_segment_fixed_size 0
		.amdhsa_private_segment_fixed_size 0
		.amdhsa_kernarg_size 88
		.amdhsa_user_sgpr_count 6
		.amdhsa_user_sgpr_private_segment_buffer 1
		.amdhsa_user_sgpr_dispatch_ptr 0
		.amdhsa_user_sgpr_queue_ptr 0
		.amdhsa_user_sgpr_kernarg_segment_ptr 1
		.amdhsa_user_sgpr_dispatch_id 0
		.amdhsa_user_sgpr_flat_scratch_init 0
		.amdhsa_user_sgpr_private_segment_size 0
		.amdhsa_uses_dynamic_stack 0
		.amdhsa_system_sgpr_private_segment_wavefront_offset 0
		.amdhsa_system_sgpr_workgroup_id_x 1
		.amdhsa_system_sgpr_workgroup_id_y 0
		.amdhsa_system_sgpr_workgroup_id_z 0
		.amdhsa_system_sgpr_workgroup_info 0
		.amdhsa_system_vgpr_workitem_id 0
		.amdhsa_next_free_vgpr 50
		.amdhsa_next_free_sgpr 16
		.amdhsa_reserve_vcc 1
		.amdhsa_reserve_flat_scratch 0
		.amdhsa_float_round_mode_32 0
		.amdhsa_float_round_mode_16_64 0
		.amdhsa_float_denorm_mode_32 3
		.amdhsa_float_denorm_mode_16_64 3
		.amdhsa_dx10_clamp 1
		.amdhsa_ieee_mode 1
		.amdhsa_fp16_overflow 0
		.amdhsa_exception_fp_ieee_invalid_op 0
		.amdhsa_exception_fp_denorm_src 0
		.amdhsa_exception_fp_ieee_div_zero 0
		.amdhsa_exception_fp_ieee_overflow 0
		.amdhsa_exception_fp_ieee_underflow 0
		.amdhsa_exception_fp_ieee_inexact 0
		.amdhsa_exception_int_div_zero 0
	.end_amdhsa_kernel
	.section	.text._ZN9rocsparseL19gebsrmvn_2xn_kernelILj128ELj8ELj16E21rocsparse_complex_numIdEEEvi20rocsparse_direction_NS_24const_host_device_scalarIT2_EEPKiS8_PKS5_SA_S6_PS5_21rocsparse_index_base_b,"axG",@progbits,_ZN9rocsparseL19gebsrmvn_2xn_kernelILj128ELj8ELj16E21rocsparse_complex_numIdEEEvi20rocsparse_direction_NS_24const_host_device_scalarIT2_EEPKiS8_PKS5_SA_S6_PS5_21rocsparse_index_base_b,comdat
.Lfunc_end260:
	.size	_ZN9rocsparseL19gebsrmvn_2xn_kernelILj128ELj8ELj16E21rocsparse_complex_numIdEEEvi20rocsparse_direction_NS_24const_host_device_scalarIT2_EEPKiS8_PKS5_SA_S6_PS5_21rocsparse_index_base_b, .Lfunc_end260-_ZN9rocsparseL19gebsrmvn_2xn_kernelILj128ELj8ELj16E21rocsparse_complex_numIdEEEvi20rocsparse_direction_NS_24const_host_device_scalarIT2_EEPKiS8_PKS5_SA_S6_PS5_21rocsparse_index_base_b
                                        ; -- End function
	.set _ZN9rocsparseL19gebsrmvn_2xn_kernelILj128ELj8ELj16E21rocsparse_complex_numIdEEEvi20rocsparse_direction_NS_24const_host_device_scalarIT2_EEPKiS8_PKS5_SA_S6_PS5_21rocsparse_index_base_b.num_vgpr, 50
	.set _ZN9rocsparseL19gebsrmvn_2xn_kernelILj128ELj8ELj16E21rocsparse_complex_numIdEEEvi20rocsparse_direction_NS_24const_host_device_scalarIT2_EEPKiS8_PKS5_SA_S6_PS5_21rocsparse_index_base_b.num_agpr, 0
	.set _ZN9rocsparseL19gebsrmvn_2xn_kernelILj128ELj8ELj16E21rocsparse_complex_numIdEEEvi20rocsparse_direction_NS_24const_host_device_scalarIT2_EEPKiS8_PKS5_SA_S6_PS5_21rocsparse_index_base_b.numbered_sgpr, 16
	.set _ZN9rocsparseL19gebsrmvn_2xn_kernelILj128ELj8ELj16E21rocsparse_complex_numIdEEEvi20rocsparse_direction_NS_24const_host_device_scalarIT2_EEPKiS8_PKS5_SA_S6_PS5_21rocsparse_index_base_b.num_named_barrier, 0
	.set _ZN9rocsparseL19gebsrmvn_2xn_kernelILj128ELj8ELj16E21rocsparse_complex_numIdEEEvi20rocsparse_direction_NS_24const_host_device_scalarIT2_EEPKiS8_PKS5_SA_S6_PS5_21rocsparse_index_base_b.private_seg_size, 0
	.set _ZN9rocsparseL19gebsrmvn_2xn_kernelILj128ELj8ELj16E21rocsparse_complex_numIdEEEvi20rocsparse_direction_NS_24const_host_device_scalarIT2_EEPKiS8_PKS5_SA_S6_PS5_21rocsparse_index_base_b.uses_vcc, 1
	.set _ZN9rocsparseL19gebsrmvn_2xn_kernelILj128ELj8ELj16E21rocsparse_complex_numIdEEEvi20rocsparse_direction_NS_24const_host_device_scalarIT2_EEPKiS8_PKS5_SA_S6_PS5_21rocsparse_index_base_b.uses_flat_scratch, 0
	.set _ZN9rocsparseL19gebsrmvn_2xn_kernelILj128ELj8ELj16E21rocsparse_complex_numIdEEEvi20rocsparse_direction_NS_24const_host_device_scalarIT2_EEPKiS8_PKS5_SA_S6_PS5_21rocsparse_index_base_b.has_dyn_sized_stack, 0
	.set _ZN9rocsparseL19gebsrmvn_2xn_kernelILj128ELj8ELj16E21rocsparse_complex_numIdEEEvi20rocsparse_direction_NS_24const_host_device_scalarIT2_EEPKiS8_PKS5_SA_S6_PS5_21rocsparse_index_base_b.has_recursion, 0
	.set _ZN9rocsparseL19gebsrmvn_2xn_kernelILj128ELj8ELj16E21rocsparse_complex_numIdEEEvi20rocsparse_direction_NS_24const_host_device_scalarIT2_EEPKiS8_PKS5_SA_S6_PS5_21rocsparse_index_base_b.has_indirect_call, 0
	.section	.AMDGPU.csdata,"",@progbits
; Kernel info:
; codeLenInByte = 2976
; TotalNumSgprs: 20
; NumVgprs: 50
; ScratchSize: 0
; MemoryBound: 1
; FloatMode: 240
; IeeeMode: 1
; LDSByteSize: 0 bytes/workgroup (compile time only)
; SGPRBlocks: 2
; VGPRBlocks: 12
; NumSGPRsForWavesPerEU: 20
; NumVGPRsForWavesPerEU: 50
; Occupancy: 4
; WaveLimiterHint : 1
; COMPUTE_PGM_RSRC2:SCRATCH_EN: 0
; COMPUTE_PGM_RSRC2:USER_SGPR: 6
; COMPUTE_PGM_RSRC2:TRAP_HANDLER: 0
; COMPUTE_PGM_RSRC2:TGID_X_EN: 1
; COMPUTE_PGM_RSRC2:TGID_Y_EN: 0
; COMPUTE_PGM_RSRC2:TGID_Z_EN: 0
; COMPUTE_PGM_RSRC2:TIDIG_COMP_CNT: 0
	.section	.text._ZN9rocsparseL19gebsrmvn_2xn_kernelILj128ELj8ELj32E21rocsparse_complex_numIdEEEvi20rocsparse_direction_NS_24const_host_device_scalarIT2_EEPKiS8_PKS5_SA_S6_PS5_21rocsparse_index_base_b,"axG",@progbits,_ZN9rocsparseL19gebsrmvn_2xn_kernelILj128ELj8ELj32E21rocsparse_complex_numIdEEEvi20rocsparse_direction_NS_24const_host_device_scalarIT2_EEPKiS8_PKS5_SA_S6_PS5_21rocsparse_index_base_b,comdat
	.globl	_ZN9rocsparseL19gebsrmvn_2xn_kernelILj128ELj8ELj32E21rocsparse_complex_numIdEEEvi20rocsparse_direction_NS_24const_host_device_scalarIT2_EEPKiS8_PKS5_SA_S6_PS5_21rocsparse_index_base_b ; -- Begin function _ZN9rocsparseL19gebsrmvn_2xn_kernelILj128ELj8ELj32E21rocsparse_complex_numIdEEEvi20rocsparse_direction_NS_24const_host_device_scalarIT2_EEPKiS8_PKS5_SA_S6_PS5_21rocsparse_index_base_b
	.p2align	8
	.type	_ZN9rocsparseL19gebsrmvn_2xn_kernelILj128ELj8ELj32E21rocsparse_complex_numIdEEEvi20rocsparse_direction_NS_24const_host_device_scalarIT2_EEPKiS8_PKS5_SA_S6_PS5_21rocsparse_index_base_b,@function
_ZN9rocsparseL19gebsrmvn_2xn_kernelILj128ELj8ELj32E21rocsparse_complex_numIdEEEvi20rocsparse_direction_NS_24const_host_device_scalarIT2_EEPKiS8_PKS5_SA_S6_PS5_21rocsparse_index_base_b: ; @_ZN9rocsparseL19gebsrmvn_2xn_kernelILj128ELj8ELj32E21rocsparse_complex_numIdEEEvi20rocsparse_direction_NS_24const_host_device_scalarIT2_EEPKiS8_PKS5_SA_S6_PS5_21rocsparse_index_base_b
; %bb.0:
	s_load_dwordx2 s[0:1], s[4:5], 0x8
	s_load_dwordx2 s[8:9], s[4:5], 0x38
	;; [unrolled: 1-line block ×3, first 2 shown]
	s_add_u32 s7, s4, 8
	s_addc_u32 s10, s5, 0
	s_add_u32 s11, s4, 56
	s_addc_u32 s12, s5, 0
	s_waitcnt lgkmcnt(0)
	s_bitcmp1_b32 s3, 0
	s_cselect_b32 s1, s10, s1
	s_cselect_b32 s0, s7, s0
	v_mov_b32_e32 v1, s0
	v_mov_b32_e32 v2, s1
	flat_load_dwordx4 v[1:4], v[1:2]
	s_cselect_b32 s0, s12, s9
	s_cselect_b32 s1, s11, s8
	v_mov_b32_e32 v5, s1
	v_mov_b32_e32 v6, s0
	flat_load_dwordx4 v[5:8], v[5:6]
	s_waitcnt vmcnt(0) lgkmcnt(0)
	v_cmp_eq_f64_e32 vcc, 0, v[1:2]
	v_cmp_eq_f64_e64 s[0:1], 0, v[3:4]
	s_and_b64 s[10:11], vcc, s[0:1]
	s_mov_b64 s[0:1], -1
	s_and_saveexec_b64 s[8:9], s[10:11]
	s_cbranch_execz .LBB261_2
; %bb.1:
	v_cmp_neq_f64_e32 vcc, 1.0, v[5:6]
	v_cmp_neq_f64_e64 s[0:1], 0, v[7:8]
	s_or_b64 s[0:1], vcc, s[0:1]
	s_orn2_b64 s[0:1], s[0:1], exec
.LBB261_2:
	s_or_b64 exec, exec, s[8:9]
	s_and_saveexec_b64 s[8:9], s[0:1]
	s_cbranch_execz .LBB261_21
; %bb.3:
	s_load_dwordx2 s[0:1], s[4:5], 0x0
	v_lshrrev_b32_e32 v9, 5, v0
	v_lshl_or_b32 v9, s6, 2, v9
	s_waitcnt lgkmcnt(0)
	v_cmp_gt_i32_e32 vcc, s0, v9
	s_and_b64 exec, exec, vcc
	s_cbranch_execz .LBB261_21
; %bb.4:
	s_load_dwordx8 s[8:15], s[4:5], 0x18
	v_ashrrev_i32_e32 v10, 31, v9
	v_lshlrev_b64 v[10:11], 2, v[9:10]
	v_and_b32_e32 v0, 31, v0
	s_cmp_lg_u32 s1, 0
	s_waitcnt lgkmcnt(0)
	v_mov_b32_e32 v12, s9
	v_add_co_u32_e32 v10, vcc, s8, v10
	v_addc_co_u32_e32 v11, vcc, v12, v11, vcc
	global_load_dwordx2 v[10:11], v[10:11], off
	s_waitcnt vmcnt(0)
	v_subrev_u32_e32 v10, s2, v10
	v_subrev_u32_e32 v23, s2, v11
	v_add_u32_e32 v10, v10, v0
	v_cmp_lt_i32_e64 s[0:1], v10, v23
	s_cbranch_scc0 .LBB261_10
; %bb.5:
	v_mov_b32_e32 v19, 0
	v_mov_b32_e32 v21, 0
	;; [unrolled: 1-line block ×8, first 2 shown]
	s_and_saveexec_b64 s[6:7], s[0:1]
	s_cbranch_execz .LBB261_9
; %bb.6:
	v_mov_b32_e32 v19, 0
	v_mov_b32_e32 v21, 0
	;; [unrolled: 1-line block ×4, first 2 shown]
	v_lshlrev_b32_e32 v11, 4, v10
	v_mov_b32_e32 v20, 0
	s_mov_b64 s[8:9], 0
	v_mov_b32_e32 v24, s11
	v_mov_b32_e32 v12, 0
	;; [unrolled: 1-line block ×8, first 2 shown]
.LBB261_7:                              ; =>This Inner Loop Header: Depth=1
	v_lshlrev_b64 v[27:28], 4, v[11:12]
	v_ashrrev_i32_e32 v14, 31, v13
	v_lshlrev_b64 v[29:30], 2, v[13:14]
	v_add_co_u32_e32 v35, vcc, s12, v27
	v_addc_co_u32_e32 v36, vcc, v25, v28, vcc
	v_add_co_u32_e32 v33, vcc, s10, v29
	v_addc_co_u32_e32 v34, vcc, v24, v30, vcc
	global_load_dwordx4 v[27:30], v[35:36], off
	global_load_dword v14, v[33:34], off
	v_mov_b32_e32 v32, v12
	v_add_u32_e32 v13, 32, v13
	v_add_u32_e32 v11, 0x200, v11
	s_waitcnt vmcnt(0)
	v_subrev_u32_e32 v14, s2, v14
	v_lshlrev_b32_e32 v31, 3, v14
	v_lshlrev_b64 v[31:32], 4, v[31:32]
	v_add_co_u32_e32 v37, vcc, s14, v31
	v_addc_co_u32_e32 v38, vcc, v26, v32, vcc
	global_load_dwordx4 v[31:34], v[37:38], off
	v_cmp_ge_i32_e32 vcc, v13, v23
	s_or_b64 s[8:9], vcc, s[8:9]
	s_waitcnt vmcnt(0)
	v_fma_f64 v[21:22], v[27:28], v[31:32], v[21:22]
	v_fma_f64 v[19:20], v[29:30], v[31:32], v[19:20]
	v_fma_f64 v[29:30], -v[29:30], v[33:34], v[21:22]
	v_fma_f64 v[27:28], v[27:28], v[33:34], v[19:20]
	global_load_dwordx4 v[19:22], v[35:36], off offset:16
	s_waitcnt vmcnt(0)
	v_fma_f64 v[14:15], v[19:20], v[31:32], v[15:16]
	v_fma_f64 v[16:17], v[21:22], v[31:32], v[17:18]
	v_fma_f64 v[31:32], -v[21:22], v[33:34], v[14:15]
	v_fma_f64 v[33:34], v[19:20], v[33:34], v[16:17]
	global_load_dwordx4 v[14:17], v[35:36], off offset:32
	global_load_dwordx4 v[18:21], v[37:38], off offset:16
	s_waitcnt vmcnt(0)
	v_fma_f64 v[29:30], v[14:15], v[18:19], v[29:30]
	v_fma_f64 v[27:28], v[16:17], v[18:19], v[27:28]
	v_fma_f64 v[29:30], -v[16:17], v[20:21], v[29:30]
	v_fma_f64 v[27:28], v[14:15], v[20:21], v[27:28]
	global_load_dwordx4 v[14:17], v[35:36], off offset:48
	s_waitcnt vmcnt(0)
	v_fma_f64 v[31:32], v[14:15], v[18:19], v[31:32]
	v_fma_f64 v[18:19], v[16:17], v[18:19], v[33:34]
	v_fma_f64 v[31:32], -v[16:17], v[20:21], v[31:32]
	v_fma_f64 v[33:34], v[14:15], v[20:21], v[18:19]
	global_load_dwordx4 v[14:17], v[35:36], off offset:64
	global_load_dwordx4 v[18:21], v[37:38], off offset:32
	;; [unrolled: 13-line block ×7, first 2 shown]
	global_load_dwordx4 v[31:34], v[37:38], off offset:112
	s_waitcnt vmcnt(0)
	v_fma_f64 v[20:21], v[14:15], v[31:32], v[39:40]
	v_fma_f64 v[35:36], v[16:17], v[31:32], v[41:42]
	;; [unrolled: 1-line block ×4, first 2 shown]
	v_fma_f64 v[21:22], -v[16:17], v[33:34], v[20:21]
	v_fma_f64 v[19:20], v[14:15], v[33:34], v[35:36]
	v_fma_f64 v[15:16], -v[29:30], v[33:34], v[37:38]
	v_fma_f64 v[17:18], v[27:28], v[33:34], v[31:32]
	s_andn2_b64 exec, exec, s[8:9]
	s_cbranch_execnz .LBB261_7
; %bb.8:
	s_or_b64 exec, exec, s[8:9]
.LBB261_9:
	s_or_b64 exec, exec, s[6:7]
	s_cbranch_execz .LBB261_11
	s_branch .LBB261_16
.LBB261_10:
                                        ; implicit-def: $vgpr19_vgpr20
                                        ; implicit-def: $vgpr21_vgpr22
                                        ; implicit-def: $vgpr15_vgpr16
                                        ; implicit-def: $vgpr17_vgpr18
.LBB261_11:
	v_mov_b32_e32 v19, 0
	v_mov_b32_e32 v21, 0
	v_mov_b32_e32 v15, 0
	v_mov_b32_e32 v17, 0
	v_mov_b32_e32 v20, 0
	v_mov_b32_e32 v22, 0
	v_mov_b32_e32 v16, 0
	v_mov_b32_e32 v18, 0
	s_and_saveexec_b64 s[6:7], s[0:1]
	s_cbranch_execz .LBB261_15
; %bb.12:
	v_mov_b32_e32 v19, 0
	v_mov_b32_e32 v21, 0
	;; [unrolled: 1-line block ×4, first 2 shown]
	v_lshlrev_b32_e32 v12, 4, v10
	v_mov_b32_e32 v20, 0
	s_mov_b64 s[0:1], 0
	v_mov_b32_e32 v14, s11
	v_mov_b32_e32 v13, 0
	;; [unrolled: 1-line block ×7, first 2 shown]
.LBB261_13:                             ; =>This Inner Loop Header: Depth=1
	v_lshlrev_b64 v[26:27], 4, v[12:13]
	v_ashrrev_i32_e32 v11, 31, v10
	v_lshlrev_b64 v[28:29], 2, v[10:11]
	v_add_co_u32_e32 v42, vcc, s12, v26
	v_addc_co_u32_e32 v43, vcc, v24, v27, vcc
	v_add_co_u32_e32 v36, vcc, s10, v28
	v_addc_co_u32_e32 v37, vcc, v14, v29, vcc
	global_load_dwordx4 v[26:29], v[42:43], off
	global_load_dwordx4 v[30:33], v[42:43], off offset:16
	global_load_dword v11, v[36:37], off
	v_mov_b32_e32 v35, v13
	v_add_u32_e32 v10, 32, v10
	v_add_u32_e32 v12, 0x200, v12
	s_waitcnt vmcnt(0)
	v_subrev_u32_e32 v11, s2, v11
	v_lshlrev_b32_e32 v34, 3, v11
	v_lshlrev_b64 v[34:35], 4, v[34:35]
	v_add_co_u32_e32 v44, vcc, s14, v34
	v_addc_co_u32_e32 v45, vcc, v25, v35, vcc
	global_load_dwordx4 v[34:37], v[44:45], off
	global_load_dwordx4 v[38:41], v[44:45], off offset:16
	v_cmp_ge_i32_e32 vcc, v10, v23
	s_or_b64 s[0:1], vcc, s[0:1]
	s_waitcnt vmcnt(1)
	v_fma_f64 v[21:22], v[26:27], v[34:35], v[21:22]
	v_fma_f64 v[19:20], v[28:29], v[34:35], v[19:20]
	v_fma_f64 v[46:47], -v[28:29], v[36:37], v[21:22]
	v_fma_f64 v[48:49], v[26:27], v[36:37], v[19:20]
	global_load_dwordx4 v[19:22], v[42:43], off offset:128
	global_load_dwordx4 v[26:29], v[42:43], off offset:144
	s_waitcnt vmcnt(1)
	v_fma_f64 v[15:16], v[19:20], v[34:35], v[15:16]
	v_fma_f64 v[17:18], v[21:22], v[34:35], v[17:18]
	v_fma_f64 v[34:35], -v[21:22], v[36:37], v[15:16]
	v_fma_f64 v[36:37], v[19:20], v[36:37], v[17:18]
	v_fma_f64 v[19:20], v[30:31], v[38:39], v[46:47]
	;; [unrolled: 1-line block ×3, first 2 shown]
	global_load_dwordx4 v[15:18], v[42:43], off offset:32
	v_fma_f64 v[46:47], -v[32:33], v[40:41], v[19:20]
	v_fma_f64 v[48:49], v[30:31], v[40:41], v[21:22]
	s_waitcnt vmcnt(1)
	v_fma_f64 v[30:31], v[26:27], v[38:39], v[34:35]
	v_fma_f64 v[32:33], v[28:29], v[38:39], v[36:37]
	global_load_dwordx4 v[19:22], v[42:43], off offset:48
	v_fma_f64 v[38:39], -v[28:29], v[40:41], v[30:31]
	v_fma_f64 v[40:41], v[26:27], v[40:41], v[32:33]
	global_load_dwordx4 v[26:29], v[44:45], off offset:32
	global_load_dwordx4 v[30:33], v[44:45], off offset:48
	s_waitcnt vmcnt(1)
	v_fma_f64 v[34:35], v[15:16], v[26:27], v[46:47]
	v_fma_f64 v[36:37], v[17:18], v[26:27], v[48:49]
	v_fma_f64 v[46:47], -v[17:18], v[28:29], v[34:35]
	v_fma_f64 v[48:49], v[15:16], v[28:29], v[36:37]
	global_load_dwordx4 v[15:18], v[42:43], off offset:160
	global_load_dwordx4 v[34:37], v[42:43], off offset:176
	s_waitcnt vmcnt(1)
	v_fma_f64 v[38:39], v[15:16], v[26:27], v[38:39]
	v_fma_f64 v[26:27], v[17:18], v[26:27], v[40:41]
	;; [unrolled: 1-line block ×3, first 2 shown]
	v_fma_f64 v[38:39], -v[17:18], v[28:29], v[38:39]
	v_fma_f64 v[26:27], v[15:16], v[28:29], v[26:27]
	v_fma_f64 v[28:29], v[19:20], v[30:31], v[46:47]
	global_load_dwordx4 v[15:18], v[42:43], off offset:64
	v_fma_f64 v[40:41], v[19:20], v[32:33], v[40:41]
	s_waitcnt vmcnt(1)
	v_fma_f64 v[26:27], v[36:37], v[30:31], v[26:27]
	v_fma_f64 v[46:47], -v[21:22], v[32:33], v[28:29]
	v_fma_f64 v[28:29], v[34:35], v[30:31], v[38:39]
	global_load_dwordx4 v[19:22], v[42:43], off offset:80
	v_fma_f64 v[48:49], v[34:35], v[32:33], v[26:27]
	v_fma_f64 v[38:39], -v[36:37], v[32:33], v[28:29]
	global_load_dwordx4 v[26:29], v[44:45], off offset:64
	global_load_dwordx4 v[30:33], v[44:45], off offset:80
	s_waitcnt vmcnt(1)
	v_fma_f64 v[34:35], v[15:16], v[26:27], v[46:47]
	v_fma_f64 v[36:37], v[17:18], v[26:27], v[40:41]
	v_fma_f64 v[40:41], -v[17:18], v[28:29], v[34:35]
	v_fma_f64 v[46:47], v[15:16], v[28:29], v[36:37]
	global_load_dwordx4 v[15:18], v[42:43], off offset:192
	global_load_dwordx4 v[34:37], v[42:43], off offset:208
	s_waitcnt vmcnt(1)
	v_fma_f64 v[38:39], v[15:16], v[26:27], v[38:39]
	v_fma_f64 v[26:27], v[17:18], v[26:27], v[48:49]
	v_fma_f64 v[38:39], -v[17:18], v[28:29], v[38:39]
	v_fma_f64 v[26:27], v[15:16], v[28:29], v[26:27]
	v_fma_f64 v[28:29], v[19:20], v[30:31], v[40:41]
	;; [unrolled: 1-line block ×3, first 2 shown]
	global_load_dwordx4 v[15:18], v[42:43], off offset:96
	s_waitcnt vmcnt(1)
	v_fma_f64 v[26:27], v[36:37], v[30:31], v[26:27]
	v_fma_f64 v[46:47], -v[21:22], v[32:33], v[28:29]
	v_fma_f64 v[28:29], v[34:35], v[30:31], v[38:39]
	v_fma_f64 v[40:41], v[19:20], v[32:33], v[40:41]
	global_load_dwordx4 v[19:22], v[42:43], off offset:112
	v_fma_f64 v[48:49], v[34:35], v[32:33], v[26:27]
	v_fma_f64 v[38:39], -v[36:37], v[32:33], v[28:29]
	global_load_dwordx4 v[26:29], v[44:45], off offset:96
	global_load_dwordx4 v[30:33], v[44:45], off offset:112
	s_waitcnt vmcnt(1)
	v_fma_f64 v[34:35], v[15:16], v[26:27], v[46:47]
	v_fma_f64 v[36:37], v[17:18], v[26:27], v[40:41]
	v_fma_f64 v[40:41], -v[17:18], v[28:29], v[34:35]
	v_fma_f64 v[44:45], v[15:16], v[28:29], v[36:37]
	global_load_dwordx4 v[15:18], v[42:43], off offset:224
	global_load_dwordx4 v[34:37], v[42:43], off offset:240
	s_waitcnt vmcnt(1)
	v_fma_f64 v[38:39], v[15:16], v[26:27], v[38:39]
	v_fma_f64 v[26:27], v[17:18], v[26:27], v[48:49]
	v_fma_f64 v[17:18], -v[17:18], v[28:29], v[38:39]
	v_fma_f64 v[15:16], v[15:16], v[28:29], v[26:27]
	v_fma_f64 v[26:27], v[19:20], v[30:31], v[40:41]
	;; [unrolled: 1-line block ×3, first 2 shown]
	s_waitcnt vmcnt(0)
	v_fma_f64 v[17:18], v[34:35], v[30:31], v[17:18]
	v_fma_f64 v[30:31], v[36:37], v[30:31], v[15:16]
	v_fma_f64 v[21:22], -v[21:22], v[32:33], v[26:27]
	v_fma_f64 v[19:20], v[19:20], v[32:33], v[28:29]
	v_fma_f64 v[15:16], -v[36:37], v[32:33], v[17:18]
	v_fma_f64 v[17:18], v[34:35], v[32:33], v[30:31]
	s_andn2_b64 exec, exec, s[0:1]
	s_cbranch_execnz .LBB261_13
; %bb.14:
	s_or_b64 exec, exec, s[0:1]
.LBB261_15:
	s_or_b64 exec, exec, s[6:7]
.LBB261_16:
	v_mov_b32_dpp v10, v21 row_shr:1 row_mask:0xf bank_mask:0xf
	v_mov_b32_dpp v11, v22 row_shr:1 row_mask:0xf bank_mask:0xf
	v_add_f64 v[10:11], v[21:22], v[10:11]
	v_mov_b32_dpp v12, v19 row_shr:1 row_mask:0xf bank_mask:0xf
	v_mov_b32_dpp v13, v20 row_shr:1 row_mask:0xf bank_mask:0xf
	v_add_f64 v[12:13], v[19:20], v[12:13]
	v_mov_b32_dpp v21, v15 row_shr:1 row_mask:0xf bank_mask:0xf
	v_mov_b32_dpp v22, v16 row_shr:1 row_mask:0xf bank_mask:0xf
	v_mov_b32_dpp v14, v17 row_shr:1 row_mask:0xf bank_mask:0xf
	v_cmp_eq_u32_e32 vcc, 31, v0
	v_mov_b32_dpp v19, v10 row_shr:2 row_mask:0xf bank_mask:0xf
	v_mov_b32_dpp v20, v11 row_shr:2 row_mask:0xf bank_mask:0xf
	v_add_f64 v[10:11], v[10:11], v[19:20]
	v_add_f64 v[19:20], v[15:16], v[21:22]
	v_mov_b32_dpp v15, v18 row_shr:1 row_mask:0xf bank_mask:0xf
	v_add_f64 v[14:15], v[17:18], v[14:15]
	v_mov_b32_dpp v16, v12 row_shr:2 row_mask:0xf bank_mask:0xf
	v_mov_b32_dpp v17, v13 row_shr:2 row_mask:0xf bank_mask:0xf
	v_add_f64 v[12:13], v[12:13], v[16:17]
	v_mov_b32_dpp v21, v10 row_shr:4 row_mask:0xf bank_mask:0xe
	;; [unrolled: 3-line block ×3, first 2 shown]
	v_mov_b32_dpp v22, v20 row_shr:2 row_mask:0xf bank_mask:0xf
	v_mov_b32_dpp v16, v14 row_shr:2 row_mask:0xf bank_mask:0xf
	v_add_f64 v[18:19], v[19:20], v[21:22]
	v_mov_b32_dpp v17, v15 row_shr:2 row_mask:0xf bank_mask:0xf
	v_add_f64 v[14:15], v[14:15], v[16:17]
	v_mov_b32_dpp v20, v12 row_shr:4 row_mask:0xf bank_mask:0xe
	v_mov_b32_dpp v21, v13 row_shr:4 row_mask:0xf bank_mask:0xe
	v_add_f64 v[12:13], v[12:13], v[20:21]
	v_mov_b32_dpp v16, v10 row_shr:8 row_mask:0xf bank_mask:0xc
	v_mov_b32_dpp v17, v11 row_shr:8 row_mask:0xf bank_mask:0xc
	;; [unrolled: 1-line block ×4, first 2 shown]
	v_add_f64 v[18:19], v[18:19], v[20:21]
	v_mov_b32_dpp v20, v14 row_shr:4 row_mask:0xf bank_mask:0xe
	v_mov_b32_dpp v21, v15 row_shr:4 row_mask:0xf bank_mask:0xe
	v_add_f64 v[14:15], v[14:15], v[20:21]
	v_add_f64 v[10:11], v[10:11], v[16:17]
	v_mov_b32_dpp v16, v12 row_shr:8 row_mask:0xf bank_mask:0xc
	v_mov_b32_dpp v17, v13 row_shr:8 row_mask:0xf bank_mask:0xc
	v_add_f64 v[12:13], v[12:13], v[16:17]
	v_mov_b32_dpp v16, v18 row_shr:8 row_mask:0xf bank_mask:0xc
	v_mov_b32_dpp v17, v19 row_shr:8 row_mask:0xf bank_mask:0xc
	;; [unrolled: 3-line block ×3, first 2 shown]
	v_add_f64 v[14:15], v[14:15], v[16:17]
	v_mov_b32_dpp v24, v10 row_bcast:15 row_mask:0xa bank_mask:0xf
	v_mov_b32_dpp v25, v11 row_bcast:15 row_mask:0xa bank_mask:0xf
	;; [unrolled: 1-line block ×8, first 2 shown]
	s_and_b64 exec, exec, vcc
	s_cbranch_execz .LBB261_21
; %bb.17:
	v_cmp_eq_f64_e32 vcc, 0, v[5:6]
	v_cmp_eq_f64_e64 s[0:1], 0, v[7:8]
	v_add_f64 v[10:11], v[10:11], v[24:25]
	v_add_f64 v[16:17], v[12:13], v[16:17]
	;; [unrolled: 1-line block ×4, first 2 shown]
	s_load_dwordx2 s[2:3], s[4:5], 0x48
	s_and_b64 s[0:1], vcc, s[0:1]
	s_and_saveexec_b64 s[4:5], s[0:1]
	s_xor_b64 s[0:1], exec, s[4:5]
	s_cbranch_execz .LBB261_19
; %bb.18:
	v_mul_f64 v[5:6], v[16:17], -v[3:4]
	v_mul_f64 v[7:8], v[1:2], v[16:17]
	v_mul_f64 v[16:17], v[14:15], -v[3:4]
	v_mul_f64 v[14:15], v[1:2], v[14:15]
	v_lshlrev_b32_e32 v9, 1, v9
	s_waitcnt lgkmcnt(0)
	v_mov_b32_e32 v18, s3
	v_fma_f64 v[5:6], v[1:2], v[10:11], v[5:6]
	v_fma_f64 v[7:8], v[3:4], v[10:11], v[7:8]
	;; [unrolled: 1-line block ×4, first 2 shown]
	v_ashrrev_i32_e32 v10, 31, v9
	v_lshlrev_b64 v[9:10], 4, v[9:10]
                                        ; implicit-def: $vgpr16_vgpr17
                                        ; implicit-def: $vgpr12_vgpr13
                                        ; implicit-def: $vgpr14_vgpr15
	v_add_co_u32_e32 v9, vcc, s2, v9
	v_addc_co_u32_e32 v10, vcc, v18, v10, vcc
	global_store_dwordx4 v[9:10], v[5:8], off
	global_store_dwordx4 v[9:10], v[0:3], off offset:16
                                        ; implicit-def: $vgpr9
                                        ; implicit-def: $vgpr10_vgpr11
                                        ; implicit-def: $vgpr7_vgpr8
                                        ; implicit-def: $vgpr3_vgpr4
.LBB261_19:
	s_andn2_saveexec_b64 s[0:1], s[0:1]
	s_cbranch_execz .LBB261_21
; %bb.20:
	v_lshlrev_b32_e32 v18, 1, v9
	v_ashrrev_i32_e32 v19, 31, v18
	v_lshlrev_b64 v[18:19], 4, v[18:19]
	s_waitcnt lgkmcnt(0)
	v_mov_b32_e32 v0, s3
	v_add_co_u32_e32 v26, vcc, s2, v18
	v_addc_co_u32_e32 v27, vcc, v0, v19, vcc
	global_load_dwordx4 v[18:21], v[26:27], off
	global_load_dwordx4 v[22:25], v[26:27], off offset:16
	v_mul_f64 v[28:29], v[16:17], -v[3:4]
	v_mul_f64 v[16:17], v[1:2], v[16:17]
	v_mul_f64 v[30:31], v[14:15], -v[3:4]
	v_mul_f64 v[14:15], v[1:2], v[14:15]
	v_fma_f64 v[28:29], v[1:2], v[10:11], v[28:29]
	v_fma_f64 v[9:10], v[3:4], v[10:11], v[16:17]
	;; [unrolled: 1-line block ×4, first 2 shown]
	s_waitcnt vmcnt(1)
	v_fma_f64 v[11:12], v[5:6], v[18:19], v[28:29]
	v_fma_f64 v[9:10], v[7:8], v[18:19], v[9:10]
	s_waitcnt vmcnt(0)
	v_fma_f64 v[13:14], v[5:6], v[22:23], v[0:1]
	v_fma_f64 v[15:16], v[7:8], v[22:23], v[2:3]
	v_fma_f64 v[0:1], -v[7:8], v[20:21], v[11:12]
	v_fma_f64 v[2:3], v[5:6], v[20:21], v[9:10]
	v_fma_f64 v[7:8], -v[7:8], v[24:25], v[13:14]
	v_fma_f64 v[9:10], v[5:6], v[24:25], v[15:16]
	global_store_dwordx4 v[26:27], v[0:3], off
	global_store_dwordx4 v[26:27], v[7:10], off offset:16
.LBB261_21:
	s_endpgm
	.section	.rodata,"a",@progbits
	.p2align	6, 0x0
	.amdhsa_kernel _ZN9rocsparseL19gebsrmvn_2xn_kernelILj128ELj8ELj32E21rocsparse_complex_numIdEEEvi20rocsparse_direction_NS_24const_host_device_scalarIT2_EEPKiS8_PKS5_SA_S6_PS5_21rocsparse_index_base_b
		.amdhsa_group_segment_fixed_size 0
		.amdhsa_private_segment_fixed_size 0
		.amdhsa_kernarg_size 88
		.amdhsa_user_sgpr_count 6
		.amdhsa_user_sgpr_private_segment_buffer 1
		.amdhsa_user_sgpr_dispatch_ptr 0
		.amdhsa_user_sgpr_queue_ptr 0
		.amdhsa_user_sgpr_kernarg_segment_ptr 1
		.amdhsa_user_sgpr_dispatch_id 0
		.amdhsa_user_sgpr_flat_scratch_init 0
		.amdhsa_user_sgpr_private_segment_size 0
		.amdhsa_uses_dynamic_stack 0
		.amdhsa_system_sgpr_private_segment_wavefront_offset 0
		.amdhsa_system_sgpr_workgroup_id_x 1
		.amdhsa_system_sgpr_workgroup_id_y 0
		.amdhsa_system_sgpr_workgroup_id_z 0
		.amdhsa_system_sgpr_workgroup_info 0
		.amdhsa_system_vgpr_workitem_id 0
		.amdhsa_next_free_vgpr 50
		.amdhsa_next_free_sgpr 16
		.amdhsa_reserve_vcc 1
		.amdhsa_reserve_flat_scratch 0
		.amdhsa_float_round_mode_32 0
		.amdhsa_float_round_mode_16_64 0
		.amdhsa_float_denorm_mode_32 3
		.amdhsa_float_denorm_mode_16_64 3
		.amdhsa_dx10_clamp 1
		.amdhsa_ieee_mode 1
		.amdhsa_fp16_overflow 0
		.amdhsa_exception_fp_ieee_invalid_op 0
		.amdhsa_exception_fp_denorm_src 0
		.amdhsa_exception_fp_ieee_div_zero 0
		.amdhsa_exception_fp_ieee_overflow 0
		.amdhsa_exception_fp_ieee_underflow 0
		.amdhsa_exception_fp_ieee_inexact 0
		.amdhsa_exception_int_div_zero 0
	.end_amdhsa_kernel
	.section	.text._ZN9rocsparseL19gebsrmvn_2xn_kernelILj128ELj8ELj32E21rocsparse_complex_numIdEEEvi20rocsparse_direction_NS_24const_host_device_scalarIT2_EEPKiS8_PKS5_SA_S6_PS5_21rocsparse_index_base_b,"axG",@progbits,_ZN9rocsparseL19gebsrmvn_2xn_kernelILj128ELj8ELj32E21rocsparse_complex_numIdEEEvi20rocsparse_direction_NS_24const_host_device_scalarIT2_EEPKiS8_PKS5_SA_S6_PS5_21rocsparse_index_base_b,comdat
.Lfunc_end261:
	.size	_ZN9rocsparseL19gebsrmvn_2xn_kernelILj128ELj8ELj32E21rocsparse_complex_numIdEEEvi20rocsparse_direction_NS_24const_host_device_scalarIT2_EEPKiS8_PKS5_SA_S6_PS5_21rocsparse_index_base_b, .Lfunc_end261-_ZN9rocsparseL19gebsrmvn_2xn_kernelILj128ELj8ELj32E21rocsparse_complex_numIdEEEvi20rocsparse_direction_NS_24const_host_device_scalarIT2_EEPKiS8_PKS5_SA_S6_PS5_21rocsparse_index_base_b
                                        ; -- End function
	.set _ZN9rocsparseL19gebsrmvn_2xn_kernelILj128ELj8ELj32E21rocsparse_complex_numIdEEEvi20rocsparse_direction_NS_24const_host_device_scalarIT2_EEPKiS8_PKS5_SA_S6_PS5_21rocsparse_index_base_b.num_vgpr, 50
	.set _ZN9rocsparseL19gebsrmvn_2xn_kernelILj128ELj8ELj32E21rocsparse_complex_numIdEEEvi20rocsparse_direction_NS_24const_host_device_scalarIT2_EEPKiS8_PKS5_SA_S6_PS5_21rocsparse_index_base_b.num_agpr, 0
	.set _ZN9rocsparseL19gebsrmvn_2xn_kernelILj128ELj8ELj32E21rocsparse_complex_numIdEEEvi20rocsparse_direction_NS_24const_host_device_scalarIT2_EEPKiS8_PKS5_SA_S6_PS5_21rocsparse_index_base_b.numbered_sgpr, 16
	.set _ZN9rocsparseL19gebsrmvn_2xn_kernelILj128ELj8ELj32E21rocsparse_complex_numIdEEEvi20rocsparse_direction_NS_24const_host_device_scalarIT2_EEPKiS8_PKS5_SA_S6_PS5_21rocsparse_index_base_b.num_named_barrier, 0
	.set _ZN9rocsparseL19gebsrmvn_2xn_kernelILj128ELj8ELj32E21rocsparse_complex_numIdEEEvi20rocsparse_direction_NS_24const_host_device_scalarIT2_EEPKiS8_PKS5_SA_S6_PS5_21rocsparse_index_base_b.private_seg_size, 0
	.set _ZN9rocsparseL19gebsrmvn_2xn_kernelILj128ELj8ELj32E21rocsparse_complex_numIdEEEvi20rocsparse_direction_NS_24const_host_device_scalarIT2_EEPKiS8_PKS5_SA_S6_PS5_21rocsparse_index_base_b.uses_vcc, 1
	.set _ZN9rocsparseL19gebsrmvn_2xn_kernelILj128ELj8ELj32E21rocsparse_complex_numIdEEEvi20rocsparse_direction_NS_24const_host_device_scalarIT2_EEPKiS8_PKS5_SA_S6_PS5_21rocsparse_index_base_b.uses_flat_scratch, 0
	.set _ZN9rocsparseL19gebsrmvn_2xn_kernelILj128ELj8ELj32E21rocsparse_complex_numIdEEEvi20rocsparse_direction_NS_24const_host_device_scalarIT2_EEPKiS8_PKS5_SA_S6_PS5_21rocsparse_index_base_b.has_dyn_sized_stack, 0
	.set _ZN9rocsparseL19gebsrmvn_2xn_kernelILj128ELj8ELj32E21rocsparse_complex_numIdEEEvi20rocsparse_direction_NS_24const_host_device_scalarIT2_EEPKiS8_PKS5_SA_S6_PS5_21rocsparse_index_base_b.has_recursion, 0
	.set _ZN9rocsparseL19gebsrmvn_2xn_kernelILj128ELj8ELj32E21rocsparse_complex_numIdEEEvi20rocsparse_direction_NS_24const_host_device_scalarIT2_EEPKiS8_PKS5_SA_S6_PS5_21rocsparse_index_base_b.has_indirect_call, 0
	.section	.AMDGPU.csdata,"",@progbits
; Kernel info:
; codeLenInByte = 3072
; TotalNumSgprs: 20
; NumVgprs: 50
; ScratchSize: 0
; MemoryBound: 1
; FloatMode: 240
; IeeeMode: 1
; LDSByteSize: 0 bytes/workgroup (compile time only)
; SGPRBlocks: 2
; VGPRBlocks: 12
; NumSGPRsForWavesPerEU: 20
; NumVGPRsForWavesPerEU: 50
; Occupancy: 4
; WaveLimiterHint : 1
; COMPUTE_PGM_RSRC2:SCRATCH_EN: 0
; COMPUTE_PGM_RSRC2:USER_SGPR: 6
; COMPUTE_PGM_RSRC2:TRAP_HANDLER: 0
; COMPUTE_PGM_RSRC2:TGID_X_EN: 1
; COMPUTE_PGM_RSRC2:TGID_Y_EN: 0
; COMPUTE_PGM_RSRC2:TGID_Z_EN: 0
; COMPUTE_PGM_RSRC2:TIDIG_COMP_CNT: 0
	.section	.text._ZN9rocsparseL19gebsrmvn_2xn_kernelILj128ELj8ELj64E21rocsparse_complex_numIdEEEvi20rocsparse_direction_NS_24const_host_device_scalarIT2_EEPKiS8_PKS5_SA_S6_PS5_21rocsparse_index_base_b,"axG",@progbits,_ZN9rocsparseL19gebsrmvn_2xn_kernelILj128ELj8ELj64E21rocsparse_complex_numIdEEEvi20rocsparse_direction_NS_24const_host_device_scalarIT2_EEPKiS8_PKS5_SA_S6_PS5_21rocsparse_index_base_b,comdat
	.globl	_ZN9rocsparseL19gebsrmvn_2xn_kernelILj128ELj8ELj64E21rocsparse_complex_numIdEEEvi20rocsparse_direction_NS_24const_host_device_scalarIT2_EEPKiS8_PKS5_SA_S6_PS5_21rocsparse_index_base_b ; -- Begin function _ZN9rocsparseL19gebsrmvn_2xn_kernelILj128ELj8ELj64E21rocsparse_complex_numIdEEEvi20rocsparse_direction_NS_24const_host_device_scalarIT2_EEPKiS8_PKS5_SA_S6_PS5_21rocsparse_index_base_b
	.p2align	8
	.type	_ZN9rocsparseL19gebsrmvn_2xn_kernelILj128ELj8ELj64E21rocsparse_complex_numIdEEEvi20rocsparse_direction_NS_24const_host_device_scalarIT2_EEPKiS8_PKS5_SA_S6_PS5_21rocsparse_index_base_b,@function
_ZN9rocsparseL19gebsrmvn_2xn_kernelILj128ELj8ELj64E21rocsparse_complex_numIdEEEvi20rocsparse_direction_NS_24const_host_device_scalarIT2_EEPKiS8_PKS5_SA_S6_PS5_21rocsparse_index_base_b: ; @_ZN9rocsparseL19gebsrmvn_2xn_kernelILj128ELj8ELj64E21rocsparse_complex_numIdEEEvi20rocsparse_direction_NS_24const_host_device_scalarIT2_EEPKiS8_PKS5_SA_S6_PS5_21rocsparse_index_base_b
; %bb.0:
	s_load_dwordx2 s[0:1], s[4:5], 0x8
	s_load_dwordx2 s[8:9], s[4:5], 0x38
	;; [unrolled: 1-line block ×3, first 2 shown]
	s_add_u32 s7, s4, 8
	s_addc_u32 s10, s5, 0
	s_add_u32 s11, s4, 56
	s_addc_u32 s12, s5, 0
	s_waitcnt lgkmcnt(0)
	s_bitcmp1_b32 s3, 0
	s_cselect_b32 s1, s10, s1
	s_cselect_b32 s0, s7, s0
	v_mov_b32_e32 v1, s0
	v_mov_b32_e32 v2, s1
	flat_load_dwordx4 v[1:4], v[1:2]
	s_cselect_b32 s0, s12, s9
	s_cselect_b32 s1, s11, s8
	v_mov_b32_e32 v5, s1
	v_mov_b32_e32 v6, s0
	flat_load_dwordx4 v[5:8], v[5:6]
	s_waitcnt vmcnt(0) lgkmcnt(0)
	v_cmp_eq_f64_e32 vcc, 0, v[1:2]
	v_cmp_eq_f64_e64 s[0:1], 0, v[3:4]
	s_and_b64 s[10:11], vcc, s[0:1]
	s_mov_b64 s[0:1], -1
	s_and_saveexec_b64 s[8:9], s[10:11]
	s_cbranch_execz .LBB262_2
; %bb.1:
	v_cmp_neq_f64_e32 vcc, 1.0, v[5:6]
	v_cmp_neq_f64_e64 s[0:1], 0, v[7:8]
	s_or_b64 s[0:1], vcc, s[0:1]
	s_orn2_b64 s[0:1], s[0:1], exec
.LBB262_2:
	s_or_b64 exec, exec, s[8:9]
	s_and_saveexec_b64 s[8:9], s[0:1]
	s_cbranch_execz .LBB262_21
; %bb.3:
	s_load_dwordx2 s[0:1], s[4:5], 0x0
	v_lshrrev_b32_e32 v9, 6, v0
	v_lshl_or_b32 v9, s6, 1, v9
	s_waitcnt lgkmcnt(0)
	v_cmp_gt_i32_e32 vcc, s0, v9
	s_and_b64 exec, exec, vcc
	s_cbranch_execz .LBB262_21
; %bb.4:
	s_load_dwordx8 s[8:15], s[4:5], 0x18
	v_ashrrev_i32_e32 v10, 31, v9
	v_lshlrev_b64 v[10:11], 2, v[9:10]
	v_and_b32_e32 v0, 63, v0
	s_cmp_lg_u32 s1, 0
	s_waitcnt lgkmcnt(0)
	v_mov_b32_e32 v12, s9
	v_add_co_u32_e32 v10, vcc, s8, v10
	v_addc_co_u32_e32 v11, vcc, v12, v11, vcc
	global_load_dwordx2 v[10:11], v[10:11], off
	s_waitcnt vmcnt(0)
	v_subrev_u32_e32 v10, s2, v10
	v_subrev_u32_e32 v23, s2, v11
	v_add_u32_e32 v10, v10, v0
	v_cmp_lt_i32_e64 s[0:1], v10, v23
	s_cbranch_scc0 .LBB262_10
; %bb.5:
	v_mov_b32_e32 v19, 0
	v_mov_b32_e32 v21, 0
	;; [unrolled: 1-line block ×8, first 2 shown]
	s_and_saveexec_b64 s[6:7], s[0:1]
	s_cbranch_execz .LBB262_9
; %bb.6:
	v_mov_b32_e32 v19, 0
	v_mov_b32_e32 v21, 0
	;; [unrolled: 1-line block ×4, first 2 shown]
	v_lshlrev_b32_e32 v11, 4, v10
	v_mov_b32_e32 v20, 0
	s_mov_b64 s[8:9], 0
	v_mov_b32_e32 v24, s11
	v_mov_b32_e32 v12, 0
	;; [unrolled: 1-line block ×8, first 2 shown]
.LBB262_7:                              ; =>This Inner Loop Header: Depth=1
	v_lshlrev_b64 v[27:28], 4, v[11:12]
	v_ashrrev_i32_e32 v14, 31, v13
	v_lshlrev_b64 v[29:30], 2, v[13:14]
	v_add_co_u32_e32 v35, vcc, s12, v27
	v_addc_co_u32_e32 v36, vcc, v25, v28, vcc
	v_add_co_u32_e32 v33, vcc, s10, v29
	v_addc_co_u32_e32 v34, vcc, v24, v30, vcc
	global_load_dwordx4 v[27:30], v[35:36], off
	global_load_dword v14, v[33:34], off
	v_mov_b32_e32 v32, v12
	v_add_u32_e32 v13, 64, v13
	v_add_u32_e32 v11, 0x400, v11
	s_waitcnt vmcnt(0)
	v_subrev_u32_e32 v14, s2, v14
	v_lshlrev_b32_e32 v31, 3, v14
	v_lshlrev_b64 v[31:32], 4, v[31:32]
	v_add_co_u32_e32 v37, vcc, s14, v31
	v_addc_co_u32_e32 v38, vcc, v26, v32, vcc
	global_load_dwordx4 v[31:34], v[37:38], off
	v_cmp_ge_i32_e32 vcc, v13, v23
	s_or_b64 s[8:9], vcc, s[8:9]
	s_waitcnt vmcnt(0)
	v_fma_f64 v[21:22], v[27:28], v[31:32], v[21:22]
	v_fma_f64 v[19:20], v[29:30], v[31:32], v[19:20]
	v_fma_f64 v[29:30], -v[29:30], v[33:34], v[21:22]
	v_fma_f64 v[27:28], v[27:28], v[33:34], v[19:20]
	global_load_dwordx4 v[19:22], v[35:36], off offset:16
	s_waitcnt vmcnt(0)
	v_fma_f64 v[14:15], v[19:20], v[31:32], v[15:16]
	v_fma_f64 v[16:17], v[21:22], v[31:32], v[17:18]
	v_fma_f64 v[31:32], -v[21:22], v[33:34], v[14:15]
	v_fma_f64 v[33:34], v[19:20], v[33:34], v[16:17]
	global_load_dwordx4 v[14:17], v[35:36], off offset:32
	global_load_dwordx4 v[18:21], v[37:38], off offset:16
	s_waitcnt vmcnt(0)
	v_fma_f64 v[29:30], v[14:15], v[18:19], v[29:30]
	v_fma_f64 v[27:28], v[16:17], v[18:19], v[27:28]
	v_fma_f64 v[29:30], -v[16:17], v[20:21], v[29:30]
	v_fma_f64 v[27:28], v[14:15], v[20:21], v[27:28]
	global_load_dwordx4 v[14:17], v[35:36], off offset:48
	s_waitcnt vmcnt(0)
	v_fma_f64 v[31:32], v[14:15], v[18:19], v[31:32]
	v_fma_f64 v[18:19], v[16:17], v[18:19], v[33:34]
	v_fma_f64 v[31:32], -v[16:17], v[20:21], v[31:32]
	v_fma_f64 v[33:34], v[14:15], v[20:21], v[18:19]
	global_load_dwordx4 v[14:17], v[35:36], off offset:64
	global_load_dwordx4 v[18:21], v[37:38], off offset:32
	;; [unrolled: 13-line block ×7, first 2 shown]
	global_load_dwordx4 v[31:34], v[37:38], off offset:112
	s_waitcnt vmcnt(0)
	v_fma_f64 v[20:21], v[14:15], v[31:32], v[39:40]
	v_fma_f64 v[35:36], v[16:17], v[31:32], v[41:42]
	;; [unrolled: 1-line block ×4, first 2 shown]
	v_fma_f64 v[21:22], -v[16:17], v[33:34], v[20:21]
	v_fma_f64 v[19:20], v[14:15], v[33:34], v[35:36]
	v_fma_f64 v[15:16], -v[29:30], v[33:34], v[37:38]
	v_fma_f64 v[17:18], v[27:28], v[33:34], v[31:32]
	s_andn2_b64 exec, exec, s[8:9]
	s_cbranch_execnz .LBB262_7
; %bb.8:
	s_or_b64 exec, exec, s[8:9]
.LBB262_9:
	s_or_b64 exec, exec, s[6:7]
	s_cbranch_execz .LBB262_11
	s_branch .LBB262_16
.LBB262_10:
                                        ; implicit-def: $vgpr19_vgpr20
                                        ; implicit-def: $vgpr21_vgpr22
                                        ; implicit-def: $vgpr15_vgpr16
                                        ; implicit-def: $vgpr17_vgpr18
.LBB262_11:
	v_mov_b32_e32 v19, 0
	v_mov_b32_e32 v21, 0
	;; [unrolled: 1-line block ×8, first 2 shown]
	s_and_saveexec_b64 s[6:7], s[0:1]
	s_cbranch_execz .LBB262_15
; %bb.12:
	v_mov_b32_e32 v19, 0
	v_mov_b32_e32 v21, 0
	;; [unrolled: 1-line block ×4, first 2 shown]
	v_lshlrev_b32_e32 v12, 4, v10
	v_mov_b32_e32 v20, 0
	s_mov_b64 s[0:1], 0
	v_mov_b32_e32 v14, s11
	v_mov_b32_e32 v13, 0
	;; [unrolled: 1-line block ×7, first 2 shown]
.LBB262_13:                             ; =>This Inner Loop Header: Depth=1
	v_lshlrev_b64 v[26:27], 4, v[12:13]
	v_ashrrev_i32_e32 v11, 31, v10
	v_lshlrev_b64 v[28:29], 2, v[10:11]
	v_add_co_u32_e32 v42, vcc, s12, v26
	v_addc_co_u32_e32 v43, vcc, v24, v27, vcc
	v_add_co_u32_e32 v36, vcc, s10, v28
	v_addc_co_u32_e32 v37, vcc, v14, v29, vcc
	global_load_dwordx4 v[26:29], v[42:43], off
	global_load_dwordx4 v[30:33], v[42:43], off offset:16
	global_load_dword v11, v[36:37], off
	v_mov_b32_e32 v35, v13
	v_add_u32_e32 v10, 64, v10
	v_add_u32_e32 v12, 0x400, v12
	s_waitcnt vmcnt(0)
	v_subrev_u32_e32 v11, s2, v11
	v_lshlrev_b32_e32 v34, 3, v11
	v_lshlrev_b64 v[34:35], 4, v[34:35]
	v_add_co_u32_e32 v44, vcc, s14, v34
	v_addc_co_u32_e32 v45, vcc, v25, v35, vcc
	global_load_dwordx4 v[34:37], v[44:45], off
	global_load_dwordx4 v[38:41], v[44:45], off offset:16
	v_cmp_ge_i32_e32 vcc, v10, v23
	s_or_b64 s[0:1], vcc, s[0:1]
	s_waitcnt vmcnt(1)
	v_fma_f64 v[21:22], v[26:27], v[34:35], v[21:22]
	v_fma_f64 v[19:20], v[28:29], v[34:35], v[19:20]
	v_fma_f64 v[46:47], -v[28:29], v[36:37], v[21:22]
	v_fma_f64 v[48:49], v[26:27], v[36:37], v[19:20]
	global_load_dwordx4 v[19:22], v[42:43], off offset:128
	global_load_dwordx4 v[26:29], v[42:43], off offset:144
	s_waitcnt vmcnt(1)
	v_fma_f64 v[15:16], v[19:20], v[34:35], v[15:16]
	v_fma_f64 v[17:18], v[21:22], v[34:35], v[17:18]
	v_fma_f64 v[34:35], -v[21:22], v[36:37], v[15:16]
	v_fma_f64 v[36:37], v[19:20], v[36:37], v[17:18]
	v_fma_f64 v[19:20], v[30:31], v[38:39], v[46:47]
	;; [unrolled: 1-line block ×3, first 2 shown]
	global_load_dwordx4 v[15:18], v[42:43], off offset:32
	v_fma_f64 v[46:47], -v[32:33], v[40:41], v[19:20]
	v_fma_f64 v[48:49], v[30:31], v[40:41], v[21:22]
	s_waitcnt vmcnt(1)
	v_fma_f64 v[30:31], v[26:27], v[38:39], v[34:35]
	v_fma_f64 v[32:33], v[28:29], v[38:39], v[36:37]
	global_load_dwordx4 v[19:22], v[42:43], off offset:48
	v_fma_f64 v[38:39], -v[28:29], v[40:41], v[30:31]
	v_fma_f64 v[40:41], v[26:27], v[40:41], v[32:33]
	global_load_dwordx4 v[26:29], v[44:45], off offset:32
	global_load_dwordx4 v[30:33], v[44:45], off offset:48
	s_waitcnt vmcnt(1)
	v_fma_f64 v[34:35], v[15:16], v[26:27], v[46:47]
	v_fma_f64 v[36:37], v[17:18], v[26:27], v[48:49]
	v_fma_f64 v[46:47], -v[17:18], v[28:29], v[34:35]
	v_fma_f64 v[48:49], v[15:16], v[28:29], v[36:37]
	global_load_dwordx4 v[15:18], v[42:43], off offset:160
	global_load_dwordx4 v[34:37], v[42:43], off offset:176
	s_waitcnt vmcnt(1)
	v_fma_f64 v[38:39], v[15:16], v[26:27], v[38:39]
	v_fma_f64 v[26:27], v[17:18], v[26:27], v[40:41]
	v_fma_f64 v[40:41], v[21:22], v[30:31], v[48:49]
	v_fma_f64 v[38:39], -v[17:18], v[28:29], v[38:39]
	v_fma_f64 v[26:27], v[15:16], v[28:29], v[26:27]
	v_fma_f64 v[28:29], v[19:20], v[30:31], v[46:47]
	global_load_dwordx4 v[15:18], v[42:43], off offset:64
	v_fma_f64 v[40:41], v[19:20], v[32:33], v[40:41]
	s_waitcnt vmcnt(1)
	v_fma_f64 v[26:27], v[36:37], v[30:31], v[26:27]
	v_fma_f64 v[46:47], -v[21:22], v[32:33], v[28:29]
	v_fma_f64 v[28:29], v[34:35], v[30:31], v[38:39]
	global_load_dwordx4 v[19:22], v[42:43], off offset:80
	v_fma_f64 v[48:49], v[34:35], v[32:33], v[26:27]
	v_fma_f64 v[38:39], -v[36:37], v[32:33], v[28:29]
	global_load_dwordx4 v[26:29], v[44:45], off offset:64
	global_load_dwordx4 v[30:33], v[44:45], off offset:80
	s_waitcnt vmcnt(1)
	v_fma_f64 v[34:35], v[15:16], v[26:27], v[46:47]
	v_fma_f64 v[36:37], v[17:18], v[26:27], v[40:41]
	v_fma_f64 v[40:41], -v[17:18], v[28:29], v[34:35]
	v_fma_f64 v[46:47], v[15:16], v[28:29], v[36:37]
	global_load_dwordx4 v[15:18], v[42:43], off offset:192
	global_load_dwordx4 v[34:37], v[42:43], off offset:208
	s_waitcnt vmcnt(1)
	v_fma_f64 v[38:39], v[15:16], v[26:27], v[38:39]
	v_fma_f64 v[26:27], v[17:18], v[26:27], v[48:49]
	v_fma_f64 v[38:39], -v[17:18], v[28:29], v[38:39]
	v_fma_f64 v[26:27], v[15:16], v[28:29], v[26:27]
	v_fma_f64 v[28:29], v[19:20], v[30:31], v[40:41]
	;; [unrolled: 1-line block ×3, first 2 shown]
	global_load_dwordx4 v[15:18], v[42:43], off offset:96
	s_waitcnt vmcnt(1)
	v_fma_f64 v[26:27], v[36:37], v[30:31], v[26:27]
	v_fma_f64 v[46:47], -v[21:22], v[32:33], v[28:29]
	v_fma_f64 v[28:29], v[34:35], v[30:31], v[38:39]
	v_fma_f64 v[40:41], v[19:20], v[32:33], v[40:41]
	global_load_dwordx4 v[19:22], v[42:43], off offset:112
	v_fma_f64 v[48:49], v[34:35], v[32:33], v[26:27]
	v_fma_f64 v[38:39], -v[36:37], v[32:33], v[28:29]
	global_load_dwordx4 v[26:29], v[44:45], off offset:96
	global_load_dwordx4 v[30:33], v[44:45], off offset:112
	s_waitcnt vmcnt(1)
	v_fma_f64 v[34:35], v[15:16], v[26:27], v[46:47]
	v_fma_f64 v[36:37], v[17:18], v[26:27], v[40:41]
	v_fma_f64 v[40:41], -v[17:18], v[28:29], v[34:35]
	v_fma_f64 v[44:45], v[15:16], v[28:29], v[36:37]
	global_load_dwordx4 v[15:18], v[42:43], off offset:224
	global_load_dwordx4 v[34:37], v[42:43], off offset:240
	s_waitcnt vmcnt(1)
	v_fma_f64 v[38:39], v[15:16], v[26:27], v[38:39]
	v_fma_f64 v[26:27], v[17:18], v[26:27], v[48:49]
	v_fma_f64 v[17:18], -v[17:18], v[28:29], v[38:39]
	v_fma_f64 v[15:16], v[15:16], v[28:29], v[26:27]
	v_fma_f64 v[26:27], v[19:20], v[30:31], v[40:41]
	;; [unrolled: 1-line block ×3, first 2 shown]
	s_waitcnt vmcnt(0)
	v_fma_f64 v[17:18], v[34:35], v[30:31], v[17:18]
	v_fma_f64 v[30:31], v[36:37], v[30:31], v[15:16]
	v_fma_f64 v[21:22], -v[21:22], v[32:33], v[26:27]
	v_fma_f64 v[19:20], v[19:20], v[32:33], v[28:29]
	v_fma_f64 v[15:16], -v[36:37], v[32:33], v[17:18]
	v_fma_f64 v[17:18], v[34:35], v[32:33], v[30:31]
	s_andn2_b64 exec, exec, s[0:1]
	s_cbranch_execnz .LBB262_13
; %bb.14:
	s_or_b64 exec, exec, s[0:1]
.LBB262_15:
	s_or_b64 exec, exec, s[6:7]
.LBB262_16:
	v_mov_b32_dpp v10, v21 row_shr:1 row_mask:0xf bank_mask:0xf
	v_mov_b32_dpp v11, v22 row_shr:1 row_mask:0xf bank_mask:0xf
	v_add_f64 v[10:11], v[21:22], v[10:11]
	v_mov_b32_dpp v12, v19 row_shr:1 row_mask:0xf bank_mask:0xf
	v_mov_b32_dpp v13, v20 row_shr:1 row_mask:0xf bank_mask:0xf
	v_add_f64 v[12:13], v[19:20], v[12:13]
	v_mov_b32_dpp v14, v17 row_shr:1 row_mask:0xf bank_mask:0xf
	v_cmp_eq_u32_e32 vcc, 63, v0
	v_mov_b32_dpp v19, v10 row_shr:2 row_mask:0xf bank_mask:0xf
	v_mov_b32_dpp v20, v11 row_shr:2 row_mask:0xf bank_mask:0xf
	v_add_f64 v[10:11], v[10:11], v[19:20]
	v_mov_b32_dpp v19, v15 row_shr:1 row_mask:0xf bank_mask:0xf
	v_mov_b32_dpp v20, v16 row_shr:1 row_mask:0xf bank_mask:0xf
	v_add_f64 v[19:20], v[15:16], v[19:20]
	v_mov_b32_dpp v15, v18 row_shr:1 row_mask:0xf bank_mask:0xf
	v_add_f64 v[14:15], v[17:18], v[14:15]
	v_mov_b32_dpp v16, v12 row_shr:2 row_mask:0xf bank_mask:0xf
	v_mov_b32_dpp v17, v10 row_shr:4 row_mask:0xf bank_mask:0xe
	;; [unrolled: 1-line block ×3, first 2 shown]
	v_add_f64 v[10:11], v[10:11], v[17:18]
	v_mov_b32_dpp v17, v13 row_shr:2 row_mask:0xf bank_mask:0xf
	v_mov_b32_dpp v21, v19 row_shr:2 row_mask:0xf bank_mask:0xf
	;; [unrolled: 1-line block ×3, first 2 shown]
	v_add_f64 v[12:13], v[12:13], v[16:17]
	v_mov_b32_dpp v16, v14 row_shr:2 row_mask:0xf bank_mask:0xf
	v_add_f64 v[18:19], v[19:20], v[21:22]
	v_mov_b32_dpp v17, v15 row_shr:2 row_mask:0xf bank_mask:0xf
	;; [unrolled: 2-line block ×3, first 2 shown]
	v_mov_b32_dpp v21, v11 row_shr:8 row_mask:0xf bank_mask:0xc
	v_add_f64 v[10:11], v[10:11], v[20:21]
	v_mov_b32_dpp v16, v12 row_shr:4 row_mask:0xf bank_mask:0xe
	v_mov_b32_dpp v17, v13 row_shr:4 row_mask:0xf bank_mask:0xe
	;; [unrolled: 1-line block ×3, first 2 shown]
	v_add_f64 v[12:13], v[12:13], v[16:17]
	v_mov_b32_dpp v21, v19 row_shr:4 row_mask:0xf bank_mask:0xe
	v_add_f64 v[16:17], v[18:19], v[20:21]
	v_mov_b32_dpp v19, v14 row_shr:4 row_mask:0xf bank_mask:0xe
	v_mov_b32_dpp v20, v15 row_shr:4 row_mask:0xf bank_mask:0xe
	v_add_f64 v[14:15], v[14:15], v[19:20]
	v_mov_b32_dpp v18, v10 row_bcast:15 row_mask:0xa bank_mask:0xf
	v_mov_b32_dpp v19, v11 row_bcast:15 row_mask:0xa bank_mask:0xf
	v_mov_b32_dpp v20, v12 row_shr:8 row_mask:0xf bank_mask:0xc
	v_mov_b32_dpp v21, v13 row_shr:8 row_mask:0xf bank_mask:0xc
	v_add_f64 v[12:13], v[12:13], v[20:21]
	v_mov_b32_dpp v20, v16 row_shr:8 row_mask:0xf bank_mask:0xc
	v_mov_b32_dpp v21, v17 row_shr:8 row_mask:0xf bank_mask:0xc
	v_add_f64 v[16:17], v[16:17], v[20:21]
	;; [unrolled: 3-line block ×3, first 2 shown]
	v_add_f64 v[10:11], v[10:11], v[18:19]
	v_mov_b32_dpp v18, v12 row_bcast:15 row_mask:0xa bank_mask:0xf
	v_mov_b32_dpp v19, v13 row_bcast:15 row_mask:0xa bank_mask:0xf
	v_add_f64 v[12:13], v[12:13], v[18:19]
	v_mov_b32_dpp v18, v16 row_bcast:15 row_mask:0xa bank_mask:0xf
	v_mov_b32_dpp v19, v17 row_bcast:15 row_mask:0xa bank_mask:0xf
	;; [unrolled: 3-line block ×4, first 2 shown]
	v_mov_b32_dpp v16, v12 row_bcast:31 row_mask:0xc bank_mask:0xf
	v_mov_b32_dpp v17, v13 row_bcast:31 row_mask:0xc bank_mask:0xf
	;; [unrolled: 1-line block ×6, first 2 shown]
	s_and_b64 exec, exec, vcc
	s_cbranch_execz .LBB262_21
; %bb.17:
	v_cmp_eq_f64_e32 vcc, 0, v[5:6]
	v_cmp_eq_f64_e64 s[0:1], 0, v[7:8]
	v_add_f64 v[10:11], v[10:11], v[24:25]
	v_add_f64 v[16:17], v[12:13], v[16:17]
	v_add_f64 v[12:13], v[18:19], v[22:23]
	v_add_f64 v[14:15], v[14:15], v[20:21]
	s_load_dwordx2 s[2:3], s[4:5], 0x48
	s_and_b64 s[0:1], vcc, s[0:1]
	s_and_saveexec_b64 s[4:5], s[0:1]
	s_xor_b64 s[0:1], exec, s[4:5]
	s_cbranch_execz .LBB262_19
; %bb.18:
	v_mul_f64 v[5:6], v[16:17], -v[3:4]
	v_mul_f64 v[7:8], v[1:2], v[16:17]
	v_mul_f64 v[16:17], v[14:15], -v[3:4]
	v_mul_f64 v[14:15], v[1:2], v[14:15]
	v_lshlrev_b32_e32 v9, 1, v9
	s_waitcnt lgkmcnt(0)
	v_mov_b32_e32 v18, s3
	v_fma_f64 v[5:6], v[1:2], v[10:11], v[5:6]
	v_fma_f64 v[7:8], v[3:4], v[10:11], v[7:8]
	;; [unrolled: 1-line block ×4, first 2 shown]
	v_ashrrev_i32_e32 v10, 31, v9
	v_lshlrev_b64 v[9:10], 4, v[9:10]
                                        ; implicit-def: $vgpr16_vgpr17
                                        ; implicit-def: $vgpr12_vgpr13
                                        ; implicit-def: $vgpr14_vgpr15
	v_add_co_u32_e32 v9, vcc, s2, v9
	v_addc_co_u32_e32 v10, vcc, v18, v10, vcc
	global_store_dwordx4 v[9:10], v[5:8], off
	global_store_dwordx4 v[9:10], v[0:3], off offset:16
                                        ; implicit-def: $vgpr9
                                        ; implicit-def: $vgpr10_vgpr11
                                        ; implicit-def: $vgpr7_vgpr8
                                        ; implicit-def: $vgpr3_vgpr4
.LBB262_19:
	s_andn2_saveexec_b64 s[0:1], s[0:1]
	s_cbranch_execz .LBB262_21
; %bb.20:
	v_lshlrev_b32_e32 v18, 1, v9
	v_ashrrev_i32_e32 v19, 31, v18
	v_lshlrev_b64 v[18:19], 4, v[18:19]
	s_waitcnt lgkmcnt(0)
	v_mov_b32_e32 v0, s3
	v_add_co_u32_e32 v26, vcc, s2, v18
	v_addc_co_u32_e32 v27, vcc, v0, v19, vcc
	global_load_dwordx4 v[18:21], v[26:27], off
	global_load_dwordx4 v[22:25], v[26:27], off offset:16
	v_mul_f64 v[28:29], v[16:17], -v[3:4]
	v_mul_f64 v[16:17], v[1:2], v[16:17]
	v_mul_f64 v[30:31], v[14:15], -v[3:4]
	v_mul_f64 v[14:15], v[1:2], v[14:15]
	v_fma_f64 v[28:29], v[1:2], v[10:11], v[28:29]
	v_fma_f64 v[9:10], v[3:4], v[10:11], v[16:17]
	;; [unrolled: 1-line block ×4, first 2 shown]
	s_waitcnt vmcnt(1)
	v_fma_f64 v[11:12], v[5:6], v[18:19], v[28:29]
	v_fma_f64 v[9:10], v[7:8], v[18:19], v[9:10]
	s_waitcnt vmcnt(0)
	v_fma_f64 v[13:14], v[5:6], v[22:23], v[0:1]
	v_fma_f64 v[15:16], v[7:8], v[22:23], v[2:3]
	v_fma_f64 v[0:1], -v[7:8], v[20:21], v[11:12]
	v_fma_f64 v[2:3], v[5:6], v[20:21], v[9:10]
	v_fma_f64 v[7:8], -v[7:8], v[24:25], v[13:14]
	v_fma_f64 v[9:10], v[5:6], v[24:25], v[15:16]
	global_store_dwordx4 v[26:27], v[0:3], off
	global_store_dwordx4 v[26:27], v[7:10], off offset:16
.LBB262_21:
	s_endpgm
	.section	.rodata,"a",@progbits
	.p2align	6, 0x0
	.amdhsa_kernel _ZN9rocsparseL19gebsrmvn_2xn_kernelILj128ELj8ELj64E21rocsparse_complex_numIdEEEvi20rocsparse_direction_NS_24const_host_device_scalarIT2_EEPKiS8_PKS5_SA_S6_PS5_21rocsparse_index_base_b
		.amdhsa_group_segment_fixed_size 0
		.amdhsa_private_segment_fixed_size 0
		.amdhsa_kernarg_size 88
		.amdhsa_user_sgpr_count 6
		.amdhsa_user_sgpr_private_segment_buffer 1
		.amdhsa_user_sgpr_dispatch_ptr 0
		.amdhsa_user_sgpr_queue_ptr 0
		.amdhsa_user_sgpr_kernarg_segment_ptr 1
		.amdhsa_user_sgpr_dispatch_id 0
		.amdhsa_user_sgpr_flat_scratch_init 0
		.amdhsa_user_sgpr_private_segment_size 0
		.amdhsa_uses_dynamic_stack 0
		.amdhsa_system_sgpr_private_segment_wavefront_offset 0
		.amdhsa_system_sgpr_workgroup_id_x 1
		.amdhsa_system_sgpr_workgroup_id_y 0
		.amdhsa_system_sgpr_workgroup_id_z 0
		.amdhsa_system_sgpr_workgroup_info 0
		.amdhsa_system_vgpr_workitem_id 0
		.amdhsa_next_free_vgpr 50
		.amdhsa_next_free_sgpr 16
		.amdhsa_reserve_vcc 1
		.amdhsa_reserve_flat_scratch 0
		.amdhsa_float_round_mode_32 0
		.amdhsa_float_round_mode_16_64 0
		.amdhsa_float_denorm_mode_32 3
		.amdhsa_float_denorm_mode_16_64 3
		.amdhsa_dx10_clamp 1
		.amdhsa_ieee_mode 1
		.amdhsa_fp16_overflow 0
		.amdhsa_exception_fp_ieee_invalid_op 0
		.amdhsa_exception_fp_denorm_src 0
		.amdhsa_exception_fp_ieee_div_zero 0
		.amdhsa_exception_fp_ieee_overflow 0
		.amdhsa_exception_fp_ieee_underflow 0
		.amdhsa_exception_fp_ieee_inexact 0
		.amdhsa_exception_int_div_zero 0
	.end_amdhsa_kernel
	.section	.text._ZN9rocsparseL19gebsrmvn_2xn_kernelILj128ELj8ELj64E21rocsparse_complex_numIdEEEvi20rocsparse_direction_NS_24const_host_device_scalarIT2_EEPKiS8_PKS5_SA_S6_PS5_21rocsparse_index_base_b,"axG",@progbits,_ZN9rocsparseL19gebsrmvn_2xn_kernelILj128ELj8ELj64E21rocsparse_complex_numIdEEEvi20rocsparse_direction_NS_24const_host_device_scalarIT2_EEPKiS8_PKS5_SA_S6_PS5_21rocsparse_index_base_b,comdat
.Lfunc_end262:
	.size	_ZN9rocsparseL19gebsrmvn_2xn_kernelILj128ELj8ELj64E21rocsparse_complex_numIdEEEvi20rocsparse_direction_NS_24const_host_device_scalarIT2_EEPKiS8_PKS5_SA_S6_PS5_21rocsparse_index_base_b, .Lfunc_end262-_ZN9rocsparseL19gebsrmvn_2xn_kernelILj128ELj8ELj64E21rocsparse_complex_numIdEEEvi20rocsparse_direction_NS_24const_host_device_scalarIT2_EEPKiS8_PKS5_SA_S6_PS5_21rocsparse_index_base_b
                                        ; -- End function
	.set _ZN9rocsparseL19gebsrmvn_2xn_kernelILj128ELj8ELj64E21rocsparse_complex_numIdEEEvi20rocsparse_direction_NS_24const_host_device_scalarIT2_EEPKiS8_PKS5_SA_S6_PS5_21rocsparse_index_base_b.num_vgpr, 50
	.set _ZN9rocsparseL19gebsrmvn_2xn_kernelILj128ELj8ELj64E21rocsparse_complex_numIdEEEvi20rocsparse_direction_NS_24const_host_device_scalarIT2_EEPKiS8_PKS5_SA_S6_PS5_21rocsparse_index_base_b.num_agpr, 0
	.set _ZN9rocsparseL19gebsrmvn_2xn_kernelILj128ELj8ELj64E21rocsparse_complex_numIdEEEvi20rocsparse_direction_NS_24const_host_device_scalarIT2_EEPKiS8_PKS5_SA_S6_PS5_21rocsparse_index_base_b.numbered_sgpr, 16
	.set _ZN9rocsparseL19gebsrmvn_2xn_kernelILj128ELj8ELj64E21rocsparse_complex_numIdEEEvi20rocsparse_direction_NS_24const_host_device_scalarIT2_EEPKiS8_PKS5_SA_S6_PS5_21rocsparse_index_base_b.num_named_barrier, 0
	.set _ZN9rocsparseL19gebsrmvn_2xn_kernelILj128ELj8ELj64E21rocsparse_complex_numIdEEEvi20rocsparse_direction_NS_24const_host_device_scalarIT2_EEPKiS8_PKS5_SA_S6_PS5_21rocsparse_index_base_b.private_seg_size, 0
	.set _ZN9rocsparseL19gebsrmvn_2xn_kernelILj128ELj8ELj64E21rocsparse_complex_numIdEEEvi20rocsparse_direction_NS_24const_host_device_scalarIT2_EEPKiS8_PKS5_SA_S6_PS5_21rocsparse_index_base_b.uses_vcc, 1
	.set _ZN9rocsparseL19gebsrmvn_2xn_kernelILj128ELj8ELj64E21rocsparse_complex_numIdEEEvi20rocsparse_direction_NS_24const_host_device_scalarIT2_EEPKiS8_PKS5_SA_S6_PS5_21rocsparse_index_base_b.uses_flat_scratch, 0
	.set _ZN9rocsparseL19gebsrmvn_2xn_kernelILj128ELj8ELj64E21rocsparse_complex_numIdEEEvi20rocsparse_direction_NS_24const_host_device_scalarIT2_EEPKiS8_PKS5_SA_S6_PS5_21rocsparse_index_base_b.has_dyn_sized_stack, 0
	.set _ZN9rocsparseL19gebsrmvn_2xn_kernelILj128ELj8ELj64E21rocsparse_complex_numIdEEEvi20rocsparse_direction_NS_24const_host_device_scalarIT2_EEPKiS8_PKS5_SA_S6_PS5_21rocsparse_index_base_b.has_recursion, 0
	.set _ZN9rocsparseL19gebsrmvn_2xn_kernelILj128ELj8ELj64E21rocsparse_complex_numIdEEEvi20rocsparse_direction_NS_24const_host_device_scalarIT2_EEPKiS8_PKS5_SA_S6_PS5_21rocsparse_index_base_b.has_indirect_call, 0
	.section	.AMDGPU.csdata,"",@progbits
; Kernel info:
; codeLenInByte = 3168
; TotalNumSgprs: 20
; NumVgprs: 50
; ScratchSize: 0
; MemoryBound: 1
; FloatMode: 240
; IeeeMode: 1
; LDSByteSize: 0 bytes/workgroup (compile time only)
; SGPRBlocks: 2
; VGPRBlocks: 12
; NumSGPRsForWavesPerEU: 20
; NumVGPRsForWavesPerEU: 50
; Occupancy: 4
; WaveLimiterHint : 1
; COMPUTE_PGM_RSRC2:SCRATCH_EN: 0
; COMPUTE_PGM_RSRC2:USER_SGPR: 6
; COMPUTE_PGM_RSRC2:TRAP_HANDLER: 0
; COMPUTE_PGM_RSRC2:TGID_X_EN: 1
; COMPUTE_PGM_RSRC2:TGID_Y_EN: 0
; COMPUTE_PGM_RSRC2:TGID_Z_EN: 0
; COMPUTE_PGM_RSRC2:TIDIG_COMP_CNT: 0
	.section	.text._ZN9rocsparseL19gebsrmvn_2xn_kernelILj128ELj9ELj4E21rocsparse_complex_numIdEEEvi20rocsparse_direction_NS_24const_host_device_scalarIT2_EEPKiS8_PKS5_SA_S6_PS5_21rocsparse_index_base_b,"axG",@progbits,_ZN9rocsparseL19gebsrmvn_2xn_kernelILj128ELj9ELj4E21rocsparse_complex_numIdEEEvi20rocsparse_direction_NS_24const_host_device_scalarIT2_EEPKiS8_PKS5_SA_S6_PS5_21rocsparse_index_base_b,comdat
	.globl	_ZN9rocsparseL19gebsrmvn_2xn_kernelILj128ELj9ELj4E21rocsparse_complex_numIdEEEvi20rocsparse_direction_NS_24const_host_device_scalarIT2_EEPKiS8_PKS5_SA_S6_PS5_21rocsparse_index_base_b ; -- Begin function _ZN9rocsparseL19gebsrmvn_2xn_kernelILj128ELj9ELj4E21rocsparse_complex_numIdEEEvi20rocsparse_direction_NS_24const_host_device_scalarIT2_EEPKiS8_PKS5_SA_S6_PS5_21rocsparse_index_base_b
	.p2align	8
	.type	_ZN9rocsparseL19gebsrmvn_2xn_kernelILj128ELj9ELj4E21rocsparse_complex_numIdEEEvi20rocsparse_direction_NS_24const_host_device_scalarIT2_EEPKiS8_PKS5_SA_S6_PS5_21rocsparse_index_base_b,@function
_ZN9rocsparseL19gebsrmvn_2xn_kernelILj128ELj9ELj4E21rocsparse_complex_numIdEEEvi20rocsparse_direction_NS_24const_host_device_scalarIT2_EEPKiS8_PKS5_SA_S6_PS5_21rocsparse_index_base_b: ; @_ZN9rocsparseL19gebsrmvn_2xn_kernelILj128ELj9ELj4E21rocsparse_complex_numIdEEEvi20rocsparse_direction_NS_24const_host_device_scalarIT2_EEPKiS8_PKS5_SA_S6_PS5_21rocsparse_index_base_b
; %bb.0:
	s_load_dwordx2 s[0:1], s[4:5], 0x8
	s_load_dwordx2 s[8:9], s[4:5], 0x38
	;; [unrolled: 1-line block ×3, first 2 shown]
	s_add_u32 s7, s4, 8
	s_addc_u32 s10, s5, 0
	s_add_u32 s11, s4, 56
	s_addc_u32 s12, s5, 0
	s_waitcnt lgkmcnt(0)
	s_bitcmp1_b32 s3, 0
	s_cselect_b32 s1, s10, s1
	s_cselect_b32 s0, s7, s0
	v_mov_b32_e32 v1, s0
	v_mov_b32_e32 v2, s1
	flat_load_dwordx4 v[1:4], v[1:2]
	s_cselect_b32 s0, s12, s9
	s_cselect_b32 s1, s11, s8
	v_mov_b32_e32 v5, s1
	v_mov_b32_e32 v6, s0
	flat_load_dwordx4 v[5:8], v[5:6]
	s_waitcnt vmcnt(0) lgkmcnt(0)
	v_cmp_eq_f64_e32 vcc, 0, v[1:2]
	v_cmp_eq_f64_e64 s[0:1], 0, v[3:4]
	s_and_b64 s[10:11], vcc, s[0:1]
	s_mov_b64 s[0:1], -1
	s_and_saveexec_b64 s[8:9], s[10:11]
	s_cbranch_execz .LBB263_2
; %bb.1:
	v_cmp_neq_f64_e32 vcc, 1.0, v[5:6]
	v_cmp_neq_f64_e64 s[0:1], 0, v[7:8]
	s_or_b64 s[0:1], vcc, s[0:1]
	s_orn2_b64 s[0:1], s[0:1], exec
.LBB263_2:
	s_or_b64 exec, exec, s[8:9]
	s_and_saveexec_b64 s[8:9], s[0:1]
	s_cbranch_execz .LBB263_21
; %bb.3:
	s_load_dwordx2 s[0:1], s[4:5], 0x0
	v_lshrrev_b32_e32 v9, 2, v0
	v_lshl_or_b32 v9, s6, 5, v9
	s_waitcnt lgkmcnt(0)
	v_cmp_gt_i32_e32 vcc, s0, v9
	s_and_b64 exec, exec, vcc
	s_cbranch_execz .LBB263_21
; %bb.4:
	s_load_dwordx8 s[8:15], s[4:5], 0x18
	v_ashrrev_i32_e32 v10, 31, v9
	v_lshlrev_b64 v[10:11], 2, v[9:10]
	v_and_b32_e32 v0, 3, v0
	s_cmp_lg_u32 s1, 0
	s_waitcnt lgkmcnt(0)
	v_mov_b32_e32 v12, s9
	v_add_co_u32_e32 v10, vcc, s8, v10
	v_addc_co_u32_e32 v11, vcc, v12, v11, vcc
	global_load_dwordx2 v[10:11], v[10:11], off
	s_waitcnt vmcnt(0)
	v_subrev_u32_e32 v10, s2, v10
	v_subrev_u32_e32 v27, s2, v11
	v_add_u32_e32 v10, v10, v0
	v_cmp_lt_i32_e64 s[0:1], v10, v27
	s_cbranch_scc0 .LBB263_10
; %bb.5:
	v_mov_b32_e32 v12, 0
	v_mov_b32_e32 v18, 0
	;; [unrolled: 1-line block ×8, first 2 shown]
	s_and_saveexec_b64 s[6:7], s[0:1]
	s_cbranch_execz .LBB263_9
; %bb.6:
	v_mad_u64_u32 v[20:21], s[8:9], v10, 18, 16
	v_mov_b32_e32 v12, 0
	v_mov_b32_e32 v18, 0
	;; [unrolled: 1-line block ×5, first 2 shown]
	s_mov_b64 s[8:9], 0
	v_mov_b32_e32 v11, s11
	v_mov_b32_e32 v23, 0
	;; [unrolled: 1-line block ×8, first 2 shown]
.LBB263_7:                              ; =>This Inner Loop Header: Depth=1
	v_ashrrev_i32_e32 v25, 31, v24
	v_lshlrev_b64 v[30:31], 2, v[24:25]
	v_add_u32_e32 v22, -16, v20
	v_lshlrev_b64 v[32:33], 4, v[22:23]
	v_add_co_u32_e32 v38, vcc, s10, v30
	v_mov_b32_e32 v21, v23
	v_addc_co_u32_e32 v39, vcc, v11, v31, vcc
	v_lshlrev_b64 v[34:35], 4, v[20:21]
	v_add_co_u32_e32 v40, vcc, s12, v32
	v_addc_co_u32_e32 v41, vcc, v28, v33, vcc
	v_add_co_u32_e32 v50, vcc, s12, v34
	v_addc_co_u32_e32 v51, vcc, v28, v35, vcc
	global_load_dword v25, v[38:39], off
	global_load_dwordx4 v[30:33], v[40:41], off
	global_load_dwordx4 v[34:37], v[40:41], off offset:16
	v_add_u32_e32 v22, -14, v20
	v_lshlrev_b64 v[21:22], 4, v[22:23]
	v_mov_b32_e32 v26, v23
	v_add_co_u32_e32 v21, vcc, s12, v21
	v_addc_co_u32_e32 v22, vcc, v28, v22, vcc
	global_load_dwordx4 v[38:41], v[21:22], off
	global_load_dwordx4 v[42:45], v[21:22], off offset:16
	v_add_u32_e32 v24, 4, v24
	s_waitcnt vmcnt(4)
	v_subrev_u32_e32 v21, s2, v25
	v_lshl_add_u32 v25, v21, 3, v21
	v_lshlrev_b64 v[46:47], 4, v[25:26]
	v_add_u32_e32 v22, 1, v25
	v_add_co_u32_e32 v46, vcc, s14, v46
	v_addc_co_u32_e32 v47, vcc, v29, v47, vcc
	global_load_dwordx4 v[46:49], v[46:47], off
	v_lshlrev_b64 v[52:53], 4, v[22:23]
	v_add_u32_e32 v22, -12, v20
	s_waitcnt vmcnt(0)
	v_fma_f64 v[12:13], v[32:33], v[46:47], v[12:13]
	v_fma_f64 v[14:15], v[36:37], v[46:47], v[14:15]
	;; [unrolled: 1-line block ×5, first 2 shown]
	v_add_co_u32_e32 v12, vcc, s14, v52
	v_addc_co_u32_e32 v13, vcc, v29, v53, vcc
	v_fma_f64 v[34:35], v[34:35], v[48:49], v[14:15]
	global_load_dwordx4 v[12:15], v[12:13], off
	v_fma_f64 v[32:33], -v[32:33], v[48:49], v[18:19]
	v_fma_f64 v[36:37], -v[36:37], v[48:49], v[16:17]
	v_lshlrev_b64 v[18:19], 4, v[22:23]
	v_add_u32_e32 v22, 2, v25
	v_lshlrev_b64 v[52:53], 4, v[22:23]
	v_add_co_u32_e32 v46, vcc, s12, v18
	v_addc_co_u32_e32 v47, vcc, v28, v19, vcc
	v_add_co_u32_e32 v52, vcc, s14, v52
	v_addc_co_u32_e32 v53, vcc, v29, v53, vcc
	global_load_dwordx4 v[16:19], v[46:47], off
	v_add_u32_e32 v22, -10, v20
	v_lshlrev_b64 v[48:49], 4, v[22:23]
	v_add_u32_e32 v22, 3, v25
	v_add_co_u32_e32 v48, vcc, s12, v48
	v_addc_co_u32_e32 v49, vcc, v28, v49, vcc
	s_waitcnt vmcnt(1)
	v_fma_f64 v[32:33], v[38:39], v[12:13], v[32:33]
	v_fma_f64 v[30:31], v[40:41], v[12:13], v[30:31]
	;; [unrolled: 1-line block ×4, first 2 shown]
	v_fma_f64 v[40:41], -v[40:41], v[14:15], v[32:33]
	v_fma_f64 v[38:39], v[38:39], v[14:15], v[30:31]
	global_load_dwordx4 v[30:33], v[46:47], off offset:16
	v_fma_f64 v[44:45], -v[44:45], v[14:15], v[36:37]
	v_fma_f64 v[42:43], v[42:43], v[14:15], v[12:13]
	global_load_dwordx4 v[12:15], v[52:53], off
	v_lshlrev_b64 v[46:47], 4, v[22:23]
	global_load_dwordx4 v[34:37], v[48:49], off
	v_add_co_u32_e32 v46, vcc, s14, v46
	v_addc_co_u32_e32 v47, vcc, v29, v47, vcc
	v_add_u32_e32 v22, -8, v20
	v_lshlrev_b64 v[52:53], 4, v[22:23]
	v_add_u32_e32 v22, 4, v25
	s_waitcnt vmcnt(1)
	v_fma_f64 v[40:41], v[16:17], v[12:13], v[40:41]
	v_fma_f64 v[38:39], v[18:19], v[12:13], v[38:39]
	;; [unrolled: 1-line block ×4, first 2 shown]
	v_fma_f64 v[40:41], -v[18:19], v[14:15], v[40:41]
	v_fma_f64 v[38:39], v[16:17], v[14:15], v[38:39]
	global_load_dwordx4 v[16:19], v[48:49], off offset:16
	v_fma_f64 v[42:43], -v[32:33], v[14:15], v[44:45]
	v_fma_f64 v[44:45], v[30:31], v[14:15], v[12:13]
	global_load_dwordx4 v[12:15], v[46:47], off
	v_lshlrev_b64 v[48:49], 4, v[22:23]
	v_add_co_u32_e32 v46, vcc, s12, v52
	v_addc_co_u32_e32 v47, vcc, v28, v53, vcc
	v_add_co_u32_e32 v48, vcc, s14, v48
	v_addc_co_u32_e32 v49, vcc, v29, v49, vcc
	global_load_dwordx4 v[30:33], v[46:47], off
	v_add_u32_e32 v22, -6, v20
	v_lshlrev_b64 v[52:53], 4, v[22:23]
	v_add_u32_e32 v22, 5, v25
	s_waitcnt vmcnt(1)
	v_fma_f64 v[40:41], v[34:35], v[12:13], v[40:41]
	v_fma_f64 v[38:39], v[36:37], v[12:13], v[38:39]
	;; [unrolled: 1-line block ×4, first 2 shown]
	v_fma_f64 v[40:41], -v[36:37], v[14:15], v[40:41]
	v_fma_f64 v[38:39], v[34:35], v[14:15], v[38:39]
	global_load_dwordx4 v[34:37], v[46:47], off offset:16
	v_fma_f64 v[42:43], -v[18:19], v[14:15], v[42:43]
	v_fma_f64 v[44:45], v[16:17], v[14:15], v[12:13]
	global_load_dwordx4 v[12:15], v[48:49], off
	v_lshlrev_b64 v[46:47], 4, v[22:23]
	v_add_co_u32_e32 v48, vcc, s12, v52
	v_addc_co_u32_e32 v49, vcc, v28, v53, vcc
	v_add_co_u32_e32 v46, vcc, s14, v46
	v_addc_co_u32_e32 v47, vcc, v29, v47, vcc
	global_load_dwordx4 v[16:19], v[48:49], off
	v_add_u32_e32 v22, -4, v20
	v_lshlrev_b64 v[52:53], 4, v[22:23]
	v_add_u32_e32 v22, 6, v25
	s_waitcnt vmcnt(1)
	v_fma_f64 v[40:41], v[30:31], v[12:13], v[40:41]
	v_fma_f64 v[38:39], v[32:33], v[12:13], v[38:39]
	;; [unrolled: 1-line block ×4, first 2 shown]
	v_fma_f64 v[40:41], -v[32:33], v[14:15], v[40:41]
	v_fma_f64 v[38:39], v[30:31], v[14:15], v[38:39]
	v_fma_f64 v[42:43], -v[36:37], v[14:15], v[42:43]
	v_fma_f64 v[44:45], v[34:35], v[14:15], v[12:13]
	global_load_dwordx4 v[12:15], v[46:47], off
	global_load_dwordx4 v[30:33], v[48:49], off offset:16
	v_lshlrev_b64 v[48:49], 4, v[22:23]
	v_add_co_u32_e32 v46, vcc, s12, v52
	v_addc_co_u32_e32 v47, vcc, v28, v53, vcc
	v_add_co_u32_e32 v48, vcc, s14, v48
	v_addc_co_u32_e32 v49, vcc, v29, v49, vcc
	global_load_dwordx4 v[34:37], v[46:47], off
	v_add_u32_e32 v22, -2, v20
	v_lshlrev_b64 v[52:53], 4, v[22:23]
	v_add_u32_e32 v22, 7, v25
	v_lshlrev_b64 v[21:22], 4, v[22:23]
	v_add_u32_e32 v20, 0x48, v20
	s_waitcnt vmcnt(2)
	v_fma_f64 v[38:39], v[18:19], v[12:13], v[38:39]
	v_fma_f64 v[40:41], v[16:17], v[12:13], v[40:41]
	;; [unrolled: 1-line block ×3, first 2 shown]
	s_waitcnt vmcnt(1)
	v_fma_f64 v[38:39], v[30:31], v[12:13], v[42:43]
	v_fma_f64 v[12:13], v[32:33], v[12:13], v[44:45]
	v_fma_f64 v[54:55], -v[18:19], v[14:15], v[40:41]
	global_load_dwordx4 v[16:19], v[46:47], off offset:16
	v_add_co_u32_e32 v46, vcc, s12, v52
	v_addc_co_u32_e32 v47, vcc, v28, v53, vcc
	v_fma_f64 v[42:43], -v[32:33], v[14:15], v[38:39]
	v_fma_f64 v[44:45], v[30:31], v[14:15], v[12:13]
	global_load_dwordx4 v[12:15], v[48:49], off
	global_load_dwordx4 v[30:33], v[46:47], off
	global_load_dwordx4 v[38:41], v[46:47], off offset:16
	v_add_co_u32_e32 v21, vcc, s14, v21
	v_addc_co_u32_e32 v22, vcc, v29, v22, vcc
	s_waitcnt vmcnt(2)
	v_fma_f64 v[46:47], v[34:35], v[12:13], v[54:55]
	v_fma_f64 v[48:49], v[36:37], v[12:13], v[56:57]
	v_fma_f64 v[52:53], -v[36:37], v[14:15], v[46:47]
	v_fma_f64 v[54:55], v[34:35], v[14:15], v[48:49]
	global_load_dwordx4 v[34:37], v[21:22], off
	v_fma_f64 v[21:22], v[16:17], v[12:13], v[42:43]
	v_fma_f64 v[12:13], v[18:19], v[12:13], v[44:45]
	v_fma_f64 v[18:19], -v[18:19], v[14:15], v[21:22]
	v_add_u32_e32 v22, 8, v25
	v_lshlrev_b64 v[21:22], 4, v[22:23]
	v_fma_f64 v[16:17], v[16:17], v[14:15], v[12:13]
	v_add_co_u32_e32 v21, vcc, s14, v21
	v_addc_co_u32_e32 v22, vcc, v29, v22, vcc
	global_load_dwordx4 v[12:15], v[50:51], off
	global_load_dwordx4 v[42:45], v[50:51], off offset:16
	global_load_dwordx4 v[46:49], v[21:22], off
	v_cmp_ge_i32_e32 vcc, v24, v27
	s_or_b64 s[8:9], vcc, s[8:9]
	s_waitcnt vmcnt(3)
	v_fma_f64 v[21:22], v[30:31], v[34:35], v[52:53]
	v_fma_f64 v[25:26], v[32:33], v[34:35], v[54:55]
	v_fma_f64 v[18:19], v[38:39], v[34:35], v[18:19]
	v_fma_f64 v[16:17], v[40:41], v[34:35], v[16:17]
	v_fma_f64 v[21:22], -v[32:33], v[36:37], v[21:22]
	v_fma_f64 v[25:26], v[30:31], v[36:37], v[25:26]
	v_fma_f64 v[18:19], -v[40:41], v[36:37], v[18:19]
	v_fma_f64 v[16:17], v[38:39], v[36:37], v[16:17]
	s_waitcnt vmcnt(0)
	v_fma_f64 v[21:22], v[12:13], v[46:47], v[21:22]
	v_fma_f64 v[25:26], v[14:15], v[46:47], v[25:26]
	;; [unrolled: 1-line block ×4, first 2 shown]
	v_fma_f64 v[18:19], -v[14:15], v[48:49], v[21:22]
	v_fma_f64 v[12:13], v[12:13], v[48:49], v[25:26]
	v_fma_f64 v[16:17], -v[44:45], v[48:49], v[30:31]
	v_fma_f64 v[14:15], v[42:43], v[48:49], v[32:33]
	s_andn2_b64 exec, exec, s[8:9]
	s_cbranch_execnz .LBB263_7
; %bb.8:
	s_or_b64 exec, exec, s[8:9]
.LBB263_9:
	s_or_b64 exec, exec, s[6:7]
	s_cbranch_execz .LBB263_11
	s_branch .LBB263_16
.LBB263_10:
                                        ; implicit-def: $vgpr12_vgpr13
                                        ; implicit-def: $vgpr18_vgpr19
                                        ; implicit-def: $vgpr16_vgpr17
                                        ; implicit-def: $vgpr14_vgpr15
.LBB263_11:
	v_mov_b32_e32 v12, 0
	v_mov_b32_e32 v18, 0
	;; [unrolled: 1-line block ×8, first 2 shown]
	s_and_saveexec_b64 s[6:7], s[0:1]
	s_cbranch_execz .LBB263_15
; %bb.12:
	v_mad_u64_u32 v[20:21], s[0:1], v10, 18, 17
	v_mov_b32_e32 v12, 0
	v_mov_b32_e32 v18, 0
	;; [unrolled: 1-line block ×5, first 2 shown]
	s_mov_b64 s[0:1], 0
	v_mov_b32_e32 v26, s11
	v_mov_b32_e32 v23, 0
	;; [unrolled: 1-line block ×7, first 2 shown]
.LBB263_13:                             ; =>This Inner Loop Header: Depth=1
	v_ashrrev_i32_e32 v11, 31, v10
	v_lshlrev_b64 v[32:33], 2, v[10:11]
	v_subrev_u32_e32 v22, 17, v20
	v_lshlrev_b64 v[34:35], 4, v[22:23]
	v_add_co_u32_e32 v38, vcc, s10, v32
	v_add_u32_e32 v30, -8, v20
	v_mov_b32_e32 v31, v23
	v_addc_co_u32_e32 v39, vcc, v26, v33, vcc
	v_lshlrev_b64 v[30:31], 4, v[30:31]
	v_add_co_u32_e32 v40, vcc, s12, v34
	v_addc_co_u32_e32 v41, vcc, v28, v35, vcc
	v_add_co_u32_e32 v46, vcc, s12, v30
	v_addc_co_u32_e32 v47, vcc, v28, v31, vcc
	global_load_dword v11, v[38:39], off
	global_load_dwordx4 v[30:33], v[40:41], off
	global_load_dwordx4 v[34:37], v[40:41], off offset:16
	v_mov_b32_e32 v21, v23
	v_lshlrev_b64 v[21:22], 4, v[20:21]
	v_mov_b32_e32 v25, v23
	v_add_co_u32_e32 v21, vcc, s12, v21
	v_addc_co_u32_e32 v22, vcc, v28, v22, vcc
	v_add_u32_e32 v10, 4, v10
	s_waitcnt vmcnt(2)
	v_subrev_u32_e32 v11, s2, v11
	v_lshl_add_u32 v24, v11, 3, v11
	v_lshlrev_b64 v[38:39], 4, v[24:25]
	v_add_co_u32_e32 v38, vcc, s14, v38
	v_addc_co_u32_e32 v39, vcc, v29, v39, vcc
	global_load_dwordx4 v[38:41], v[38:39], off
	s_waitcnt vmcnt(0)
	v_fma_f64 v[18:19], v[30:31], v[38:39], v[18:19]
	v_fma_f64 v[11:12], v[32:33], v[38:39], v[12:13]
	v_fma_f64 v[18:19], -v[32:33], v[40:41], v[18:19]
	v_fma_f64 v[48:49], v[30:31], v[40:41], v[11:12]
	global_load_dwordx4 v[30:33], v[46:47], off
	global_load_dwordx4 v[42:45], v[21:22], off
	v_add_u32_e32 v22, 1, v24
	s_waitcnt vmcnt(1)
	v_fma_f64 v[11:12], v[30:31], v[38:39], v[16:17]
	v_fma_f64 v[13:14], v[32:33], v[38:39], v[14:15]
	v_fma_f64 v[38:39], -v[32:33], v[40:41], v[11:12]
	v_lshlrev_b64 v[11:12], 4, v[22:23]
	v_add_u32_e32 v22, -7, v20
	v_fma_f64 v[40:41], v[30:31], v[40:41], v[13:14]
	v_lshlrev_b64 v[13:14], 4, v[22:23]
	v_add_co_u32_e32 v11, vcc, s14, v11
	v_addc_co_u32_e32 v12, vcc, v29, v12, vcc
	v_add_co_u32_e32 v15, vcc, s12, v13
	v_addc_co_u32_e32 v16, vcc, v28, v14, vcc
	global_load_dwordx4 v[11:14], v[11:12], off
	v_add_u32_e32 v22, -15, v20
	v_lshlrev_b64 v[30:31], 4, v[22:23]
	v_add_u32_e32 v22, 2, v24
	v_add_co_u32_e32 v30, vcc, s12, v30
	v_addc_co_u32_e32 v31, vcc, v28, v31, vcc
	s_waitcnt vmcnt(0)
	v_fma_f64 v[17:18], v[34:35], v[11:12], v[18:19]
	v_fma_f64 v[32:33], v[36:37], v[11:12], v[48:49]
	v_fma_f64 v[36:37], -v[36:37], v[13:14], v[17:18]
	global_load_dwordx4 v[15:18], v[15:16], off
	v_fma_f64 v[34:35], v[34:35], v[13:14], v[32:33]
	global_load_dwordx4 v[30:33], v[30:31], off
	s_waitcnt vmcnt(1)
	v_fma_f64 v[38:39], v[15:16], v[11:12], v[38:39]
	v_fma_f64 v[11:12], v[17:18], v[11:12], v[40:41]
	v_fma_f64 v[38:39], -v[17:18], v[13:14], v[38:39]
	v_fma_f64 v[40:41], v[15:16], v[13:14], v[11:12]
	v_lshlrev_b64 v[11:12], 4, v[22:23]
	v_add_u32_e32 v22, -6, v20
	v_lshlrev_b64 v[13:14], 4, v[22:23]
	v_add_co_u32_e32 v11, vcc, s14, v11
	v_addc_co_u32_e32 v12, vcc, v29, v12, vcc
	v_add_co_u32_e32 v15, vcc, s12, v13
	v_addc_co_u32_e32 v16, vcc, v28, v14, vcc
	global_load_dwordx4 v[11:14], v[11:12], off
	v_add_u32_e32 v22, -14, v20
	v_lshlrev_b64 v[46:47], 4, v[22:23]
	v_add_u32_e32 v22, 3, v24
	s_waitcnt vmcnt(0)
	v_fma_f64 v[17:18], v[30:31], v[11:12], v[36:37]
	v_fma_f64 v[34:35], v[32:33], v[11:12], v[34:35]
	v_fma_f64 v[36:37], -v[32:33], v[13:14], v[17:18]
	global_load_dwordx4 v[15:18], v[15:16], off
	v_fma_f64 v[34:35], v[30:31], v[13:14], v[34:35]
	v_add_co_u32_e32 v30, vcc, s12, v46
	v_addc_co_u32_e32 v31, vcc, v28, v47, vcc
	global_load_dwordx4 v[30:33], v[30:31], off
	s_waitcnt vmcnt(1)
	v_fma_f64 v[38:39], v[15:16], v[11:12], v[38:39]
	v_fma_f64 v[11:12], v[17:18], v[11:12], v[40:41]
	v_fma_f64 v[38:39], -v[17:18], v[13:14], v[38:39]
	v_fma_f64 v[40:41], v[15:16], v[13:14], v[11:12]
	v_lshlrev_b64 v[11:12], 4, v[22:23]
	v_add_u32_e32 v22, -5, v20
	v_lshlrev_b64 v[13:14], 4, v[22:23]
	v_add_co_u32_e32 v11, vcc, s14, v11
	v_addc_co_u32_e32 v12, vcc, v29, v12, vcc
	v_add_co_u32_e32 v15, vcc, s12, v13
	v_addc_co_u32_e32 v16, vcc, v28, v14, vcc
	global_load_dwordx4 v[11:14], v[11:12], off
	v_add_u32_e32 v22, -13, v20
	v_lshlrev_b64 v[46:47], 4, v[22:23]
	v_add_u32_e32 v22, 4, v24
	s_waitcnt vmcnt(0)
	v_fma_f64 v[17:18], v[30:31], v[11:12], v[36:37]
	v_fma_f64 v[34:35], v[32:33], v[11:12], v[34:35]
	v_fma_f64 v[36:37], -v[32:33], v[13:14], v[17:18]
	global_load_dwordx4 v[15:18], v[15:16], off
	v_fma_f64 v[34:35], v[30:31], v[13:14], v[34:35]
	v_add_co_u32_e32 v30, vcc, s12, v46
	v_addc_co_u32_e32 v31, vcc, v28, v47, vcc
	;; [unrolled: 25-line block ×5, first 2 shown]
	global_load_dwordx4 v[30:33], v[30:31], off
	s_waitcnt vmcnt(1)
	v_fma_f64 v[38:39], v[15:16], v[11:12], v[38:39]
	v_fma_f64 v[11:12], v[17:18], v[11:12], v[40:41]
	v_fma_f64 v[38:39], -v[17:18], v[13:14], v[38:39]
	v_fma_f64 v[40:41], v[15:16], v[13:14], v[11:12]
	v_lshlrev_b64 v[11:12], 4, v[22:23]
	v_add_u32_e32 v22, -1, v20
	v_add_co_u32_e32 v11, vcc, s14, v11
	v_addc_co_u32_e32 v12, vcc, v29, v12, vcc
	global_load_dwordx4 v[11:14], v[11:12], off
	v_lshlrev_b64 v[15:16], 4, v[22:23]
	v_add_u32_e32 v22, -9, v20
	v_add_co_u32_e32 v15, vcc, s12, v15
	v_addc_co_u32_e32 v16, vcc, v28, v16, vcc
	v_lshlrev_b64 v[46:47], 4, v[22:23]
	v_add_u32_e32 v22, 8, v24
	v_lshlrev_b64 v[21:22], 4, v[22:23]
	v_add_u32_e32 v20, 0x48, v20
	s_waitcnt vmcnt(0)
	v_fma_f64 v[17:18], v[30:31], v[11:12], v[36:37]
	v_fma_f64 v[24:25], v[32:33], v[11:12], v[34:35]
	v_fma_f64 v[34:35], -v[32:33], v[13:14], v[17:18]
	global_load_dwordx4 v[15:18], v[15:16], off
	v_fma_f64 v[24:25], v[30:31], v[13:14], v[24:25]
	v_add_co_u32_e32 v30, vcc, s12, v46
	v_addc_co_u32_e32 v31, vcc, v28, v47, vcc
	global_load_dwordx4 v[30:33], v[30:31], off
	v_add_co_u32_e32 v21, vcc, s14, v21
	v_addc_co_u32_e32 v22, vcc, v29, v22, vcc
	v_cmp_ge_i32_e32 vcc, v10, v27
	s_or_b64 s[0:1], vcc, s[0:1]
	s_waitcnt vmcnt(1)
	v_fma_f64 v[36:37], v[15:16], v[11:12], v[38:39]
	v_fma_f64 v[11:12], v[17:18], v[11:12], v[40:41]
	v_fma_f64 v[17:18], -v[17:18], v[13:14], v[36:37]
	v_fma_f64 v[36:37], v[15:16], v[13:14], v[11:12]
	global_load_dwordx4 v[12:15], v[21:22], off
	s_waitcnt vmcnt(0)
	v_fma_f64 v[21:22], v[30:31], v[12:13], v[34:35]
	v_fma_f64 v[24:25], v[32:33], v[12:13], v[24:25]
	;; [unrolled: 1-line block ×4, first 2 shown]
	v_fma_f64 v[18:19], -v[32:33], v[14:15], v[21:22]
	v_fma_f64 v[12:13], v[30:31], v[14:15], v[24:25]
	v_fma_f64 v[16:17], -v[44:45], v[14:15], v[16:17]
	v_fma_f64 v[14:15], v[42:43], v[14:15], v[34:35]
	s_andn2_b64 exec, exec, s[0:1]
	s_cbranch_execnz .LBB263_13
; %bb.14:
	s_or_b64 exec, exec, s[0:1]
.LBB263_15:
	s_or_b64 exec, exec, s[6:7]
.LBB263_16:
	v_mov_b32_dpp v10, v18 row_shr:1 row_mask:0xf bank_mask:0xf
	v_mov_b32_dpp v11, v19 row_shr:1 row_mask:0xf bank_mask:0xf
	v_add_f64 v[10:11], v[18:19], v[10:11]
	v_mov_b32_dpp v18, v12 row_shr:1 row_mask:0xf bank_mask:0xf
	v_mov_b32_dpp v19, v13 row_shr:1 row_mask:0xf bank_mask:0xf
	v_add_f64 v[12:13], v[12:13], v[18:19]
	;; [unrolled: 3-line block ×4, first 2 shown]
	v_mov_b32_dpp v24, v10 row_shr:2 row_mask:0xf bank_mask:0xf
	v_mov_b32_dpp v25, v11 row_shr:2 row_mask:0xf bank_mask:0xf
	;; [unrolled: 1-line block ×6, first 2 shown]
	v_cmp_eq_u32_e32 vcc, 3, v0
	v_mov_b32_dpp v20, v14 row_shr:2 row_mask:0xf bank_mask:0xf
	v_mov_b32_dpp v21, v15 row_shr:2 row_mask:0xf bank_mask:0xf
	s_and_b64 exec, exec, vcc
	s_cbranch_execz .LBB263_21
; %bb.17:
	v_cmp_eq_f64_e32 vcc, 0, v[5:6]
	v_cmp_eq_f64_e64 s[0:1], 0, v[7:8]
	v_add_f64 v[10:11], v[10:11], v[24:25]
	v_add_f64 v[16:17], v[12:13], v[16:17]
	;; [unrolled: 1-line block ×4, first 2 shown]
	s_load_dwordx2 s[2:3], s[4:5], 0x48
	s_and_b64 s[0:1], vcc, s[0:1]
	s_and_saveexec_b64 s[4:5], s[0:1]
	s_xor_b64 s[0:1], exec, s[4:5]
	s_cbranch_execz .LBB263_19
; %bb.18:
	v_mul_f64 v[5:6], v[16:17], -v[3:4]
	v_mul_f64 v[7:8], v[1:2], v[16:17]
	v_mul_f64 v[16:17], v[14:15], -v[3:4]
	v_mul_f64 v[14:15], v[1:2], v[14:15]
	v_lshlrev_b32_e32 v9, 1, v9
	s_waitcnt lgkmcnt(0)
	v_mov_b32_e32 v18, s3
	v_fma_f64 v[5:6], v[1:2], v[10:11], v[5:6]
	v_fma_f64 v[7:8], v[3:4], v[10:11], v[7:8]
	;; [unrolled: 1-line block ×4, first 2 shown]
	v_ashrrev_i32_e32 v10, 31, v9
	v_lshlrev_b64 v[9:10], 4, v[9:10]
                                        ; implicit-def: $vgpr16_vgpr17
                                        ; implicit-def: $vgpr12_vgpr13
                                        ; implicit-def: $vgpr14_vgpr15
	v_add_co_u32_e32 v9, vcc, s2, v9
	v_addc_co_u32_e32 v10, vcc, v18, v10, vcc
	global_store_dwordx4 v[9:10], v[5:8], off
	global_store_dwordx4 v[9:10], v[0:3], off offset:16
                                        ; implicit-def: $vgpr9
                                        ; implicit-def: $vgpr10_vgpr11
                                        ; implicit-def: $vgpr7_vgpr8
                                        ; implicit-def: $vgpr3_vgpr4
.LBB263_19:
	s_andn2_saveexec_b64 s[0:1], s[0:1]
	s_cbranch_execz .LBB263_21
; %bb.20:
	v_lshlrev_b32_e32 v18, 1, v9
	v_ashrrev_i32_e32 v19, 31, v18
	v_lshlrev_b64 v[18:19], 4, v[18:19]
	s_waitcnt lgkmcnt(0)
	v_mov_b32_e32 v0, s3
	v_add_co_u32_e32 v26, vcc, s2, v18
	v_addc_co_u32_e32 v27, vcc, v0, v19, vcc
	global_load_dwordx4 v[18:21], v[26:27], off
	global_load_dwordx4 v[22:25], v[26:27], off offset:16
	v_mul_f64 v[28:29], v[16:17], -v[3:4]
	v_mul_f64 v[16:17], v[1:2], v[16:17]
	v_mul_f64 v[30:31], v[14:15], -v[3:4]
	v_mul_f64 v[14:15], v[1:2], v[14:15]
	v_fma_f64 v[28:29], v[1:2], v[10:11], v[28:29]
	v_fma_f64 v[9:10], v[3:4], v[10:11], v[16:17]
	;; [unrolled: 1-line block ×4, first 2 shown]
	s_waitcnt vmcnt(1)
	v_fma_f64 v[11:12], v[5:6], v[18:19], v[28:29]
	v_fma_f64 v[9:10], v[7:8], v[18:19], v[9:10]
	s_waitcnt vmcnt(0)
	v_fma_f64 v[13:14], v[5:6], v[22:23], v[0:1]
	v_fma_f64 v[15:16], v[7:8], v[22:23], v[2:3]
	v_fma_f64 v[0:1], -v[7:8], v[20:21], v[11:12]
	v_fma_f64 v[2:3], v[5:6], v[20:21], v[9:10]
	v_fma_f64 v[7:8], -v[7:8], v[24:25], v[13:14]
	v_fma_f64 v[9:10], v[5:6], v[24:25], v[15:16]
	global_store_dwordx4 v[26:27], v[0:3], off
	global_store_dwordx4 v[26:27], v[7:10], off offset:16
.LBB263_21:
	s_endpgm
	.section	.rodata,"a",@progbits
	.p2align	6, 0x0
	.amdhsa_kernel _ZN9rocsparseL19gebsrmvn_2xn_kernelILj128ELj9ELj4E21rocsparse_complex_numIdEEEvi20rocsparse_direction_NS_24const_host_device_scalarIT2_EEPKiS8_PKS5_SA_S6_PS5_21rocsparse_index_base_b
		.amdhsa_group_segment_fixed_size 0
		.amdhsa_private_segment_fixed_size 0
		.amdhsa_kernarg_size 88
		.amdhsa_user_sgpr_count 6
		.amdhsa_user_sgpr_private_segment_buffer 1
		.amdhsa_user_sgpr_dispatch_ptr 0
		.amdhsa_user_sgpr_queue_ptr 0
		.amdhsa_user_sgpr_kernarg_segment_ptr 1
		.amdhsa_user_sgpr_dispatch_id 0
		.amdhsa_user_sgpr_flat_scratch_init 0
		.amdhsa_user_sgpr_private_segment_size 0
		.amdhsa_uses_dynamic_stack 0
		.amdhsa_system_sgpr_private_segment_wavefront_offset 0
		.amdhsa_system_sgpr_workgroup_id_x 1
		.amdhsa_system_sgpr_workgroup_id_y 0
		.amdhsa_system_sgpr_workgroup_id_z 0
		.amdhsa_system_sgpr_workgroup_info 0
		.amdhsa_system_vgpr_workitem_id 0
		.amdhsa_next_free_vgpr 58
		.amdhsa_next_free_sgpr 16
		.amdhsa_reserve_vcc 1
		.amdhsa_reserve_flat_scratch 0
		.amdhsa_float_round_mode_32 0
		.amdhsa_float_round_mode_16_64 0
		.amdhsa_float_denorm_mode_32 3
		.amdhsa_float_denorm_mode_16_64 3
		.amdhsa_dx10_clamp 1
		.amdhsa_ieee_mode 1
		.amdhsa_fp16_overflow 0
		.amdhsa_exception_fp_ieee_invalid_op 0
		.amdhsa_exception_fp_denorm_src 0
		.amdhsa_exception_fp_ieee_div_zero 0
		.amdhsa_exception_fp_ieee_overflow 0
		.amdhsa_exception_fp_ieee_underflow 0
		.amdhsa_exception_fp_ieee_inexact 0
		.amdhsa_exception_int_div_zero 0
	.end_amdhsa_kernel
	.section	.text._ZN9rocsparseL19gebsrmvn_2xn_kernelILj128ELj9ELj4E21rocsparse_complex_numIdEEEvi20rocsparse_direction_NS_24const_host_device_scalarIT2_EEPKiS8_PKS5_SA_S6_PS5_21rocsparse_index_base_b,"axG",@progbits,_ZN9rocsparseL19gebsrmvn_2xn_kernelILj128ELj9ELj4E21rocsparse_complex_numIdEEEvi20rocsparse_direction_NS_24const_host_device_scalarIT2_EEPKiS8_PKS5_SA_S6_PS5_21rocsparse_index_base_b,comdat
.Lfunc_end263:
	.size	_ZN9rocsparseL19gebsrmvn_2xn_kernelILj128ELj9ELj4E21rocsparse_complex_numIdEEEvi20rocsparse_direction_NS_24const_host_device_scalarIT2_EEPKiS8_PKS5_SA_S6_PS5_21rocsparse_index_base_b, .Lfunc_end263-_ZN9rocsparseL19gebsrmvn_2xn_kernelILj128ELj9ELj4E21rocsparse_complex_numIdEEEvi20rocsparse_direction_NS_24const_host_device_scalarIT2_EEPKiS8_PKS5_SA_S6_PS5_21rocsparse_index_base_b
                                        ; -- End function
	.set _ZN9rocsparseL19gebsrmvn_2xn_kernelILj128ELj9ELj4E21rocsparse_complex_numIdEEEvi20rocsparse_direction_NS_24const_host_device_scalarIT2_EEPKiS8_PKS5_SA_S6_PS5_21rocsparse_index_base_b.num_vgpr, 58
	.set _ZN9rocsparseL19gebsrmvn_2xn_kernelILj128ELj9ELj4E21rocsparse_complex_numIdEEEvi20rocsparse_direction_NS_24const_host_device_scalarIT2_EEPKiS8_PKS5_SA_S6_PS5_21rocsparse_index_base_b.num_agpr, 0
	.set _ZN9rocsparseL19gebsrmvn_2xn_kernelILj128ELj9ELj4E21rocsparse_complex_numIdEEEvi20rocsparse_direction_NS_24const_host_device_scalarIT2_EEPKiS8_PKS5_SA_S6_PS5_21rocsparse_index_base_b.numbered_sgpr, 16
	.set _ZN9rocsparseL19gebsrmvn_2xn_kernelILj128ELj9ELj4E21rocsparse_complex_numIdEEEvi20rocsparse_direction_NS_24const_host_device_scalarIT2_EEPKiS8_PKS5_SA_S6_PS5_21rocsparse_index_base_b.num_named_barrier, 0
	.set _ZN9rocsparseL19gebsrmvn_2xn_kernelILj128ELj9ELj4E21rocsparse_complex_numIdEEEvi20rocsparse_direction_NS_24const_host_device_scalarIT2_EEPKiS8_PKS5_SA_S6_PS5_21rocsparse_index_base_b.private_seg_size, 0
	.set _ZN9rocsparseL19gebsrmvn_2xn_kernelILj128ELj9ELj4E21rocsparse_complex_numIdEEEvi20rocsparse_direction_NS_24const_host_device_scalarIT2_EEPKiS8_PKS5_SA_S6_PS5_21rocsparse_index_base_b.uses_vcc, 1
	.set _ZN9rocsparseL19gebsrmvn_2xn_kernelILj128ELj9ELj4E21rocsparse_complex_numIdEEEvi20rocsparse_direction_NS_24const_host_device_scalarIT2_EEPKiS8_PKS5_SA_S6_PS5_21rocsparse_index_base_b.uses_flat_scratch, 0
	.set _ZN9rocsparseL19gebsrmvn_2xn_kernelILj128ELj9ELj4E21rocsparse_complex_numIdEEEvi20rocsparse_direction_NS_24const_host_device_scalarIT2_EEPKiS8_PKS5_SA_S6_PS5_21rocsparse_index_base_b.has_dyn_sized_stack, 0
	.set _ZN9rocsparseL19gebsrmvn_2xn_kernelILj128ELj9ELj4E21rocsparse_complex_numIdEEEvi20rocsparse_direction_NS_24const_host_device_scalarIT2_EEPKiS8_PKS5_SA_S6_PS5_21rocsparse_index_base_b.has_recursion, 0
	.set _ZN9rocsparseL19gebsrmvn_2xn_kernelILj128ELj9ELj4E21rocsparse_complex_numIdEEEvi20rocsparse_direction_NS_24const_host_device_scalarIT2_EEPKiS8_PKS5_SA_S6_PS5_21rocsparse_index_base_b.has_indirect_call, 0
	.section	.AMDGPU.csdata,"",@progbits
; Kernel info:
; codeLenInByte = 3788
; TotalNumSgprs: 20
; NumVgprs: 58
; ScratchSize: 0
; MemoryBound: 0
; FloatMode: 240
; IeeeMode: 1
; LDSByteSize: 0 bytes/workgroup (compile time only)
; SGPRBlocks: 2
; VGPRBlocks: 14
; NumSGPRsForWavesPerEU: 20
; NumVGPRsForWavesPerEU: 58
; Occupancy: 4
; WaveLimiterHint : 1
; COMPUTE_PGM_RSRC2:SCRATCH_EN: 0
; COMPUTE_PGM_RSRC2:USER_SGPR: 6
; COMPUTE_PGM_RSRC2:TRAP_HANDLER: 0
; COMPUTE_PGM_RSRC2:TGID_X_EN: 1
; COMPUTE_PGM_RSRC2:TGID_Y_EN: 0
; COMPUTE_PGM_RSRC2:TGID_Z_EN: 0
; COMPUTE_PGM_RSRC2:TIDIG_COMP_CNT: 0
	.section	.text._ZN9rocsparseL19gebsrmvn_2xn_kernelILj128ELj9ELj8E21rocsparse_complex_numIdEEEvi20rocsparse_direction_NS_24const_host_device_scalarIT2_EEPKiS8_PKS5_SA_S6_PS5_21rocsparse_index_base_b,"axG",@progbits,_ZN9rocsparseL19gebsrmvn_2xn_kernelILj128ELj9ELj8E21rocsparse_complex_numIdEEEvi20rocsparse_direction_NS_24const_host_device_scalarIT2_EEPKiS8_PKS5_SA_S6_PS5_21rocsparse_index_base_b,comdat
	.globl	_ZN9rocsparseL19gebsrmvn_2xn_kernelILj128ELj9ELj8E21rocsparse_complex_numIdEEEvi20rocsparse_direction_NS_24const_host_device_scalarIT2_EEPKiS8_PKS5_SA_S6_PS5_21rocsparse_index_base_b ; -- Begin function _ZN9rocsparseL19gebsrmvn_2xn_kernelILj128ELj9ELj8E21rocsparse_complex_numIdEEEvi20rocsparse_direction_NS_24const_host_device_scalarIT2_EEPKiS8_PKS5_SA_S6_PS5_21rocsparse_index_base_b
	.p2align	8
	.type	_ZN9rocsparseL19gebsrmvn_2xn_kernelILj128ELj9ELj8E21rocsparse_complex_numIdEEEvi20rocsparse_direction_NS_24const_host_device_scalarIT2_EEPKiS8_PKS5_SA_S6_PS5_21rocsparse_index_base_b,@function
_ZN9rocsparseL19gebsrmvn_2xn_kernelILj128ELj9ELj8E21rocsparse_complex_numIdEEEvi20rocsparse_direction_NS_24const_host_device_scalarIT2_EEPKiS8_PKS5_SA_S6_PS5_21rocsparse_index_base_b: ; @_ZN9rocsparseL19gebsrmvn_2xn_kernelILj128ELj9ELj8E21rocsparse_complex_numIdEEEvi20rocsparse_direction_NS_24const_host_device_scalarIT2_EEPKiS8_PKS5_SA_S6_PS5_21rocsparse_index_base_b
; %bb.0:
	s_load_dwordx2 s[0:1], s[4:5], 0x8
	s_load_dwordx2 s[8:9], s[4:5], 0x38
	;; [unrolled: 1-line block ×3, first 2 shown]
	s_add_u32 s7, s4, 8
	s_addc_u32 s10, s5, 0
	s_add_u32 s11, s4, 56
	s_addc_u32 s12, s5, 0
	s_waitcnt lgkmcnt(0)
	s_bitcmp1_b32 s3, 0
	s_cselect_b32 s1, s10, s1
	s_cselect_b32 s0, s7, s0
	v_mov_b32_e32 v1, s0
	v_mov_b32_e32 v2, s1
	flat_load_dwordx4 v[1:4], v[1:2]
	s_cselect_b32 s0, s12, s9
	s_cselect_b32 s1, s11, s8
	v_mov_b32_e32 v5, s1
	v_mov_b32_e32 v6, s0
	flat_load_dwordx4 v[5:8], v[5:6]
	s_waitcnt vmcnt(0) lgkmcnt(0)
	v_cmp_eq_f64_e32 vcc, 0, v[1:2]
	v_cmp_eq_f64_e64 s[0:1], 0, v[3:4]
	s_and_b64 s[10:11], vcc, s[0:1]
	s_mov_b64 s[0:1], -1
	s_and_saveexec_b64 s[8:9], s[10:11]
	s_cbranch_execz .LBB264_2
; %bb.1:
	v_cmp_neq_f64_e32 vcc, 1.0, v[5:6]
	v_cmp_neq_f64_e64 s[0:1], 0, v[7:8]
	s_or_b64 s[0:1], vcc, s[0:1]
	s_orn2_b64 s[0:1], s[0:1], exec
.LBB264_2:
	s_or_b64 exec, exec, s[8:9]
	s_and_saveexec_b64 s[8:9], s[0:1]
	s_cbranch_execz .LBB264_21
; %bb.3:
	s_load_dwordx2 s[0:1], s[4:5], 0x0
	v_lshrrev_b32_e32 v9, 3, v0
	v_lshl_or_b32 v9, s6, 4, v9
	s_waitcnt lgkmcnt(0)
	v_cmp_gt_i32_e32 vcc, s0, v9
	s_and_b64 exec, exec, vcc
	s_cbranch_execz .LBB264_21
; %bb.4:
	s_load_dwordx8 s[8:15], s[4:5], 0x18
	v_ashrrev_i32_e32 v10, 31, v9
	v_lshlrev_b64 v[10:11], 2, v[9:10]
	v_and_b32_e32 v0, 7, v0
	s_cmp_lg_u32 s1, 0
	s_waitcnt lgkmcnt(0)
	v_mov_b32_e32 v12, s9
	v_add_co_u32_e32 v10, vcc, s8, v10
	v_addc_co_u32_e32 v11, vcc, v12, v11, vcc
	global_load_dwordx2 v[10:11], v[10:11], off
	s_waitcnt vmcnt(0)
	v_subrev_u32_e32 v10, s2, v10
	v_subrev_u32_e32 v27, s2, v11
	v_add_u32_e32 v10, v10, v0
	v_cmp_lt_i32_e64 s[0:1], v10, v27
	s_cbranch_scc0 .LBB264_10
; %bb.5:
	v_mov_b32_e32 v12, 0
	v_mov_b32_e32 v18, 0
	;; [unrolled: 1-line block ×8, first 2 shown]
	s_and_saveexec_b64 s[6:7], s[0:1]
	s_cbranch_execz .LBB264_9
; %bb.6:
	v_mad_u64_u32 v[20:21], s[8:9], v10, 18, 16
	v_mov_b32_e32 v12, 0
	v_mov_b32_e32 v18, 0
	;; [unrolled: 1-line block ×5, first 2 shown]
	s_mov_b64 s[8:9], 0
	v_mov_b32_e32 v11, s11
	v_mov_b32_e32 v23, 0
	;; [unrolled: 1-line block ×8, first 2 shown]
.LBB264_7:                              ; =>This Inner Loop Header: Depth=1
	v_ashrrev_i32_e32 v25, 31, v24
	v_lshlrev_b64 v[30:31], 2, v[24:25]
	v_add_u32_e32 v22, -16, v20
	v_lshlrev_b64 v[32:33], 4, v[22:23]
	v_add_co_u32_e32 v38, vcc, s10, v30
	v_mov_b32_e32 v21, v23
	v_addc_co_u32_e32 v39, vcc, v11, v31, vcc
	v_lshlrev_b64 v[34:35], 4, v[20:21]
	v_add_co_u32_e32 v40, vcc, s12, v32
	v_addc_co_u32_e32 v41, vcc, v28, v33, vcc
	v_add_co_u32_e32 v50, vcc, s12, v34
	v_addc_co_u32_e32 v51, vcc, v28, v35, vcc
	global_load_dword v25, v[38:39], off
	global_load_dwordx4 v[30:33], v[40:41], off
	global_load_dwordx4 v[34:37], v[40:41], off offset:16
	v_add_u32_e32 v22, -14, v20
	v_lshlrev_b64 v[21:22], 4, v[22:23]
	v_mov_b32_e32 v26, v23
	v_add_co_u32_e32 v21, vcc, s12, v21
	v_addc_co_u32_e32 v22, vcc, v28, v22, vcc
	global_load_dwordx4 v[38:41], v[21:22], off
	global_load_dwordx4 v[42:45], v[21:22], off offset:16
	v_add_u32_e32 v24, 8, v24
	s_waitcnt vmcnt(4)
	v_subrev_u32_e32 v21, s2, v25
	v_lshl_add_u32 v25, v21, 3, v21
	v_lshlrev_b64 v[46:47], 4, v[25:26]
	v_add_u32_e32 v22, 1, v25
	v_add_co_u32_e32 v46, vcc, s14, v46
	v_addc_co_u32_e32 v47, vcc, v29, v47, vcc
	global_load_dwordx4 v[46:49], v[46:47], off
	v_lshlrev_b64 v[52:53], 4, v[22:23]
	v_add_u32_e32 v22, -12, v20
	s_waitcnt vmcnt(0)
	v_fma_f64 v[12:13], v[32:33], v[46:47], v[12:13]
	v_fma_f64 v[14:15], v[36:37], v[46:47], v[14:15]
	;; [unrolled: 1-line block ×5, first 2 shown]
	v_add_co_u32_e32 v12, vcc, s14, v52
	v_addc_co_u32_e32 v13, vcc, v29, v53, vcc
	v_fma_f64 v[34:35], v[34:35], v[48:49], v[14:15]
	global_load_dwordx4 v[12:15], v[12:13], off
	v_fma_f64 v[32:33], -v[32:33], v[48:49], v[18:19]
	v_fma_f64 v[36:37], -v[36:37], v[48:49], v[16:17]
	v_lshlrev_b64 v[18:19], 4, v[22:23]
	v_add_u32_e32 v22, 2, v25
	v_lshlrev_b64 v[52:53], 4, v[22:23]
	v_add_co_u32_e32 v46, vcc, s12, v18
	v_addc_co_u32_e32 v47, vcc, v28, v19, vcc
	v_add_co_u32_e32 v52, vcc, s14, v52
	v_addc_co_u32_e32 v53, vcc, v29, v53, vcc
	global_load_dwordx4 v[16:19], v[46:47], off
	v_add_u32_e32 v22, -10, v20
	v_lshlrev_b64 v[48:49], 4, v[22:23]
	v_add_u32_e32 v22, 3, v25
	v_add_co_u32_e32 v48, vcc, s12, v48
	v_addc_co_u32_e32 v49, vcc, v28, v49, vcc
	s_waitcnt vmcnt(1)
	v_fma_f64 v[32:33], v[38:39], v[12:13], v[32:33]
	v_fma_f64 v[30:31], v[40:41], v[12:13], v[30:31]
	;; [unrolled: 1-line block ×4, first 2 shown]
	v_fma_f64 v[40:41], -v[40:41], v[14:15], v[32:33]
	v_fma_f64 v[38:39], v[38:39], v[14:15], v[30:31]
	global_load_dwordx4 v[30:33], v[46:47], off offset:16
	v_fma_f64 v[44:45], -v[44:45], v[14:15], v[36:37]
	v_fma_f64 v[42:43], v[42:43], v[14:15], v[12:13]
	global_load_dwordx4 v[12:15], v[52:53], off
	v_lshlrev_b64 v[46:47], 4, v[22:23]
	global_load_dwordx4 v[34:37], v[48:49], off
	v_add_co_u32_e32 v46, vcc, s14, v46
	v_addc_co_u32_e32 v47, vcc, v29, v47, vcc
	v_add_u32_e32 v22, -8, v20
	v_lshlrev_b64 v[52:53], 4, v[22:23]
	v_add_u32_e32 v22, 4, v25
	s_waitcnt vmcnt(1)
	v_fma_f64 v[40:41], v[16:17], v[12:13], v[40:41]
	v_fma_f64 v[38:39], v[18:19], v[12:13], v[38:39]
	;; [unrolled: 1-line block ×4, first 2 shown]
	v_fma_f64 v[40:41], -v[18:19], v[14:15], v[40:41]
	v_fma_f64 v[38:39], v[16:17], v[14:15], v[38:39]
	global_load_dwordx4 v[16:19], v[48:49], off offset:16
	v_fma_f64 v[42:43], -v[32:33], v[14:15], v[44:45]
	v_fma_f64 v[44:45], v[30:31], v[14:15], v[12:13]
	global_load_dwordx4 v[12:15], v[46:47], off
	v_lshlrev_b64 v[48:49], 4, v[22:23]
	v_add_co_u32_e32 v46, vcc, s12, v52
	v_addc_co_u32_e32 v47, vcc, v28, v53, vcc
	v_add_co_u32_e32 v48, vcc, s14, v48
	v_addc_co_u32_e32 v49, vcc, v29, v49, vcc
	global_load_dwordx4 v[30:33], v[46:47], off
	v_add_u32_e32 v22, -6, v20
	v_lshlrev_b64 v[52:53], 4, v[22:23]
	v_add_u32_e32 v22, 5, v25
	s_waitcnt vmcnt(1)
	v_fma_f64 v[40:41], v[34:35], v[12:13], v[40:41]
	v_fma_f64 v[38:39], v[36:37], v[12:13], v[38:39]
	;; [unrolled: 1-line block ×4, first 2 shown]
	v_fma_f64 v[40:41], -v[36:37], v[14:15], v[40:41]
	v_fma_f64 v[38:39], v[34:35], v[14:15], v[38:39]
	global_load_dwordx4 v[34:37], v[46:47], off offset:16
	v_fma_f64 v[42:43], -v[18:19], v[14:15], v[42:43]
	v_fma_f64 v[44:45], v[16:17], v[14:15], v[12:13]
	global_load_dwordx4 v[12:15], v[48:49], off
	v_lshlrev_b64 v[46:47], 4, v[22:23]
	v_add_co_u32_e32 v48, vcc, s12, v52
	v_addc_co_u32_e32 v49, vcc, v28, v53, vcc
	v_add_co_u32_e32 v46, vcc, s14, v46
	v_addc_co_u32_e32 v47, vcc, v29, v47, vcc
	global_load_dwordx4 v[16:19], v[48:49], off
	v_add_u32_e32 v22, -4, v20
	v_lshlrev_b64 v[52:53], 4, v[22:23]
	v_add_u32_e32 v22, 6, v25
	s_waitcnt vmcnt(1)
	v_fma_f64 v[40:41], v[30:31], v[12:13], v[40:41]
	v_fma_f64 v[38:39], v[32:33], v[12:13], v[38:39]
	;; [unrolled: 1-line block ×4, first 2 shown]
	v_fma_f64 v[40:41], -v[32:33], v[14:15], v[40:41]
	v_fma_f64 v[38:39], v[30:31], v[14:15], v[38:39]
	v_fma_f64 v[42:43], -v[36:37], v[14:15], v[42:43]
	v_fma_f64 v[44:45], v[34:35], v[14:15], v[12:13]
	global_load_dwordx4 v[12:15], v[46:47], off
	global_load_dwordx4 v[30:33], v[48:49], off offset:16
	v_lshlrev_b64 v[48:49], 4, v[22:23]
	v_add_co_u32_e32 v46, vcc, s12, v52
	v_addc_co_u32_e32 v47, vcc, v28, v53, vcc
	v_add_co_u32_e32 v48, vcc, s14, v48
	v_addc_co_u32_e32 v49, vcc, v29, v49, vcc
	global_load_dwordx4 v[34:37], v[46:47], off
	v_add_u32_e32 v22, -2, v20
	v_lshlrev_b64 v[52:53], 4, v[22:23]
	v_add_u32_e32 v22, 7, v25
	v_lshlrev_b64 v[21:22], 4, v[22:23]
	v_add_u32_e32 v20, 0x90, v20
	s_waitcnt vmcnt(2)
	v_fma_f64 v[38:39], v[18:19], v[12:13], v[38:39]
	v_fma_f64 v[40:41], v[16:17], v[12:13], v[40:41]
	;; [unrolled: 1-line block ×3, first 2 shown]
	s_waitcnt vmcnt(1)
	v_fma_f64 v[38:39], v[30:31], v[12:13], v[42:43]
	v_fma_f64 v[12:13], v[32:33], v[12:13], v[44:45]
	v_fma_f64 v[54:55], -v[18:19], v[14:15], v[40:41]
	global_load_dwordx4 v[16:19], v[46:47], off offset:16
	v_add_co_u32_e32 v46, vcc, s12, v52
	v_addc_co_u32_e32 v47, vcc, v28, v53, vcc
	v_fma_f64 v[42:43], -v[32:33], v[14:15], v[38:39]
	v_fma_f64 v[44:45], v[30:31], v[14:15], v[12:13]
	global_load_dwordx4 v[12:15], v[48:49], off
	global_load_dwordx4 v[30:33], v[46:47], off
	global_load_dwordx4 v[38:41], v[46:47], off offset:16
	v_add_co_u32_e32 v21, vcc, s14, v21
	v_addc_co_u32_e32 v22, vcc, v29, v22, vcc
	s_waitcnt vmcnt(2)
	v_fma_f64 v[46:47], v[34:35], v[12:13], v[54:55]
	v_fma_f64 v[48:49], v[36:37], v[12:13], v[56:57]
	v_fma_f64 v[52:53], -v[36:37], v[14:15], v[46:47]
	v_fma_f64 v[54:55], v[34:35], v[14:15], v[48:49]
	global_load_dwordx4 v[34:37], v[21:22], off
	v_fma_f64 v[21:22], v[16:17], v[12:13], v[42:43]
	v_fma_f64 v[12:13], v[18:19], v[12:13], v[44:45]
	v_fma_f64 v[18:19], -v[18:19], v[14:15], v[21:22]
	v_add_u32_e32 v22, 8, v25
	v_lshlrev_b64 v[21:22], 4, v[22:23]
	v_fma_f64 v[16:17], v[16:17], v[14:15], v[12:13]
	v_add_co_u32_e32 v21, vcc, s14, v21
	v_addc_co_u32_e32 v22, vcc, v29, v22, vcc
	global_load_dwordx4 v[12:15], v[50:51], off
	global_load_dwordx4 v[42:45], v[50:51], off offset:16
	global_load_dwordx4 v[46:49], v[21:22], off
	v_cmp_ge_i32_e32 vcc, v24, v27
	s_or_b64 s[8:9], vcc, s[8:9]
	s_waitcnt vmcnt(3)
	v_fma_f64 v[21:22], v[30:31], v[34:35], v[52:53]
	v_fma_f64 v[25:26], v[32:33], v[34:35], v[54:55]
	;; [unrolled: 1-line block ×4, first 2 shown]
	v_fma_f64 v[21:22], -v[32:33], v[36:37], v[21:22]
	v_fma_f64 v[25:26], v[30:31], v[36:37], v[25:26]
	v_fma_f64 v[18:19], -v[40:41], v[36:37], v[18:19]
	v_fma_f64 v[16:17], v[38:39], v[36:37], v[16:17]
	s_waitcnt vmcnt(0)
	v_fma_f64 v[21:22], v[12:13], v[46:47], v[21:22]
	v_fma_f64 v[25:26], v[14:15], v[46:47], v[25:26]
	;; [unrolled: 1-line block ×4, first 2 shown]
	v_fma_f64 v[18:19], -v[14:15], v[48:49], v[21:22]
	v_fma_f64 v[12:13], v[12:13], v[48:49], v[25:26]
	v_fma_f64 v[16:17], -v[44:45], v[48:49], v[30:31]
	v_fma_f64 v[14:15], v[42:43], v[48:49], v[32:33]
	s_andn2_b64 exec, exec, s[8:9]
	s_cbranch_execnz .LBB264_7
; %bb.8:
	s_or_b64 exec, exec, s[8:9]
.LBB264_9:
	s_or_b64 exec, exec, s[6:7]
	s_cbranch_execz .LBB264_11
	s_branch .LBB264_16
.LBB264_10:
                                        ; implicit-def: $vgpr12_vgpr13
                                        ; implicit-def: $vgpr18_vgpr19
                                        ; implicit-def: $vgpr16_vgpr17
                                        ; implicit-def: $vgpr14_vgpr15
.LBB264_11:
	v_mov_b32_e32 v12, 0
	v_mov_b32_e32 v18, 0
	v_mov_b32_e32 v16, 0
	v_mov_b32_e32 v14, 0
	v_mov_b32_e32 v13, 0
	v_mov_b32_e32 v19, 0
	v_mov_b32_e32 v17, 0
	v_mov_b32_e32 v15, 0
	s_and_saveexec_b64 s[6:7], s[0:1]
	s_cbranch_execz .LBB264_15
; %bb.12:
	v_mad_u64_u32 v[20:21], s[0:1], v10, 18, 17
	v_mov_b32_e32 v12, 0
	v_mov_b32_e32 v18, 0
	;; [unrolled: 1-line block ×5, first 2 shown]
	s_mov_b64 s[0:1], 0
	v_mov_b32_e32 v26, s11
	v_mov_b32_e32 v23, 0
	;; [unrolled: 1-line block ×7, first 2 shown]
.LBB264_13:                             ; =>This Inner Loop Header: Depth=1
	v_ashrrev_i32_e32 v11, 31, v10
	v_lshlrev_b64 v[32:33], 2, v[10:11]
	v_subrev_u32_e32 v22, 17, v20
	v_lshlrev_b64 v[34:35], 4, v[22:23]
	v_add_co_u32_e32 v38, vcc, s10, v32
	v_add_u32_e32 v30, -8, v20
	v_mov_b32_e32 v31, v23
	v_addc_co_u32_e32 v39, vcc, v26, v33, vcc
	v_lshlrev_b64 v[30:31], 4, v[30:31]
	v_add_co_u32_e32 v40, vcc, s12, v34
	v_addc_co_u32_e32 v41, vcc, v28, v35, vcc
	v_add_co_u32_e32 v46, vcc, s12, v30
	v_addc_co_u32_e32 v47, vcc, v28, v31, vcc
	global_load_dword v11, v[38:39], off
	global_load_dwordx4 v[30:33], v[40:41], off
	global_load_dwordx4 v[34:37], v[40:41], off offset:16
	v_mov_b32_e32 v21, v23
	v_lshlrev_b64 v[21:22], 4, v[20:21]
	v_mov_b32_e32 v25, v23
	v_add_co_u32_e32 v21, vcc, s12, v21
	v_addc_co_u32_e32 v22, vcc, v28, v22, vcc
	v_add_u32_e32 v10, 8, v10
	s_waitcnt vmcnt(2)
	v_subrev_u32_e32 v11, s2, v11
	v_lshl_add_u32 v24, v11, 3, v11
	v_lshlrev_b64 v[38:39], 4, v[24:25]
	v_add_co_u32_e32 v38, vcc, s14, v38
	v_addc_co_u32_e32 v39, vcc, v29, v39, vcc
	global_load_dwordx4 v[38:41], v[38:39], off
	s_waitcnt vmcnt(0)
	v_fma_f64 v[18:19], v[30:31], v[38:39], v[18:19]
	v_fma_f64 v[11:12], v[32:33], v[38:39], v[12:13]
	v_fma_f64 v[18:19], -v[32:33], v[40:41], v[18:19]
	v_fma_f64 v[48:49], v[30:31], v[40:41], v[11:12]
	global_load_dwordx4 v[30:33], v[46:47], off
	global_load_dwordx4 v[42:45], v[21:22], off
	v_add_u32_e32 v22, 1, v24
	s_waitcnt vmcnt(1)
	v_fma_f64 v[11:12], v[30:31], v[38:39], v[16:17]
	v_fma_f64 v[13:14], v[32:33], v[38:39], v[14:15]
	v_fma_f64 v[38:39], -v[32:33], v[40:41], v[11:12]
	v_lshlrev_b64 v[11:12], 4, v[22:23]
	v_add_u32_e32 v22, -7, v20
	v_fma_f64 v[40:41], v[30:31], v[40:41], v[13:14]
	v_lshlrev_b64 v[13:14], 4, v[22:23]
	v_add_co_u32_e32 v11, vcc, s14, v11
	v_addc_co_u32_e32 v12, vcc, v29, v12, vcc
	v_add_co_u32_e32 v15, vcc, s12, v13
	v_addc_co_u32_e32 v16, vcc, v28, v14, vcc
	global_load_dwordx4 v[11:14], v[11:12], off
	v_add_u32_e32 v22, -15, v20
	v_lshlrev_b64 v[30:31], 4, v[22:23]
	v_add_u32_e32 v22, 2, v24
	v_add_co_u32_e32 v30, vcc, s12, v30
	v_addc_co_u32_e32 v31, vcc, v28, v31, vcc
	s_waitcnt vmcnt(0)
	v_fma_f64 v[17:18], v[34:35], v[11:12], v[18:19]
	v_fma_f64 v[32:33], v[36:37], v[11:12], v[48:49]
	v_fma_f64 v[36:37], -v[36:37], v[13:14], v[17:18]
	global_load_dwordx4 v[15:18], v[15:16], off
	v_fma_f64 v[34:35], v[34:35], v[13:14], v[32:33]
	global_load_dwordx4 v[30:33], v[30:31], off
	s_waitcnt vmcnt(1)
	v_fma_f64 v[38:39], v[15:16], v[11:12], v[38:39]
	v_fma_f64 v[11:12], v[17:18], v[11:12], v[40:41]
	v_fma_f64 v[38:39], -v[17:18], v[13:14], v[38:39]
	v_fma_f64 v[40:41], v[15:16], v[13:14], v[11:12]
	v_lshlrev_b64 v[11:12], 4, v[22:23]
	v_add_u32_e32 v22, -6, v20
	v_lshlrev_b64 v[13:14], 4, v[22:23]
	v_add_co_u32_e32 v11, vcc, s14, v11
	v_addc_co_u32_e32 v12, vcc, v29, v12, vcc
	v_add_co_u32_e32 v15, vcc, s12, v13
	v_addc_co_u32_e32 v16, vcc, v28, v14, vcc
	global_load_dwordx4 v[11:14], v[11:12], off
	v_add_u32_e32 v22, -14, v20
	v_lshlrev_b64 v[46:47], 4, v[22:23]
	v_add_u32_e32 v22, 3, v24
	s_waitcnt vmcnt(0)
	v_fma_f64 v[17:18], v[30:31], v[11:12], v[36:37]
	v_fma_f64 v[34:35], v[32:33], v[11:12], v[34:35]
	v_fma_f64 v[36:37], -v[32:33], v[13:14], v[17:18]
	global_load_dwordx4 v[15:18], v[15:16], off
	v_fma_f64 v[34:35], v[30:31], v[13:14], v[34:35]
	v_add_co_u32_e32 v30, vcc, s12, v46
	v_addc_co_u32_e32 v31, vcc, v28, v47, vcc
	global_load_dwordx4 v[30:33], v[30:31], off
	s_waitcnt vmcnt(1)
	v_fma_f64 v[38:39], v[15:16], v[11:12], v[38:39]
	v_fma_f64 v[11:12], v[17:18], v[11:12], v[40:41]
	v_fma_f64 v[38:39], -v[17:18], v[13:14], v[38:39]
	v_fma_f64 v[40:41], v[15:16], v[13:14], v[11:12]
	v_lshlrev_b64 v[11:12], 4, v[22:23]
	v_add_u32_e32 v22, -5, v20
	v_lshlrev_b64 v[13:14], 4, v[22:23]
	v_add_co_u32_e32 v11, vcc, s14, v11
	v_addc_co_u32_e32 v12, vcc, v29, v12, vcc
	v_add_co_u32_e32 v15, vcc, s12, v13
	v_addc_co_u32_e32 v16, vcc, v28, v14, vcc
	global_load_dwordx4 v[11:14], v[11:12], off
	v_add_u32_e32 v22, -13, v20
	v_lshlrev_b64 v[46:47], 4, v[22:23]
	v_add_u32_e32 v22, 4, v24
	s_waitcnt vmcnt(0)
	v_fma_f64 v[17:18], v[30:31], v[11:12], v[36:37]
	v_fma_f64 v[34:35], v[32:33], v[11:12], v[34:35]
	v_fma_f64 v[36:37], -v[32:33], v[13:14], v[17:18]
	global_load_dwordx4 v[15:18], v[15:16], off
	v_fma_f64 v[34:35], v[30:31], v[13:14], v[34:35]
	v_add_co_u32_e32 v30, vcc, s12, v46
	v_addc_co_u32_e32 v31, vcc, v28, v47, vcc
	;; [unrolled: 25-line block ×5, first 2 shown]
	global_load_dwordx4 v[30:33], v[30:31], off
	s_waitcnt vmcnt(1)
	v_fma_f64 v[38:39], v[15:16], v[11:12], v[38:39]
	v_fma_f64 v[11:12], v[17:18], v[11:12], v[40:41]
	v_fma_f64 v[38:39], -v[17:18], v[13:14], v[38:39]
	v_fma_f64 v[40:41], v[15:16], v[13:14], v[11:12]
	v_lshlrev_b64 v[11:12], 4, v[22:23]
	v_add_u32_e32 v22, -1, v20
	v_add_co_u32_e32 v11, vcc, s14, v11
	v_addc_co_u32_e32 v12, vcc, v29, v12, vcc
	global_load_dwordx4 v[11:14], v[11:12], off
	v_lshlrev_b64 v[15:16], 4, v[22:23]
	v_add_u32_e32 v22, -9, v20
	v_add_co_u32_e32 v15, vcc, s12, v15
	v_addc_co_u32_e32 v16, vcc, v28, v16, vcc
	v_lshlrev_b64 v[46:47], 4, v[22:23]
	v_add_u32_e32 v22, 8, v24
	v_lshlrev_b64 v[21:22], 4, v[22:23]
	v_add_u32_e32 v20, 0x90, v20
	s_waitcnt vmcnt(0)
	v_fma_f64 v[17:18], v[30:31], v[11:12], v[36:37]
	v_fma_f64 v[24:25], v[32:33], v[11:12], v[34:35]
	v_fma_f64 v[34:35], -v[32:33], v[13:14], v[17:18]
	global_load_dwordx4 v[15:18], v[15:16], off
	v_fma_f64 v[24:25], v[30:31], v[13:14], v[24:25]
	v_add_co_u32_e32 v30, vcc, s12, v46
	v_addc_co_u32_e32 v31, vcc, v28, v47, vcc
	global_load_dwordx4 v[30:33], v[30:31], off
	v_add_co_u32_e32 v21, vcc, s14, v21
	v_addc_co_u32_e32 v22, vcc, v29, v22, vcc
	v_cmp_ge_i32_e32 vcc, v10, v27
	s_or_b64 s[0:1], vcc, s[0:1]
	s_waitcnt vmcnt(1)
	v_fma_f64 v[36:37], v[15:16], v[11:12], v[38:39]
	v_fma_f64 v[11:12], v[17:18], v[11:12], v[40:41]
	v_fma_f64 v[17:18], -v[17:18], v[13:14], v[36:37]
	v_fma_f64 v[36:37], v[15:16], v[13:14], v[11:12]
	global_load_dwordx4 v[12:15], v[21:22], off
	s_waitcnt vmcnt(0)
	v_fma_f64 v[21:22], v[30:31], v[12:13], v[34:35]
	v_fma_f64 v[24:25], v[32:33], v[12:13], v[24:25]
	;; [unrolled: 1-line block ×4, first 2 shown]
	v_fma_f64 v[18:19], -v[32:33], v[14:15], v[21:22]
	v_fma_f64 v[12:13], v[30:31], v[14:15], v[24:25]
	v_fma_f64 v[16:17], -v[44:45], v[14:15], v[16:17]
	v_fma_f64 v[14:15], v[42:43], v[14:15], v[34:35]
	s_andn2_b64 exec, exec, s[0:1]
	s_cbranch_execnz .LBB264_13
; %bb.14:
	s_or_b64 exec, exec, s[0:1]
.LBB264_15:
	s_or_b64 exec, exec, s[6:7]
.LBB264_16:
	v_mov_b32_dpp v10, v18 row_shr:1 row_mask:0xf bank_mask:0xf
	v_mov_b32_dpp v11, v19 row_shr:1 row_mask:0xf bank_mask:0xf
	v_add_f64 v[10:11], v[18:19], v[10:11]
	v_mov_b32_dpp v18, v12 row_shr:1 row_mask:0xf bank_mask:0xf
	v_mov_b32_dpp v19, v13 row_shr:1 row_mask:0xf bank_mask:0xf
	;; [unrolled: 1-line block ×4, first 2 shown]
	v_add_f64 v[12:13], v[12:13], v[18:19]
	v_add_f64 v[16:17], v[16:17], v[20:21]
	v_mov_b32_dpp v20, v14 row_shr:1 row_mask:0xf bank_mask:0xf
	v_mov_b32_dpp v21, v15 row_shr:1 row_mask:0xf bank_mask:0xf
	v_add_f64 v[14:15], v[14:15], v[20:21]
	v_mov_b32_dpp v18, v10 row_shr:2 row_mask:0xf bank_mask:0xf
	v_mov_b32_dpp v19, v11 row_shr:2 row_mask:0xf bank_mask:0xf
	;; [unrolled: 3-line block ×6, first 2 shown]
	v_mov_b32_dpp v16, v12 row_shr:4 row_mask:0xf bank_mask:0xe
	v_mov_b32_dpp v17, v13 row_shr:4 row_mask:0xf bank_mask:0xe
	;; [unrolled: 1-line block ×4, first 2 shown]
	v_cmp_eq_u32_e32 vcc, 7, v0
	v_mov_b32_dpp v20, v14 row_shr:4 row_mask:0xf bank_mask:0xe
	v_mov_b32_dpp v21, v15 row_shr:4 row_mask:0xf bank_mask:0xe
	s_and_b64 exec, exec, vcc
	s_cbranch_execz .LBB264_21
; %bb.17:
	v_cmp_eq_f64_e32 vcc, 0, v[5:6]
	v_cmp_eq_f64_e64 s[0:1], 0, v[7:8]
	v_add_f64 v[10:11], v[10:11], v[24:25]
	v_add_f64 v[16:17], v[12:13], v[16:17]
	;; [unrolled: 1-line block ×4, first 2 shown]
	s_load_dwordx2 s[2:3], s[4:5], 0x48
	s_and_b64 s[0:1], vcc, s[0:1]
	s_and_saveexec_b64 s[4:5], s[0:1]
	s_xor_b64 s[0:1], exec, s[4:5]
	s_cbranch_execz .LBB264_19
; %bb.18:
	v_mul_f64 v[5:6], v[16:17], -v[3:4]
	v_mul_f64 v[7:8], v[1:2], v[16:17]
	v_mul_f64 v[16:17], v[14:15], -v[3:4]
	v_mul_f64 v[14:15], v[1:2], v[14:15]
	v_lshlrev_b32_e32 v9, 1, v9
	s_waitcnt lgkmcnt(0)
	v_mov_b32_e32 v18, s3
	v_fma_f64 v[5:6], v[1:2], v[10:11], v[5:6]
	v_fma_f64 v[7:8], v[3:4], v[10:11], v[7:8]
	v_fma_f64 v[0:1], v[1:2], v[12:13], v[16:17]
	v_fma_f64 v[2:3], v[3:4], v[12:13], v[14:15]
	v_ashrrev_i32_e32 v10, 31, v9
	v_lshlrev_b64 v[9:10], 4, v[9:10]
                                        ; implicit-def: $vgpr16_vgpr17
                                        ; implicit-def: $vgpr12_vgpr13
                                        ; implicit-def: $vgpr14_vgpr15
	v_add_co_u32_e32 v9, vcc, s2, v9
	v_addc_co_u32_e32 v10, vcc, v18, v10, vcc
	global_store_dwordx4 v[9:10], v[5:8], off
	global_store_dwordx4 v[9:10], v[0:3], off offset:16
                                        ; implicit-def: $vgpr9
                                        ; implicit-def: $vgpr10_vgpr11
                                        ; implicit-def: $vgpr7_vgpr8
                                        ; implicit-def: $vgpr3_vgpr4
.LBB264_19:
	s_andn2_saveexec_b64 s[0:1], s[0:1]
	s_cbranch_execz .LBB264_21
; %bb.20:
	v_lshlrev_b32_e32 v18, 1, v9
	v_ashrrev_i32_e32 v19, 31, v18
	v_lshlrev_b64 v[18:19], 4, v[18:19]
	s_waitcnt lgkmcnt(0)
	v_mov_b32_e32 v0, s3
	v_add_co_u32_e32 v26, vcc, s2, v18
	v_addc_co_u32_e32 v27, vcc, v0, v19, vcc
	global_load_dwordx4 v[18:21], v[26:27], off
	global_load_dwordx4 v[22:25], v[26:27], off offset:16
	v_mul_f64 v[28:29], v[16:17], -v[3:4]
	v_mul_f64 v[16:17], v[1:2], v[16:17]
	v_mul_f64 v[30:31], v[14:15], -v[3:4]
	v_mul_f64 v[14:15], v[1:2], v[14:15]
	v_fma_f64 v[28:29], v[1:2], v[10:11], v[28:29]
	v_fma_f64 v[9:10], v[3:4], v[10:11], v[16:17]
	;; [unrolled: 1-line block ×4, first 2 shown]
	s_waitcnt vmcnt(1)
	v_fma_f64 v[11:12], v[5:6], v[18:19], v[28:29]
	v_fma_f64 v[9:10], v[7:8], v[18:19], v[9:10]
	s_waitcnt vmcnt(0)
	v_fma_f64 v[13:14], v[5:6], v[22:23], v[0:1]
	v_fma_f64 v[15:16], v[7:8], v[22:23], v[2:3]
	v_fma_f64 v[0:1], -v[7:8], v[20:21], v[11:12]
	v_fma_f64 v[2:3], v[5:6], v[20:21], v[9:10]
	v_fma_f64 v[7:8], -v[7:8], v[24:25], v[13:14]
	v_fma_f64 v[9:10], v[5:6], v[24:25], v[15:16]
	global_store_dwordx4 v[26:27], v[0:3], off
	global_store_dwordx4 v[26:27], v[7:10], off offset:16
.LBB264_21:
	s_endpgm
	.section	.rodata,"a",@progbits
	.p2align	6, 0x0
	.amdhsa_kernel _ZN9rocsparseL19gebsrmvn_2xn_kernelILj128ELj9ELj8E21rocsparse_complex_numIdEEEvi20rocsparse_direction_NS_24const_host_device_scalarIT2_EEPKiS8_PKS5_SA_S6_PS5_21rocsparse_index_base_b
		.amdhsa_group_segment_fixed_size 0
		.amdhsa_private_segment_fixed_size 0
		.amdhsa_kernarg_size 88
		.amdhsa_user_sgpr_count 6
		.amdhsa_user_sgpr_private_segment_buffer 1
		.amdhsa_user_sgpr_dispatch_ptr 0
		.amdhsa_user_sgpr_queue_ptr 0
		.amdhsa_user_sgpr_kernarg_segment_ptr 1
		.amdhsa_user_sgpr_dispatch_id 0
		.amdhsa_user_sgpr_flat_scratch_init 0
		.amdhsa_user_sgpr_private_segment_size 0
		.amdhsa_uses_dynamic_stack 0
		.amdhsa_system_sgpr_private_segment_wavefront_offset 0
		.amdhsa_system_sgpr_workgroup_id_x 1
		.amdhsa_system_sgpr_workgroup_id_y 0
		.amdhsa_system_sgpr_workgroup_id_z 0
		.amdhsa_system_sgpr_workgroup_info 0
		.amdhsa_system_vgpr_workitem_id 0
		.amdhsa_next_free_vgpr 58
		.amdhsa_next_free_sgpr 16
		.amdhsa_reserve_vcc 1
		.amdhsa_reserve_flat_scratch 0
		.amdhsa_float_round_mode_32 0
		.amdhsa_float_round_mode_16_64 0
		.amdhsa_float_denorm_mode_32 3
		.amdhsa_float_denorm_mode_16_64 3
		.amdhsa_dx10_clamp 1
		.amdhsa_ieee_mode 1
		.amdhsa_fp16_overflow 0
		.amdhsa_exception_fp_ieee_invalid_op 0
		.amdhsa_exception_fp_denorm_src 0
		.amdhsa_exception_fp_ieee_div_zero 0
		.amdhsa_exception_fp_ieee_overflow 0
		.amdhsa_exception_fp_ieee_underflow 0
		.amdhsa_exception_fp_ieee_inexact 0
		.amdhsa_exception_int_div_zero 0
	.end_amdhsa_kernel
	.section	.text._ZN9rocsparseL19gebsrmvn_2xn_kernelILj128ELj9ELj8E21rocsparse_complex_numIdEEEvi20rocsparse_direction_NS_24const_host_device_scalarIT2_EEPKiS8_PKS5_SA_S6_PS5_21rocsparse_index_base_b,"axG",@progbits,_ZN9rocsparseL19gebsrmvn_2xn_kernelILj128ELj9ELj8E21rocsparse_complex_numIdEEEvi20rocsparse_direction_NS_24const_host_device_scalarIT2_EEPKiS8_PKS5_SA_S6_PS5_21rocsparse_index_base_b,comdat
.Lfunc_end264:
	.size	_ZN9rocsparseL19gebsrmvn_2xn_kernelILj128ELj9ELj8E21rocsparse_complex_numIdEEEvi20rocsparse_direction_NS_24const_host_device_scalarIT2_EEPKiS8_PKS5_SA_S6_PS5_21rocsparse_index_base_b, .Lfunc_end264-_ZN9rocsparseL19gebsrmvn_2xn_kernelILj128ELj9ELj8E21rocsparse_complex_numIdEEEvi20rocsparse_direction_NS_24const_host_device_scalarIT2_EEPKiS8_PKS5_SA_S6_PS5_21rocsparse_index_base_b
                                        ; -- End function
	.set _ZN9rocsparseL19gebsrmvn_2xn_kernelILj128ELj9ELj8E21rocsparse_complex_numIdEEEvi20rocsparse_direction_NS_24const_host_device_scalarIT2_EEPKiS8_PKS5_SA_S6_PS5_21rocsparse_index_base_b.num_vgpr, 58
	.set _ZN9rocsparseL19gebsrmvn_2xn_kernelILj128ELj9ELj8E21rocsparse_complex_numIdEEEvi20rocsparse_direction_NS_24const_host_device_scalarIT2_EEPKiS8_PKS5_SA_S6_PS5_21rocsparse_index_base_b.num_agpr, 0
	.set _ZN9rocsparseL19gebsrmvn_2xn_kernelILj128ELj9ELj8E21rocsparse_complex_numIdEEEvi20rocsparse_direction_NS_24const_host_device_scalarIT2_EEPKiS8_PKS5_SA_S6_PS5_21rocsparse_index_base_b.numbered_sgpr, 16
	.set _ZN9rocsparseL19gebsrmvn_2xn_kernelILj128ELj9ELj8E21rocsparse_complex_numIdEEEvi20rocsparse_direction_NS_24const_host_device_scalarIT2_EEPKiS8_PKS5_SA_S6_PS5_21rocsparse_index_base_b.num_named_barrier, 0
	.set _ZN9rocsparseL19gebsrmvn_2xn_kernelILj128ELj9ELj8E21rocsparse_complex_numIdEEEvi20rocsparse_direction_NS_24const_host_device_scalarIT2_EEPKiS8_PKS5_SA_S6_PS5_21rocsparse_index_base_b.private_seg_size, 0
	.set _ZN9rocsparseL19gebsrmvn_2xn_kernelILj128ELj9ELj8E21rocsparse_complex_numIdEEEvi20rocsparse_direction_NS_24const_host_device_scalarIT2_EEPKiS8_PKS5_SA_S6_PS5_21rocsparse_index_base_b.uses_vcc, 1
	.set _ZN9rocsparseL19gebsrmvn_2xn_kernelILj128ELj9ELj8E21rocsparse_complex_numIdEEEvi20rocsparse_direction_NS_24const_host_device_scalarIT2_EEPKiS8_PKS5_SA_S6_PS5_21rocsparse_index_base_b.uses_flat_scratch, 0
	.set _ZN9rocsparseL19gebsrmvn_2xn_kernelILj128ELj9ELj8E21rocsparse_complex_numIdEEEvi20rocsparse_direction_NS_24const_host_device_scalarIT2_EEPKiS8_PKS5_SA_S6_PS5_21rocsparse_index_base_b.has_dyn_sized_stack, 0
	.set _ZN9rocsparseL19gebsrmvn_2xn_kernelILj128ELj9ELj8E21rocsparse_complex_numIdEEEvi20rocsparse_direction_NS_24const_host_device_scalarIT2_EEPKiS8_PKS5_SA_S6_PS5_21rocsparse_index_base_b.has_recursion, 0
	.set _ZN9rocsparseL19gebsrmvn_2xn_kernelILj128ELj9ELj8E21rocsparse_complex_numIdEEEvi20rocsparse_direction_NS_24const_host_device_scalarIT2_EEPKiS8_PKS5_SA_S6_PS5_21rocsparse_index_base_b.has_indirect_call, 0
	.section	.AMDGPU.csdata,"",@progbits
; Kernel info:
; codeLenInByte = 3884
; TotalNumSgprs: 20
; NumVgprs: 58
; ScratchSize: 0
; MemoryBound: 0
; FloatMode: 240
; IeeeMode: 1
; LDSByteSize: 0 bytes/workgroup (compile time only)
; SGPRBlocks: 2
; VGPRBlocks: 14
; NumSGPRsForWavesPerEU: 20
; NumVGPRsForWavesPerEU: 58
; Occupancy: 4
; WaveLimiterHint : 1
; COMPUTE_PGM_RSRC2:SCRATCH_EN: 0
; COMPUTE_PGM_RSRC2:USER_SGPR: 6
; COMPUTE_PGM_RSRC2:TRAP_HANDLER: 0
; COMPUTE_PGM_RSRC2:TGID_X_EN: 1
; COMPUTE_PGM_RSRC2:TGID_Y_EN: 0
; COMPUTE_PGM_RSRC2:TGID_Z_EN: 0
; COMPUTE_PGM_RSRC2:TIDIG_COMP_CNT: 0
	.section	.text._ZN9rocsparseL19gebsrmvn_2xn_kernelILj128ELj9ELj16E21rocsparse_complex_numIdEEEvi20rocsparse_direction_NS_24const_host_device_scalarIT2_EEPKiS8_PKS5_SA_S6_PS5_21rocsparse_index_base_b,"axG",@progbits,_ZN9rocsparseL19gebsrmvn_2xn_kernelILj128ELj9ELj16E21rocsparse_complex_numIdEEEvi20rocsparse_direction_NS_24const_host_device_scalarIT2_EEPKiS8_PKS5_SA_S6_PS5_21rocsparse_index_base_b,comdat
	.globl	_ZN9rocsparseL19gebsrmvn_2xn_kernelILj128ELj9ELj16E21rocsparse_complex_numIdEEEvi20rocsparse_direction_NS_24const_host_device_scalarIT2_EEPKiS8_PKS5_SA_S6_PS5_21rocsparse_index_base_b ; -- Begin function _ZN9rocsparseL19gebsrmvn_2xn_kernelILj128ELj9ELj16E21rocsparse_complex_numIdEEEvi20rocsparse_direction_NS_24const_host_device_scalarIT2_EEPKiS8_PKS5_SA_S6_PS5_21rocsparse_index_base_b
	.p2align	8
	.type	_ZN9rocsparseL19gebsrmvn_2xn_kernelILj128ELj9ELj16E21rocsparse_complex_numIdEEEvi20rocsparse_direction_NS_24const_host_device_scalarIT2_EEPKiS8_PKS5_SA_S6_PS5_21rocsparse_index_base_b,@function
_ZN9rocsparseL19gebsrmvn_2xn_kernelILj128ELj9ELj16E21rocsparse_complex_numIdEEEvi20rocsparse_direction_NS_24const_host_device_scalarIT2_EEPKiS8_PKS5_SA_S6_PS5_21rocsparse_index_base_b: ; @_ZN9rocsparseL19gebsrmvn_2xn_kernelILj128ELj9ELj16E21rocsparse_complex_numIdEEEvi20rocsparse_direction_NS_24const_host_device_scalarIT2_EEPKiS8_PKS5_SA_S6_PS5_21rocsparse_index_base_b
; %bb.0:
	s_load_dwordx2 s[0:1], s[4:5], 0x8
	s_load_dwordx2 s[8:9], s[4:5], 0x38
	;; [unrolled: 1-line block ×3, first 2 shown]
	s_add_u32 s7, s4, 8
	s_addc_u32 s10, s5, 0
	s_add_u32 s11, s4, 56
	s_addc_u32 s12, s5, 0
	s_waitcnt lgkmcnt(0)
	s_bitcmp1_b32 s3, 0
	s_cselect_b32 s1, s10, s1
	s_cselect_b32 s0, s7, s0
	v_mov_b32_e32 v1, s0
	v_mov_b32_e32 v2, s1
	flat_load_dwordx4 v[1:4], v[1:2]
	s_cselect_b32 s0, s12, s9
	s_cselect_b32 s1, s11, s8
	v_mov_b32_e32 v5, s1
	v_mov_b32_e32 v6, s0
	flat_load_dwordx4 v[5:8], v[5:6]
	s_waitcnt vmcnt(0) lgkmcnt(0)
	v_cmp_eq_f64_e32 vcc, 0, v[1:2]
	v_cmp_eq_f64_e64 s[0:1], 0, v[3:4]
	s_and_b64 s[10:11], vcc, s[0:1]
	s_mov_b64 s[0:1], -1
	s_and_saveexec_b64 s[8:9], s[10:11]
	s_cbranch_execz .LBB265_2
; %bb.1:
	v_cmp_neq_f64_e32 vcc, 1.0, v[5:6]
	v_cmp_neq_f64_e64 s[0:1], 0, v[7:8]
	s_or_b64 s[0:1], vcc, s[0:1]
	s_orn2_b64 s[0:1], s[0:1], exec
.LBB265_2:
	s_or_b64 exec, exec, s[8:9]
	s_and_saveexec_b64 s[8:9], s[0:1]
	s_cbranch_execz .LBB265_21
; %bb.3:
	s_load_dwordx2 s[0:1], s[4:5], 0x0
	v_lshrrev_b32_e32 v9, 4, v0
	v_lshl_or_b32 v9, s6, 3, v9
	s_waitcnt lgkmcnt(0)
	v_cmp_gt_i32_e32 vcc, s0, v9
	s_and_b64 exec, exec, vcc
	s_cbranch_execz .LBB265_21
; %bb.4:
	s_load_dwordx8 s[8:15], s[4:5], 0x18
	v_ashrrev_i32_e32 v10, 31, v9
	v_lshlrev_b64 v[10:11], 2, v[9:10]
	v_and_b32_e32 v0, 15, v0
	s_cmp_lg_u32 s1, 0
	s_waitcnt lgkmcnt(0)
	v_mov_b32_e32 v12, s9
	v_add_co_u32_e32 v10, vcc, s8, v10
	v_addc_co_u32_e32 v11, vcc, v12, v11, vcc
	global_load_dwordx2 v[10:11], v[10:11], off
	s_waitcnt vmcnt(0)
	v_subrev_u32_e32 v10, s2, v10
	v_subrev_u32_e32 v27, s2, v11
	v_add_u32_e32 v10, v10, v0
	v_cmp_lt_i32_e64 s[0:1], v10, v27
	s_cbranch_scc0 .LBB265_10
; %bb.5:
	v_mov_b32_e32 v16, 0
	v_mov_b32_e32 v18, 0
	;; [unrolled: 1-line block ×8, first 2 shown]
	s_and_saveexec_b64 s[6:7], s[0:1]
	s_cbranch_execz .LBB265_9
; %bb.6:
	v_mad_u64_u32 v[20:21], s[8:9], v10, 18, 16
	v_mov_b32_e32 v16, 0
	v_mov_b32_e32 v18, 0
	v_mov_b32_e32 v12, 0
	v_mov_b32_e32 v14, 0
	v_mov_b32_e32 v17, 0
	s_mov_b64 s[8:9], 0
	v_mov_b32_e32 v11, s11
	v_mov_b32_e32 v23, 0
	;; [unrolled: 1-line block ×8, first 2 shown]
.LBB265_7:                              ; =>This Inner Loop Header: Depth=1
	v_ashrrev_i32_e32 v25, 31, v24
	v_lshlrev_b64 v[30:31], 2, v[24:25]
	v_add_u32_e32 v22, -16, v20
	v_lshlrev_b64 v[32:33], 4, v[22:23]
	v_add_co_u32_e32 v38, vcc, s10, v30
	v_mov_b32_e32 v21, v23
	v_addc_co_u32_e32 v39, vcc, v11, v31, vcc
	v_lshlrev_b64 v[34:35], 4, v[20:21]
	v_add_co_u32_e32 v40, vcc, s12, v32
	v_addc_co_u32_e32 v41, vcc, v28, v33, vcc
	v_add_co_u32_e32 v50, vcc, s12, v34
	v_addc_co_u32_e32 v51, vcc, v28, v35, vcc
	global_load_dword v25, v[38:39], off
	global_load_dwordx4 v[30:33], v[40:41], off
	global_load_dwordx4 v[34:37], v[40:41], off offset:16
	v_add_u32_e32 v22, -14, v20
	v_lshlrev_b64 v[21:22], 4, v[22:23]
	v_mov_b32_e32 v26, v23
	v_add_co_u32_e32 v21, vcc, s12, v21
	v_addc_co_u32_e32 v22, vcc, v28, v22, vcc
	global_load_dwordx4 v[38:41], v[21:22], off
	global_load_dwordx4 v[42:45], v[21:22], off offset:16
	v_add_u32_e32 v24, 16, v24
	s_waitcnt vmcnt(4)
	v_subrev_u32_e32 v21, s2, v25
	v_lshl_add_u32 v25, v21, 3, v21
	v_lshlrev_b64 v[46:47], 4, v[25:26]
	v_add_u32_e32 v22, 1, v25
	v_add_co_u32_e32 v46, vcc, s14, v46
	v_addc_co_u32_e32 v47, vcc, v29, v47, vcc
	global_load_dwordx4 v[46:49], v[46:47], off
	v_lshlrev_b64 v[52:53], 4, v[22:23]
	v_add_u32_e32 v22, -12, v20
	s_waitcnt vmcnt(0)
	v_fma_f64 v[18:19], v[30:31], v[46:47], v[18:19]
	v_fma_f64 v[12:13], v[34:35], v[46:47], v[12:13]
	;; [unrolled: 1-line block ×4, first 2 shown]
	v_fma_f64 v[32:33], -v[32:33], v[48:49], v[18:19]
	v_add_co_u32_e32 v18, vcc, s14, v52
	v_addc_co_u32_e32 v19, vcc, v29, v53, vcc
	v_fma_f64 v[36:37], -v[36:37], v[48:49], v[12:13]
	v_fma_f64 v[34:35], v[34:35], v[48:49], v[14:15]
	global_load_dwordx4 v[12:15], v[18:19], off
	v_fma_f64 v[30:31], v[30:31], v[48:49], v[16:17]
	v_lshlrev_b64 v[16:17], 4, v[22:23]
	v_add_u32_e32 v22, 2, v25
	v_lshlrev_b64 v[52:53], 4, v[22:23]
	v_add_co_u32_e32 v46, vcc, s12, v16
	v_addc_co_u32_e32 v47, vcc, v28, v17, vcc
	v_add_co_u32_e32 v52, vcc, s14, v52
	v_addc_co_u32_e32 v53, vcc, v29, v53, vcc
	global_load_dwordx4 v[16:19], v[46:47], off
	v_add_u32_e32 v22, -10, v20
	v_lshlrev_b64 v[48:49], 4, v[22:23]
	v_add_u32_e32 v22, 3, v25
	v_add_co_u32_e32 v48, vcc, s12, v48
	v_addc_co_u32_e32 v49, vcc, v28, v49, vcc
	s_waitcnt vmcnt(1)
	v_fma_f64 v[32:33], v[38:39], v[12:13], v[32:33]
	v_fma_f64 v[30:31], v[40:41], v[12:13], v[30:31]
	;; [unrolled: 1-line block ×4, first 2 shown]
	v_fma_f64 v[40:41], -v[40:41], v[14:15], v[32:33]
	v_fma_f64 v[38:39], v[38:39], v[14:15], v[30:31]
	global_load_dwordx4 v[30:33], v[46:47], off offset:16
	v_fma_f64 v[44:45], -v[44:45], v[14:15], v[36:37]
	v_fma_f64 v[42:43], v[42:43], v[14:15], v[12:13]
	global_load_dwordx4 v[12:15], v[52:53], off
	v_lshlrev_b64 v[46:47], 4, v[22:23]
	global_load_dwordx4 v[34:37], v[48:49], off
	v_add_co_u32_e32 v46, vcc, s14, v46
	v_addc_co_u32_e32 v47, vcc, v29, v47, vcc
	v_add_u32_e32 v22, -8, v20
	v_lshlrev_b64 v[52:53], 4, v[22:23]
	v_add_u32_e32 v22, 4, v25
	s_waitcnt vmcnt(1)
	v_fma_f64 v[40:41], v[16:17], v[12:13], v[40:41]
	v_fma_f64 v[38:39], v[18:19], v[12:13], v[38:39]
	;; [unrolled: 1-line block ×4, first 2 shown]
	v_fma_f64 v[40:41], -v[18:19], v[14:15], v[40:41]
	v_fma_f64 v[38:39], v[16:17], v[14:15], v[38:39]
	global_load_dwordx4 v[16:19], v[48:49], off offset:16
	v_fma_f64 v[42:43], -v[32:33], v[14:15], v[44:45]
	v_fma_f64 v[44:45], v[30:31], v[14:15], v[12:13]
	global_load_dwordx4 v[12:15], v[46:47], off
	v_lshlrev_b64 v[48:49], 4, v[22:23]
	v_add_co_u32_e32 v46, vcc, s12, v52
	v_addc_co_u32_e32 v47, vcc, v28, v53, vcc
	v_add_co_u32_e32 v48, vcc, s14, v48
	v_addc_co_u32_e32 v49, vcc, v29, v49, vcc
	global_load_dwordx4 v[30:33], v[46:47], off
	v_add_u32_e32 v22, -6, v20
	v_lshlrev_b64 v[52:53], 4, v[22:23]
	v_add_u32_e32 v22, 5, v25
	s_waitcnt vmcnt(1)
	v_fma_f64 v[40:41], v[34:35], v[12:13], v[40:41]
	v_fma_f64 v[38:39], v[36:37], v[12:13], v[38:39]
	;; [unrolled: 1-line block ×4, first 2 shown]
	v_fma_f64 v[40:41], -v[36:37], v[14:15], v[40:41]
	v_fma_f64 v[38:39], v[34:35], v[14:15], v[38:39]
	global_load_dwordx4 v[34:37], v[46:47], off offset:16
	v_fma_f64 v[42:43], -v[18:19], v[14:15], v[42:43]
	v_fma_f64 v[44:45], v[16:17], v[14:15], v[12:13]
	global_load_dwordx4 v[12:15], v[48:49], off
	v_lshlrev_b64 v[46:47], 4, v[22:23]
	v_add_co_u32_e32 v48, vcc, s12, v52
	v_addc_co_u32_e32 v49, vcc, v28, v53, vcc
	v_add_co_u32_e32 v46, vcc, s14, v46
	v_addc_co_u32_e32 v47, vcc, v29, v47, vcc
	global_load_dwordx4 v[16:19], v[48:49], off
	v_add_u32_e32 v22, -4, v20
	v_lshlrev_b64 v[52:53], 4, v[22:23]
	v_add_u32_e32 v22, 6, v25
	s_waitcnt vmcnt(1)
	v_fma_f64 v[40:41], v[30:31], v[12:13], v[40:41]
	v_fma_f64 v[38:39], v[32:33], v[12:13], v[38:39]
	;; [unrolled: 1-line block ×4, first 2 shown]
	v_fma_f64 v[40:41], -v[32:33], v[14:15], v[40:41]
	v_fma_f64 v[38:39], v[30:31], v[14:15], v[38:39]
	v_fma_f64 v[42:43], -v[36:37], v[14:15], v[42:43]
	v_fma_f64 v[44:45], v[34:35], v[14:15], v[12:13]
	global_load_dwordx4 v[12:15], v[46:47], off
	global_load_dwordx4 v[30:33], v[48:49], off offset:16
	v_lshlrev_b64 v[48:49], 4, v[22:23]
	v_add_co_u32_e32 v46, vcc, s12, v52
	v_addc_co_u32_e32 v47, vcc, v28, v53, vcc
	v_add_co_u32_e32 v48, vcc, s14, v48
	v_addc_co_u32_e32 v49, vcc, v29, v49, vcc
	global_load_dwordx4 v[34:37], v[46:47], off
	v_add_u32_e32 v22, -2, v20
	v_lshlrev_b64 v[52:53], 4, v[22:23]
	v_add_u32_e32 v22, 7, v25
	v_lshlrev_b64 v[21:22], 4, v[22:23]
	v_add_u32_e32 v20, 0x120, v20
	s_waitcnt vmcnt(2)
	v_fma_f64 v[38:39], v[18:19], v[12:13], v[38:39]
	v_fma_f64 v[40:41], v[16:17], v[12:13], v[40:41]
	;; [unrolled: 1-line block ×3, first 2 shown]
	s_waitcnt vmcnt(1)
	v_fma_f64 v[38:39], v[30:31], v[12:13], v[42:43]
	v_fma_f64 v[12:13], v[32:33], v[12:13], v[44:45]
	v_fma_f64 v[54:55], -v[18:19], v[14:15], v[40:41]
	global_load_dwordx4 v[16:19], v[46:47], off offset:16
	v_add_co_u32_e32 v46, vcc, s12, v52
	v_addc_co_u32_e32 v47, vcc, v28, v53, vcc
	v_fma_f64 v[42:43], -v[32:33], v[14:15], v[38:39]
	v_fma_f64 v[44:45], v[30:31], v[14:15], v[12:13]
	global_load_dwordx4 v[12:15], v[48:49], off
	global_load_dwordx4 v[30:33], v[46:47], off
	global_load_dwordx4 v[38:41], v[46:47], off offset:16
	v_add_co_u32_e32 v21, vcc, s14, v21
	v_addc_co_u32_e32 v22, vcc, v29, v22, vcc
	s_waitcnt vmcnt(2)
	v_fma_f64 v[46:47], v[34:35], v[12:13], v[54:55]
	v_fma_f64 v[48:49], v[36:37], v[12:13], v[56:57]
	v_fma_f64 v[52:53], -v[36:37], v[14:15], v[46:47]
	v_fma_f64 v[54:55], v[34:35], v[14:15], v[48:49]
	global_load_dwordx4 v[34:37], v[21:22], off
	v_fma_f64 v[21:22], v[16:17], v[12:13], v[42:43]
	v_fma_f64 v[12:13], v[18:19], v[12:13], v[44:45]
	v_fma_f64 v[18:19], -v[18:19], v[14:15], v[21:22]
	v_add_u32_e32 v22, 8, v25
	v_lshlrev_b64 v[21:22], 4, v[22:23]
	v_fma_f64 v[16:17], v[16:17], v[14:15], v[12:13]
	v_add_co_u32_e32 v21, vcc, s14, v21
	v_addc_co_u32_e32 v22, vcc, v29, v22, vcc
	global_load_dwordx4 v[12:15], v[50:51], off
	global_load_dwordx4 v[42:45], v[50:51], off offset:16
	global_load_dwordx4 v[46:49], v[21:22], off
	v_cmp_ge_i32_e32 vcc, v24, v27
	s_or_b64 s[8:9], vcc, s[8:9]
	s_waitcnt vmcnt(3)
	v_fma_f64 v[21:22], v[30:31], v[34:35], v[52:53]
	v_fma_f64 v[25:26], v[32:33], v[34:35], v[54:55]
	;; [unrolled: 1-line block ×4, first 2 shown]
	v_fma_f64 v[21:22], -v[32:33], v[36:37], v[21:22]
	v_fma_f64 v[25:26], v[30:31], v[36:37], v[25:26]
	v_fma_f64 v[18:19], -v[40:41], v[36:37], v[18:19]
	v_fma_f64 v[16:17], v[38:39], v[36:37], v[16:17]
	s_waitcnt vmcnt(0)
	v_fma_f64 v[21:22], v[12:13], v[46:47], v[21:22]
	v_fma_f64 v[25:26], v[14:15], v[46:47], v[25:26]
	;; [unrolled: 1-line block ×4, first 2 shown]
	v_fma_f64 v[18:19], -v[14:15], v[48:49], v[21:22]
	v_fma_f64 v[16:17], v[12:13], v[48:49], v[25:26]
	v_fma_f64 v[12:13], -v[44:45], v[48:49], v[30:31]
	v_fma_f64 v[14:15], v[42:43], v[48:49], v[32:33]
	s_andn2_b64 exec, exec, s[8:9]
	s_cbranch_execnz .LBB265_7
; %bb.8:
	s_or_b64 exec, exec, s[8:9]
.LBB265_9:
	s_or_b64 exec, exec, s[6:7]
	s_cbranch_execz .LBB265_11
	s_branch .LBB265_16
.LBB265_10:
                                        ; implicit-def: $vgpr16_vgpr17
                                        ; implicit-def: $vgpr18_vgpr19
                                        ; implicit-def: $vgpr12_vgpr13
                                        ; implicit-def: $vgpr14_vgpr15
.LBB265_11:
	v_mov_b32_e32 v16, 0
	v_mov_b32_e32 v18, 0
	;; [unrolled: 1-line block ×8, first 2 shown]
	s_and_saveexec_b64 s[6:7], s[0:1]
	s_cbranch_execz .LBB265_15
; %bb.12:
	v_mad_u64_u32 v[20:21], s[0:1], v10, 18, 17
	v_mov_b32_e32 v16, 0
	v_mov_b32_e32 v18, 0
	;; [unrolled: 1-line block ×5, first 2 shown]
	s_mov_b64 s[0:1], 0
	v_mov_b32_e32 v26, s11
	v_mov_b32_e32 v23, 0
	;; [unrolled: 1-line block ×7, first 2 shown]
.LBB265_13:                             ; =>This Inner Loop Header: Depth=1
	v_ashrrev_i32_e32 v11, 31, v10
	v_lshlrev_b64 v[32:33], 2, v[10:11]
	v_subrev_u32_e32 v22, 17, v20
	v_lshlrev_b64 v[34:35], 4, v[22:23]
	v_add_co_u32_e32 v38, vcc, s10, v32
	v_add_u32_e32 v30, -8, v20
	v_mov_b32_e32 v31, v23
	v_addc_co_u32_e32 v39, vcc, v26, v33, vcc
	v_lshlrev_b64 v[30:31], 4, v[30:31]
	v_add_co_u32_e32 v40, vcc, s12, v34
	v_addc_co_u32_e32 v41, vcc, v28, v35, vcc
	v_add_co_u32_e32 v42, vcc, s12, v30
	v_addc_co_u32_e32 v43, vcc, v28, v31, vcc
	global_load_dword v11, v[38:39], off
	global_load_dwordx4 v[30:33], v[40:41], off
	global_load_dwordx4 v[34:37], v[40:41], off offset:16
	v_mov_b32_e32 v21, v23
	v_lshlrev_b64 v[21:22], 4, v[20:21]
	v_mov_b32_e32 v25, v23
	v_add_co_u32_e32 v21, vcc, s12, v21
	v_addc_co_u32_e32 v22, vcc, v28, v22, vcc
	v_add_u32_e32 v10, 16, v10
	s_waitcnt vmcnt(2)
	v_subrev_u32_e32 v11, s2, v11
	v_lshl_add_u32 v24, v11, 3, v11
	v_lshlrev_b64 v[38:39], 4, v[24:25]
	v_add_co_u32_e32 v38, vcc, s14, v38
	v_addc_co_u32_e32 v39, vcc, v29, v39, vcc
	global_load_dwordx4 v[38:41], v[38:39], off
	s_waitcnt vmcnt(0)
	v_fma_f64 v[18:19], v[30:31], v[38:39], v[18:19]
	v_fma_f64 v[16:17], v[32:33], v[38:39], v[16:17]
	v_fma_f64 v[44:45], -v[32:33], v[40:41], v[18:19]
	v_fma_f64 v[46:47], v[30:31], v[40:41], v[16:17]
	global_load_dwordx4 v[16:19], v[42:43], off
	global_load_dwordx4 v[30:33], v[21:22], off
	v_add_u32_e32 v22, 1, v24
	s_waitcnt vmcnt(1)
	v_fma_f64 v[11:12], v[16:17], v[38:39], v[12:13]
	v_fma_f64 v[13:14], v[18:19], v[38:39], v[14:15]
	v_fma_f64 v[38:39], -v[18:19], v[40:41], v[11:12]
	v_lshlrev_b64 v[11:12], 4, v[22:23]
	v_add_u32_e32 v22, -7, v20
	v_fma_f64 v[40:41], v[16:17], v[40:41], v[13:14]
	v_lshlrev_b64 v[13:14], 4, v[22:23]
	v_add_co_u32_e32 v11, vcc, s14, v11
	v_addc_co_u32_e32 v12, vcc, v29, v12, vcc
	v_add_co_u32_e32 v15, vcc, s12, v13
	v_addc_co_u32_e32 v16, vcc, v28, v14, vcc
	global_load_dwordx4 v[11:14], v[11:12], off
	v_add_u32_e32 v22, -15, v20
	v_lshlrev_b64 v[42:43], 4, v[22:23]
	v_add_u32_e32 v22, 2, v24
	s_waitcnt vmcnt(0)
	v_fma_f64 v[17:18], v[34:35], v[11:12], v[44:45]
	v_fma_f64 v[44:45], v[36:37], v[11:12], v[46:47]
	v_fma_f64 v[46:47], -v[36:37], v[13:14], v[17:18]
	global_load_dwordx4 v[15:18], v[15:16], off
	v_fma_f64 v[44:45], v[34:35], v[13:14], v[44:45]
	v_add_co_u32_e32 v34, vcc, s12, v42
	v_addc_co_u32_e32 v35, vcc, v28, v43, vcc
	global_load_dwordx4 v[34:37], v[34:35], off
	s_waitcnt vmcnt(1)
	v_fma_f64 v[38:39], v[15:16], v[11:12], v[38:39]
	v_fma_f64 v[11:12], v[17:18], v[11:12], v[40:41]
	v_fma_f64 v[38:39], -v[17:18], v[13:14], v[38:39]
	v_fma_f64 v[40:41], v[15:16], v[13:14], v[11:12]
	v_lshlrev_b64 v[11:12], 4, v[22:23]
	v_add_u32_e32 v22, -6, v20
	v_lshlrev_b64 v[13:14], 4, v[22:23]
	v_add_co_u32_e32 v11, vcc, s14, v11
	v_addc_co_u32_e32 v12, vcc, v29, v12, vcc
	v_add_co_u32_e32 v15, vcc, s12, v13
	v_addc_co_u32_e32 v16, vcc, v28, v14, vcc
	global_load_dwordx4 v[11:14], v[11:12], off
	v_add_u32_e32 v22, -14, v20
	v_lshlrev_b64 v[42:43], 4, v[22:23]
	v_add_u32_e32 v22, 3, v24
	s_waitcnt vmcnt(0)
	v_fma_f64 v[17:18], v[34:35], v[11:12], v[46:47]
	v_fma_f64 v[44:45], v[36:37], v[11:12], v[44:45]
	v_fma_f64 v[46:47], -v[36:37], v[13:14], v[17:18]
	global_load_dwordx4 v[15:18], v[15:16], off
	v_fma_f64 v[44:45], v[34:35], v[13:14], v[44:45]
	v_add_co_u32_e32 v34, vcc, s12, v42
	v_addc_co_u32_e32 v35, vcc, v28, v43, vcc
	global_load_dwordx4 v[34:37], v[34:35], off
	s_waitcnt vmcnt(1)
	v_fma_f64 v[38:39], v[15:16], v[11:12], v[38:39]
	v_fma_f64 v[11:12], v[17:18], v[11:12], v[40:41]
	v_fma_f64 v[38:39], -v[17:18], v[13:14], v[38:39]
	v_fma_f64 v[40:41], v[15:16], v[13:14], v[11:12]
	v_lshlrev_b64 v[11:12], 4, v[22:23]
	v_add_u32_e32 v22, -5, v20
	;; [unrolled: 25-line block ×6, first 2 shown]
	v_add_co_u32_e32 v11, vcc, s14, v11
	v_addc_co_u32_e32 v12, vcc, v29, v12, vcc
	global_load_dwordx4 v[11:14], v[11:12], off
	v_lshlrev_b64 v[15:16], 4, v[22:23]
	v_add_u32_e32 v22, -9, v20
	v_add_co_u32_e32 v15, vcc, s12, v15
	v_addc_co_u32_e32 v16, vcc, v28, v16, vcc
	v_lshlrev_b64 v[42:43], 4, v[22:23]
	v_add_u32_e32 v22, 8, v24
	v_lshlrev_b64 v[21:22], 4, v[22:23]
	v_add_u32_e32 v20, 0x120, v20
	s_waitcnt vmcnt(0)
	v_fma_f64 v[17:18], v[34:35], v[11:12], v[46:47]
	v_fma_f64 v[24:25], v[36:37], v[11:12], v[44:45]
	v_fma_f64 v[44:45], -v[36:37], v[13:14], v[17:18]
	global_load_dwordx4 v[15:18], v[15:16], off
	v_fma_f64 v[24:25], v[34:35], v[13:14], v[24:25]
	v_add_co_u32_e32 v34, vcc, s12, v42
	v_addc_co_u32_e32 v35, vcc, v28, v43, vcc
	global_load_dwordx4 v[34:37], v[34:35], off
	v_add_co_u32_e32 v21, vcc, s14, v21
	v_addc_co_u32_e32 v22, vcc, v29, v22, vcc
	v_cmp_ge_i32_e32 vcc, v10, v27
	s_or_b64 s[0:1], vcc, s[0:1]
	s_waitcnt vmcnt(1)
	v_fma_f64 v[38:39], v[15:16], v[11:12], v[38:39]
	v_fma_f64 v[11:12], v[17:18], v[11:12], v[40:41]
	v_fma_f64 v[17:18], -v[17:18], v[13:14], v[38:39]
	v_fma_f64 v[38:39], v[15:16], v[13:14], v[11:12]
	global_load_dwordx4 v[12:15], v[21:22], off
	s_waitcnt vmcnt(0)
	v_fma_f64 v[21:22], v[34:35], v[12:13], v[44:45]
	v_fma_f64 v[24:25], v[36:37], v[12:13], v[24:25]
	;; [unrolled: 1-line block ×4, first 2 shown]
	v_fma_f64 v[18:19], -v[36:37], v[14:15], v[21:22]
	v_fma_f64 v[16:17], v[34:35], v[14:15], v[24:25]
	v_fma_f64 v[12:13], -v[32:33], v[14:15], v[40:41]
	v_fma_f64 v[14:15], v[30:31], v[14:15], v[38:39]
	s_andn2_b64 exec, exec, s[0:1]
	s_cbranch_execnz .LBB265_13
; %bb.14:
	s_or_b64 exec, exec, s[0:1]
.LBB265_15:
	s_or_b64 exec, exec, s[6:7]
.LBB265_16:
	v_mov_b32_dpp v10, v18 row_shr:1 row_mask:0xf bank_mask:0xf
	v_mov_b32_dpp v11, v19 row_shr:1 row_mask:0xf bank_mask:0xf
	v_add_f64 v[10:11], v[18:19], v[10:11]
	v_mov_b32_dpp v18, v16 row_shr:1 row_mask:0xf bank_mask:0xf
	v_mov_b32_dpp v19, v17 row_shr:1 row_mask:0xf bank_mask:0xf
	;; [unrolled: 1-line block ×3, first 2 shown]
	v_add_f64 v[16:17], v[16:17], v[18:19]
	v_mov_b32_dpp v21, v13 row_shr:1 row_mask:0xf bank_mask:0xf
	v_add_f64 v[12:13], v[12:13], v[20:21]
	v_cmp_eq_u32_e32 vcc, 15, v0
	v_mov_b32_dpp v18, v10 row_shr:2 row_mask:0xf bank_mask:0xf
	v_mov_b32_dpp v19, v11 row_shr:2 row_mask:0xf bank_mask:0xf
	v_add_f64 v[10:11], v[10:11], v[18:19]
	v_mov_b32_dpp v18, v14 row_shr:1 row_mask:0xf bank_mask:0xf
	v_mov_b32_dpp v19, v15 row_shr:1 row_mask:0xf bank_mask:0xf
	v_add_f64 v[14:15], v[14:15], v[18:19]
	;; [unrolled: 3-line block ×4, first 2 shown]
	v_mov_b32_dpp v20, v10 row_shr:4 row_mask:0xf bank_mask:0xe
	v_mov_b32_dpp v12, v14 row_shr:2 row_mask:0xf bank_mask:0xf
	;; [unrolled: 1-line block ×3, first 2 shown]
	v_add_f64 v[14:15], v[14:15], v[12:13]
	v_mov_b32_dpp v12, v16 row_shr:4 row_mask:0xf bank_mask:0xe
	v_mov_b32_dpp v13, v17 row_shr:4 row_mask:0xf bank_mask:0xe
	v_add_f64 v[12:13], v[16:17], v[12:13]
	v_mov_b32_dpp v16, v18 row_shr:4 row_mask:0xf bank_mask:0xe
	v_mov_b32_dpp v17, v19 row_shr:4 row_mask:0xf bank_mask:0xe
	;; [unrolled: 1-line block ×3, first 2 shown]
	v_add_f64 v[18:19], v[18:19], v[16:17]
	v_mov_b32_dpp v16, v14 row_shr:4 row_mask:0xf bank_mask:0xe
	v_mov_b32_dpp v17, v15 row_shr:4 row_mask:0xf bank_mask:0xe
	v_add_f64 v[10:11], v[10:11], v[20:21]
	v_add_f64 v[14:15], v[14:15], v[16:17]
	v_mov_b32_dpp v16, v12 row_shr:8 row_mask:0xf bank_mask:0xc
	v_mov_b32_dpp v17, v13 row_shr:8 row_mask:0xf bank_mask:0xc
	;; [unrolled: 1-line block ×8, first 2 shown]
	s_and_b64 exec, exec, vcc
	s_cbranch_execz .LBB265_21
; %bb.17:
	v_cmp_eq_f64_e32 vcc, 0, v[5:6]
	v_cmp_eq_f64_e64 s[0:1], 0, v[7:8]
	v_add_f64 v[10:11], v[10:11], v[24:25]
	v_add_f64 v[16:17], v[12:13], v[16:17]
	;; [unrolled: 1-line block ×4, first 2 shown]
	s_load_dwordx2 s[2:3], s[4:5], 0x48
	s_and_b64 s[0:1], vcc, s[0:1]
	s_and_saveexec_b64 s[4:5], s[0:1]
	s_xor_b64 s[0:1], exec, s[4:5]
	s_cbranch_execz .LBB265_19
; %bb.18:
	v_mul_f64 v[5:6], v[16:17], -v[3:4]
	v_mul_f64 v[7:8], v[1:2], v[16:17]
	v_mul_f64 v[16:17], v[14:15], -v[3:4]
	v_mul_f64 v[14:15], v[1:2], v[14:15]
	v_lshlrev_b32_e32 v9, 1, v9
	s_waitcnt lgkmcnt(0)
	v_mov_b32_e32 v18, s3
	v_fma_f64 v[5:6], v[1:2], v[10:11], v[5:6]
	v_fma_f64 v[7:8], v[3:4], v[10:11], v[7:8]
	;; [unrolled: 1-line block ×4, first 2 shown]
	v_ashrrev_i32_e32 v10, 31, v9
	v_lshlrev_b64 v[9:10], 4, v[9:10]
                                        ; implicit-def: $vgpr16_vgpr17
                                        ; implicit-def: $vgpr12_vgpr13
                                        ; implicit-def: $vgpr14_vgpr15
	v_add_co_u32_e32 v9, vcc, s2, v9
	v_addc_co_u32_e32 v10, vcc, v18, v10, vcc
	global_store_dwordx4 v[9:10], v[5:8], off
	global_store_dwordx4 v[9:10], v[0:3], off offset:16
                                        ; implicit-def: $vgpr9
                                        ; implicit-def: $vgpr10_vgpr11
                                        ; implicit-def: $vgpr7_vgpr8
                                        ; implicit-def: $vgpr3_vgpr4
.LBB265_19:
	s_andn2_saveexec_b64 s[0:1], s[0:1]
	s_cbranch_execz .LBB265_21
; %bb.20:
	v_lshlrev_b32_e32 v18, 1, v9
	v_ashrrev_i32_e32 v19, 31, v18
	v_lshlrev_b64 v[18:19], 4, v[18:19]
	s_waitcnt lgkmcnt(0)
	v_mov_b32_e32 v0, s3
	v_add_co_u32_e32 v26, vcc, s2, v18
	v_addc_co_u32_e32 v27, vcc, v0, v19, vcc
	global_load_dwordx4 v[18:21], v[26:27], off
	global_load_dwordx4 v[22:25], v[26:27], off offset:16
	v_mul_f64 v[28:29], v[16:17], -v[3:4]
	v_mul_f64 v[16:17], v[1:2], v[16:17]
	v_mul_f64 v[30:31], v[14:15], -v[3:4]
	v_mul_f64 v[14:15], v[1:2], v[14:15]
	v_fma_f64 v[28:29], v[1:2], v[10:11], v[28:29]
	v_fma_f64 v[9:10], v[3:4], v[10:11], v[16:17]
	;; [unrolled: 1-line block ×4, first 2 shown]
	s_waitcnt vmcnt(1)
	v_fma_f64 v[11:12], v[5:6], v[18:19], v[28:29]
	v_fma_f64 v[9:10], v[7:8], v[18:19], v[9:10]
	s_waitcnt vmcnt(0)
	v_fma_f64 v[13:14], v[5:6], v[22:23], v[0:1]
	v_fma_f64 v[15:16], v[7:8], v[22:23], v[2:3]
	v_fma_f64 v[0:1], -v[7:8], v[20:21], v[11:12]
	v_fma_f64 v[2:3], v[5:6], v[20:21], v[9:10]
	v_fma_f64 v[7:8], -v[7:8], v[24:25], v[13:14]
	v_fma_f64 v[9:10], v[5:6], v[24:25], v[15:16]
	global_store_dwordx4 v[26:27], v[0:3], off
	global_store_dwordx4 v[26:27], v[7:10], off offset:16
.LBB265_21:
	s_endpgm
	.section	.rodata,"a",@progbits
	.p2align	6, 0x0
	.amdhsa_kernel _ZN9rocsparseL19gebsrmvn_2xn_kernelILj128ELj9ELj16E21rocsparse_complex_numIdEEEvi20rocsparse_direction_NS_24const_host_device_scalarIT2_EEPKiS8_PKS5_SA_S6_PS5_21rocsparse_index_base_b
		.amdhsa_group_segment_fixed_size 0
		.amdhsa_private_segment_fixed_size 0
		.amdhsa_kernarg_size 88
		.amdhsa_user_sgpr_count 6
		.amdhsa_user_sgpr_private_segment_buffer 1
		.amdhsa_user_sgpr_dispatch_ptr 0
		.amdhsa_user_sgpr_queue_ptr 0
		.amdhsa_user_sgpr_kernarg_segment_ptr 1
		.amdhsa_user_sgpr_dispatch_id 0
		.amdhsa_user_sgpr_flat_scratch_init 0
		.amdhsa_user_sgpr_private_segment_size 0
		.amdhsa_uses_dynamic_stack 0
		.amdhsa_system_sgpr_private_segment_wavefront_offset 0
		.amdhsa_system_sgpr_workgroup_id_x 1
		.amdhsa_system_sgpr_workgroup_id_y 0
		.amdhsa_system_sgpr_workgroup_id_z 0
		.amdhsa_system_sgpr_workgroup_info 0
		.amdhsa_system_vgpr_workitem_id 0
		.amdhsa_next_free_vgpr 58
		.amdhsa_next_free_sgpr 16
		.amdhsa_reserve_vcc 1
		.amdhsa_reserve_flat_scratch 0
		.amdhsa_float_round_mode_32 0
		.amdhsa_float_round_mode_16_64 0
		.amdhsa_float_denorm_mode_32 3
		.amdhsa_float_denorm_mode_16_64 3
		.amdhsa_dx10_clamp 1
		.amdhsa_ieee_mode 1
		.amdhsa_fp16_overflow 0
		.amdhsa_exception_fp_ieee_invalid_op 0
		.amdhsa_exception_fp_denorm_src 0
		.amdhsa_exception_fp_ieee_div_zero 0
		.amdhsa_exception_fp_ieee_overflow 0
		.amdhsa_exception_fp_ieee_underflow 0
		.amdhsa_exception_fp_ieee_inexact 0
		.amdhsa_exception_int_div_zero 0
	.end_amdhsa_kernel
	.section	.text._ZN9rocsparseL19gebsrmvn_2xn_kernelILj128ELj9ELj16E21rocsparse_complex_numIdEEEvi20rocsparse_direction_NS_24const_host_device_scalarIT2_EEPKiS8_PKS5_SA_S6_PS5_21rocsparse_index_base_b,"axG",@progbits,_ZN9rocsparseL19gebsrmvn_2xn_kernelILj128ELj9ELj16E21rocsparse_complex_numIdEEEvi20rocsparse_direction_NS_24const_host_device_scalarIT2_EEPKiS8_PKS5_SA_S6_PS5_21rocsparse_index_base_b,comdat
.Lfunc_end265:
	.size	_ZN9rocsparseL19gebsrmvn_2xn_kernelILj128ELj9ELj16E21rocsparse_complex_numIdEEEvi20rocsparse_direction_NS_24const_host_device_scalarIT2_EEPKiS8_PKS5_SA_S6_PS5_21rocsparse_index_base_b, .Lfunc_end265-_ZN9rocsparseL19gebsrmvn_2xn_kernelILj128ELj9ELj16E21rocsparse_complex_numIdEEEvi20rocsparse_direction_NS_24const_host_device_scalarIT2_EEPKiS8_PKS5_SA_S6_PS5_21rocsparse_index_base_b
                                        ; -- End function
	.set _ZN9rocsparseL19gebsrmvn_2xn_kernelILj128ELj9ELj16E21rocsparse_complex_numIdEEEvi20rocsparse_direction_NS_24const_host_device_scalarIT2_EEPKiS8_PKS5_SA_S6_PS5_21rocsparse_index_base_b.num_vgpr, 58
	.set _ZN9rocsparseL19gebsrmvn_2xn_kernelILj128ELj9ELj16E21rocsparse_complex_numIdEEEvi20rocsparse_direction_NS_24const_host_device_scalarIT2_EEPKiS8_PKS5_SA_S6_PS5_21rocsparse_index_base_b.num_agpr, 0
	.set _ZN9rocsparseL19gebsrmvn_2xn_kernelILj128ELj9ELj16E21rocsparse_complex_numIdEEEvi20rocsparse_direction_NS_24const_host_device_scalarIT2_EEPKiS8_PKS5_SA_S6_PS5_21rocsparse_index_base_b.numbered_sgpr, 16
	.set _ZN9rocsparseL19gebsrmvn_2xn_kernelILj128ELj9ELj16E21rocsparse_complex_numIdEEEvi20rocsparse_direction_NS_24const_host_device_scalarIT2_EEPKiS8_PKS5_SA_S6_PS5_21rocsparse_index_base_b.num_named_barrier, 0
	.set _ZN9rocsparseL19gebsrmvn_2xn_kernelILj128ELj9ELj16E21rocsparse_complex_numIdEEEvi20rocsparse_direction_NS_24const_host_device_scalarIT2_EEPKiS8_PKS5_SA_S6_PS5_21rocsparse_index_base_b.private_seg_size, 0
	.set _ZN9rocsparseL19gebsrmvn_2xn_kernelILj128ELj9ELj16E21rocsparse_complex_numIdEEEvi20rocsparse_direction_NS_24const_host_device_scalarIT2_EEPKiS8_PKS5_SA_S6_PS5_21rocsparse_index_base_b.uses_vcc, 1
	.set _ZN9rocsparseL19gebsrmvn_2xn_kernelILj128ELj9ELj16E21rocsparse_complex_numIdEEEvi20rocsparse_direction_NS_24const_host_device_scalarIT2_EEPKiS8_PKS5_SA_S6_PS5_21rocsparse_index_base_b.uses_flat_scratch, 0
	.set _ZN9rocsparseL19gebsrmvn_2xn_kernelILj128ELj9ELj16E21rocsparse_complex_numIdEEEvi20rocsparse_direction_NS_24const_host_device_scalarIT2_EEPKiS8_PKS5_SA_S6_PS5_21rocsparse_index_base_b.has_dyn_sized_stack, 0
	.set _ZN9rocsparseL19gebsrmvn_2xn_kernelILj128ELj9ELj16E21rocsparse_complex_numIdEEEvi20rocsparse_direction_NS_24const_host_device_scalarIT2_EEPKiS8_PKS5_SA_S6_PS5_21rocsparse_index_base_b.has_recursion, 0
	.set _ZN9rocsparseL19gebsrmvn_2xn_kernelILj128ELj9ELj16E21rocsparse_complex_numIdEEEvi20rocsparse_direction_NS_24const_host_device_scalarIT2_EEPKiS8_PKS5_SA_S6_PS5_21rocsparse_index_base_b.has_indirect_call, 0
	.section	.AMDGPU.csdata,"",@progbits
; Kernel info:
; codeLenInByte = 3980
; TotalNumSgprs: 20
; NumVgprs: 58
; ScratchSize: 0
; MemoryBound: 0
; FloatMode: 240
; IeeeMode: 1
; LDSByteSize: 0 bytes/workgroup (compile time only)
; SGPRBlocks: 2
; VGPRBlocks: 14
; NumSGPRsForWavesPerEU: 20
; NumVGPRsForWavesPerEU: 58
; Occupancy: 4
; WaveLimiterHint : 1
; COMPUTE_PGM_RSRC2:SCRATCH_EN: 0
; COMPUTE_PGM_RSRC2:USER_SGPR: 6
; COMPUTE_PGM_RSRC2:TRAP_HANDLER: 0
; COMPUTE_PGM_RSRC2:TGID_X_EN: 1
; COMPUTE_PGM_RSRC2:TGID_Y_EN: 0
; COMPUTE_PGM_RSRC2:TGID_Z_EN: 0
; COMPUTE_PGM_RSRC2:TIDIG_COMP_CNT: 0
	.section	.text._ZN9rocsparseL19gebsrmvn_2xn_kernelILj128ELj9ELj32E21rocsparse_complex_numIdEEEvi20rocsparse_direction_NS_24const_host_device_scalarIT2_EEPKiS8_PKS5_SA_S6_PS5_21rocsparse_index_base_b,"axG",@progbits,_ZN9rocsparseL19gebsrmvn_2xn_kernelILj128ELj9ELj32E21rocsparse_complex_numIdEEEvi20rocsparse_direction_NS_24const_host_device_scalarIT2_EEPKiS8_PKS5_SA_S6_PS5_21rocsparse_index_base_b,comdat
	.globl	_ZN9rocsparseL19gebsrmvn_2xn_kernelILj128ELj9ELj32E21rocsparse_complex_numIdEEEvi20rocsparse_direction_NS_24const_host_device_scalarIT2_EEPKiS8_PKS5_SA_S6_PS5_21rocsparse_index_base_b ; -- Begin function _ZN9rocsparseL19gebsrmvn_2xn_kernelILj128ELj9ELj32E21rocsparse_complex_numIdEEEvi20rocsparse_direction_NS_24const_host_device_scalarIT2_EEPKiS8_PKS5_SA_S6_PS5_21rocsparse_index_base_b
	.p2align	8
	.type	_ZN9rocsparseL19gebsrmvn_2xn_kernelILj128ELj9ELj32E21rocsparse_complex_numIdEEEvi20rocsparse_direction_NS_24const_host_device_scalarIT2_EEPKiS8_PKS5_SA_S6_PS5_21rocsparse_index_base_b,@function
_ZN9rocsparseL19gebsrmvn_2xn_kernelILj128ELj9ELj32E21rocsparse_complex_numIdEEEvi20rocsparse_direction_NS_24const_host_device_scalarIT2_EEPKiS8_PKS5_SA_S6_PS5_21rocsparse_index_base_b: ; @_ZN9rocsparseL19gebsrmvn_2xn_kernelILj128ELj9ELj32E21rocsparse_complex_numIdEEEvi20rocsparse_direction_NS_24const_host_device_scalarIT2_EEPKiS8_PKS5_SA_S6_PS5_21rocsparse_index_base_b
; %bb.0:
	s_load_dwordx2 s[0:1], s[4:5], 0x8
	s_load_dwordx2 s[8:9], s[4:5], 0x38
	;; [unrolled: 1-line block ×3, first 2 shown]
	s_add_u32 s7, s4, 8
	s_addc_u32 s10, s5, 0
	s_add_u32 s11, s4, 56
	s_addc_u32 s12, s5, 0
	s_waitcnt lgkmcnt(0)
	s_bitcmp1_b32 s3, 0
	s_cselect_b32 s1, s10, s1
	s_cselect_b32 s0, s7, s0
	v_mov_b32_e32 v1, s0
	v_mov_b32_e32 v2, s1
	flat_load_dwordx4 v[1:4], v[1:2]
	s_cselect_b32 s0, s12, s9
	s_cselect_b32 s1, s11, s8
	v_mov_b32_e32 v5, s1
	v_mov_b32_e32 v6, s0
	flat_load_dwordx4 v[5:8], v[5:6]
	s_waitcnt vmcnt(0) lgkmcnt(0)
	v_cmp_eq_f64_e32 vcc, 0, v[1:2]
	v_cmp_eq_f64_e64 s[0:1], 0, v[3:4]
	s_and_b64 s[10:11], vcc, s[0:1]
	s_mov_b64 s[0:1], -1
	s_and_saveexec_b64 s[8:9], s[10:11]
	s_cbranch_execz .LBB266_2
; %bb.1:
	v_cmp_neq_f64_e32 vcc, 1.0, v[5:6]
	v_cmp_neq_f64_e64 s[0:1], 0, v[7:8]
	s_or_b64 s[0:1], vcc, s[0:1]
	s_orn2_b64 s[0:1], s[0:1], exec
.LBB266_2:
	s_or_b64 exec, exec, s[8:9]
	s_and_saveexec_b64 s[8:9], s[0:1]
	s_cbranch_execz .LBB266_21
; %bb.3:
	s_load_dwordx2 s[0:1], s[4:5], 0x0
	v_lshrrev_b32_e32 v9, 5, v0
	v_lshl_or_b32 v9, s6, 2, v9
	s_waitcnt lgkmcnt(0)
	v_cmp_gt_i32_e32 vcc, s0, v9
	s_and_b64 exec, exec, vcc
	s_cbranch_execz .LBB266_21
; %bb.4:
	s_load_dwordx8 s[8:15], s[4:5], 0x18
	v_ashrrev_i32_e32 v10, 31, v9
	v_lshlrev_b64 v[10:11], 2, v[9:10]
	v_and_b32_e32 v0, 31, v0
	s_cmp_lg_u32 s1, 0
	s_waitcnt lgkmcnt(0)
	v_mov_b32_e32 v12, s9
	v_add_co_u32_e32 v10, vcc, s8, v10
	v_addc_co_u32_e32 v11, vcc, v12, v11, vcc
	global_load_dwordx2 v[10:11], v[10:11], off
	s_waitcnt vmcnt(0)
	v_subrev_u32_e32 v10, s2, v10
	v_subrev_u32_e32 v27, s2, v11
	v_add_u32_e32 v10, v10, v0
	v_cmp_lt_i32_e64 s[0:1], v10, v27
	s_cbranch_scc0 .LBB266_10
; %bb.5:
	v_mov_b32_e32 v16, 0
	v_mov_b32_e32 v18, 0
	;; [unrolled: 1-line block ×8, first 2 shown]
	s_and_saveexec_b64 s[6:7], s[0:1]
	s_cbranch_execz .LBB266_9
; %bb.6:
	v_mad_u64_u32 v[20:21], s[8:9], v10, 18, 16
	v_mov_b32_e32 v16, 0
	v_mov_b32_e32 v18, 0
	v_mov_b32_e32 v12, 0
	v_mov_b32_e32 v14, 0
	v_mov_b32_e32 v17, 0
	s_mov_b64 s[8:9], 0
	v_mov_b32_e32 v11, s11
	v_mov_b32_e32 v23, 0
	;; [unrolled: 1-line block ×8, first 2 shown]
.LBB266_7:                              ; =>This Inner Loop Header: Depth=1
	v_ashrrev_i32_e32 v25, 31, v24
	v_lshlrev_b64 v[30:31], 2, v[24:25]
	v_add_u32_e32 v22, -16, v20
	v_lshlrev_b64 v[32:33], 4, v[22:23]
	v_add_co_u32_e32 v38, vcc, s10, v30
	v_mov_b32_e32 v21, v23
	v_addc_co_u32_e32 v39, vcc, v11, v31, vcc
	v_lshlrev_b64 v[34:35], 4, v[20:21]
	v_add_co_u32_e32 v40, vcc, s12, v32
	v_addc_co_u32_e32 v41, vcc, v28, v33, vcc
	v_add_co_u32_e32 v50, vcc, s12, v34
	v_addc_co_u32_e32 v51, vcc, v28, v35, vcc
	global_load_dword v25, v[38:39], off
	global_load_dwordx4 v[30:33], v[40:41], off
	global_load_dwordx4 v[34:37], v[40:41], off offset:16
	v_add_u32_e32 v22, -14, v20
	v_lshlrev_b64 v[21:22], 4, v[22:23]
	v_mov_b32_e32 v26, v23
	v_add_co_u32_e32 v21, vcc, s12, v21
	v_addc_co_u32_e32 v22, vcc, v28, v22, vcc
	global_load_dwordx4 v[38:41], v[21:22], off
	global_load_dwordx4 v[42:45], v[21:22], off offset:16
	v_add_u32_e32 v24, 32, v24
	s_waitcnt vmcnt(4)
	v_subrev_u32_e32 v21, s2, v25
	v_lshl_add_u32 v25, v21, 3, v21
	v_lshlrev_b64 v[46:47], 4, v[25:26]
	v_add_u32_e32 v22, 1, v25
	v_add_co_u32_e32 v46, vcc, s14, v46
	v_addc_co_u32_e32 v47, vcc, v29, v47, vcc
	global_load_dwordx4 v[46:49], v[46:47], off
	v_lshlrev_b64 v[52:53], 4, v[22:23]
	v_add_u32_e32 v22, -12, v20
	s_waitcnt vmcnt(0)
	v_fma_f64 v[18:19], v[30:31], v[46:47], v[18:19]
	v_fma_f64 v[12:13], v[34:35], v[46:47], v[12:13]
	;; [unrolled: 1-line block ×4, first 2 shown]
	v_fma_f64 v[32:33], -v[32:33], v[48:49], v[18:19]
	v_add_co_u32_e32 v18, vcc, s14, v52
	v_addc_co_u32_e32 v19, vcc, v29, v53, vcc
	v_fma_f64 v[36:37], -v[36:37], v[48:49], v[12:13]
	v_fma_f64 v[34:35], v[34:35], v[48:49], v[14:15]
	global_load_dwordx4 v[12:15], v[18:19], off
	v_fma_f64 v[30:31], v[30:31], v[48:49], v[16:17]
	v_lshlrev_b64 v[16:17], 4, v[22:23]
	v_add_u32_e32 v22, 2, v25
	v_lshlrev_b64 v[52:53], 4, v[22:23]
	v_add_co_u32_e32 v46, vcc, s12, v16
	v_addc_co_u32_e32 v47, vcc, v28, v17, vcc
	v_add_co_u32_e32 v52, vcc, s14, v52
	v_addc_co_u32_e32 v53, vcc, v29, v53, vcc
	global_load_dwordx4 v[16:19], v[46:47], off
	v_add_u32_e32 v22, -10, v20
	v_lshlrev_b64 v[48:49], 4, v[22:23]
	v_add_u32_e32 v22, 3, v25
	v_add_co_u32_e32 v48, vcc, s12, v48
	v_addc_co_u32_e32 v49, vcc, v28, v49, vcc
	s_waitcnt vmcnt(1)
	v_fma_f64 v[32:33], v[38:39], v[12:13], v[32:33]
	v_fma_f64 v[30:31], v[40:41], v[12:13], v[30:31]
	;; [unrolled: 1-line block ×4, first 2 shown]
	v_fma_f64 v[40:41], -v[40:41], v[14:15], v[32:33]
	v_fma_f64 v[38:39], v[38:39], v[14:15], v[30:31]
	global_load_dwordx4 v[30:33], v[46:47], off offset:16
	v_fma_f64 v[44:45], -v[44:45], v[14:15], v[36:37]
	v_fma_f64 v[42:43], v[42:43], v[14:15], v[12:13]
	global_load_dwordx4 v[12:15], v[52:53], off
	v_lshlrev_b64 v[46:47], 4, v[22:23]
	global_load_dwordx4 v[34:37], v[48:49], off
	v_add_co_u32_e32 v46, vcc, s14, v46
	v_addc_co_u32_e32 v47, vcc, v29, v47, vcc
	v_add_u32_e32 v22, -8, v20
	v_lshlrev_b64 v[52:53], 4, v[22:23]
	v_add_u32_e32 v22, 4, v25
	s_waitcnt vmcnt(1)
	v_fma_f64 v[40:41], v[16:17], v[12:13], v[40:41]
	v_fma_f64 v[38:39], v[18:19], v[12:13], v[38:39]
	v_fma_f64 v[44:45], v[30:31], v[12:13], v[44:45]
	v_fma_f64 v[12:13], v[32:33], v[12:13], v[42:43]
	v_fma_f64 v[40:41], -v[18:19], v[14:15], v[40:41]
	v_fma_f64 v[38:39], v[16:17], v[14:15], v[38:39]
	global_load_dwordx4 v[16:19], v[48:49], off offset:16
	v_fma_f64 v[42:43], -v[32:33], v[14:15], v[44:45]
	v_fma_f64 v[44:45], v[30:31], v[14:15], v[12:13]
	global_load_dwordx4 v[12:15], v[46:47], off
	v_lshlrev_b64 v[48:49], 4, v[22:23]
	v_add_co_u32_e32 v46, vcc, s12, v52
	v_addc_co_u32_e32 v47, vcc, v28, v53, vcc
	v_add_co_u32_e32 v48, vcc, s14, v48
	v_addc_co_u32_e32 v49, vcc, v29, v49, vcc
	global_load_dwordx4 v[30:33], v[46:47], off
	v_add_u32_e32 v22, -6, v20
	v_lshlrev_b64 v[52:53], 4, v[22:23]
	v_add_u32_e32 v22, 5, v25
	s_waitcnt vmcnt(1)
	v_fma_f64 v[40:41], v[34:35], v[12:13], v[40:41]
	v_fma_f64 v[38:39], v[36:37], v[12:13], v[38:39]
	;; [unrolled: 1-line block ×4, first 2 shown]
	v_fma_f64 v[40:41], -v[36:37], v[14:15], v[40:41]
	v_fma_f64 v[38:39], v[34:35], v[14:15], v[38:39]
	global_load_dwordx4 v[34:37], v[46:47], off offset:16
	v_fma_f64 v[42:43], -v[18:19], v[14:15], v[42:43]
	v_fma_f64 v[44:45], v[16:17], v[14:15], v[12:13]
	global_load_dwordx4 v[12:15], v[48:49], off
	v_lshlrev_b64 v[46:47], 4, v[22:23]
	v_add_co_u32_e32 v48, vcc, s12, v52
	v_addc_co_u32_e32 v49, vcc, v28, v53, vcc
	v_add_co_u32_e32 v46, vcc, s14, v46
	v_addc_co_u32_e32 v47, vcc, v29, v47, vcc
	global_load_dwordx4 v[16:19], v[48:49], off
	v_add_u32_e32 v22, -4, v20
	v_lshlrev_b64 v[52:53], 4, v[22:23]
	v_add_u32_e32 v22, 6, v25
	s_waitcnt vmcnt(1)
	v_fma_f64 v[40:41], v[30:31], v[12:13], v[40:41]
	v_fma_f64 v[38:39], v[32:33], v[12:13], v[38:39]
	;; [unrolled: 1-line block ×4, first 2 shown]
	v_fma_f64 v[40:41], -v[32:33], v[14:15], v[40:41]
	v_fma_f64 v[38:39], v[30:31], v[14:15], v[38:39]
	v_fma_f64 v[42:43], -v[36:37], v[14:15], v[42:43]
	v_fma_f64 v[44:45], v[34:35], v[14:15], v[12:13]
	global_load_dwordx4 v[12:15], v[46:47], off
	global_load_dwordx4 v[30:33], v[48:49], off offset:16
	v_lshlrev_b64 v[48:49], 4, v[22:23]
	v_add_co_u32_e32 v46, vcc, s12, v52
	v_addc_co_u32_e32 v47, vcc, v28, v53, vcc
	v_add_co_u32_e32 v48, vcc, s14, v48
	v_addc_co_u32_e32 v49, vcc, v29, v49, vcc
	global_load_dwordx4 v[34:37], v[46:47], off
	v_add_u32_e32 v22, -2, v20
	v_lshlrev_b64 v[52:53], 4, v[22:23]
	v_add_u32_e32 v22, 7, v25
	v_lshlrev_b64 v[21:22], 4, v[22:23]
	v_add_u32_e32 v20, 0x240, v20
	s_waitcnt vmcnt(2)
	v_fma_f64 v[38:39], v[18:19], v[12:13], v[38:39]
	v_fma_f64 v[40:41], v[16:17], v[12:13], v[40:41]
	;; [unrolled: 1-line block ×3, first 2 shown]
	s_waitcnt vmcnt(1)
	v_fma_f64 v[38:39], v[30:31], v[12:13], v[42:43]
	v_fma_f64 v[12:13], v[32:33], v[12:13], v[44:45]
	v_fma_f64 v[54:55], -v[18:19], v[14:15], v[40:41]
	global_load_dwordx4 v[16:19], v[46:47], off offset:16
	v_add_co_u32_e32 v46, vcc, s12, v52
	v_addc_co_u32_e32 v47, vcc, v28, v53, vcc
	v_fma_f64 v[42:43], -v[32:33], v[14:15], v[38:39]
	v_fma_f64 v[44:45], v[30:31], v[14:15], v[12:13]
	global_load_dwordx4 v[12:15], v[48:49], off
	global_load_dwordx4 v[30:33], v[46:47], off
	global_load_dwordx4 v[38:41], v[46:47], off offset:16
	v_add_co_u32_e32 v21, vcc, s14, v21
	v_addc_co_u32_e32 v22, vcc, v29, v22, vcc
	s_waitcnt vmcnt(2)
	v_fma_f64 v[46:47], v[34:35], v[12:13], v[54:55]
	v_fma_f64 v[48:49], v[36:37], v[12:13], v[56:57]
	v_fma_f64 v[52:53], -v[36:37], v[14:15], v[46:47]
	v_fma_f64 v[54:55], v[34:35], v[14:15], v[48:49]
	global_load_dwordx4 v[34:37], v[21:22], off
	v_fma_f64 v[21:22], v[16:17], v[12:13], v[42:43]
	v_fma_f64 v[12:13], v[18:19], v[12:13], v[44:45]
	v_fma_f64 v[18:19], -v[18:19], v[14:15], v[21:22]
	v_add_u32_e32 v22, 8, v25
	v_lshlrev_b64 v[21:22], 4, v[22:23]
	v_fma_f64 v[16:17], v[16:17], v[14:15], v[12:13]
	v_add_co_u32_e32 v21, vcc, s14, v21
	v_addc_co_u32_e32 v22, vcc, v29, v22, vcc
	global_load_dwordx4 v[12:15], v[50:51], off
	global_load_dwordx4 v[42:45], v[50:51], off offset:16
	global_load_dwordx4 v[46:49], v[21:22], off
	v_cmp_ge_i32_e32 vcc, v24, v27
	s_or_b64 s[8:9], vcc, s[8:9]
	s_waitcnt vmcnt(3)
	v_fma_f64 v[21:22], v[30:31], v[34:35], v[52:53]
	v_fma_f64 v[25:26], v[32:33], v[34:35], v[54:55]
	;; [unrolled: 1-line block ×4, first 2 shown]
	v_fma_f64 v[21:22], -v[32:33], v[36:37], v[21:22]
	v_fma_f64 v[25:26], v[30:31], v[36:37], v[25:26]
	v_fma_f64 v[18:19], -v[40:41], v[36:37], v[18:19]
	v_fma_f64 v[16:17], v[38:39], v[36:37], v[16:17]
	s_waitcnt vmcnt(0)
	v_fma_f64 v[21:22], v[12:13], v[46:47], v[21:22]
	v_fma_f64 v[25:26], v[14:15], v[46:47], v[25:26]
	v_fma_f64 v[30:31], v[42:43], v[46:47], v[18:19]
	v_fma_f64 v[32:33], v[44:45], v[46:47], v[16:17]
	v_fma_f64 v[18:19], -v[14:15], v[48:49], v[21:22]
	v_fma_f64 v[16:17], v[12:13], v[48:49], v[25:26]
	v_fma_f64 v[12:13], -v[44:45], v[48:49], v[30:31]
	v_fma_f64 v[14:15], v[42:43], v[48:49], v[32:33]
	s_andn2_b64 exec, exec, s[8:9]
	s_cbranch_execnz .LBB266_7
; %bb.8:
	s_or_b64 exec, exec, s[8:9]
.LBB266_9:
	s_or_b64 exec, exec, s[6:7]
	s_cbranch_execz .LBB266_11
	s_branch .LBB266_16
.LBB266_10:
                                        ; implicit-def: $vgpr16_vgpr17
                                        ; implicit-def: $vgpr18_vgpr19
                                        ; implicit-def: $vgpr12_vgpr13
                                        ; implicit-def: $vgpr14_vgpr15
.LBB266_11:
	v_mov_b32_e32 v16, 0
	v_mov_b32_e32 v18, 0
	;; [unrolled: 1-line block ×8, first 2 shown]
	s_and_saveexec_b64 s[6:7], s[0:1]
	s_cbranch_execz .LBB266_15
; %bb.12:
	v_mad_u64_u32 v[20:21], s[0:1], v10, 18, 17
	v_mov_b32_e32 v16, 0
	v_mov_b32_e32 v18, 0
	;; [unrolled: 1-line block ×5, first 2 shown]
	s_mov_b64 s[0:1], 0
	v_mov_b32_e32 v26, s11
	v_mov_b32_e32 v23, 0
	v_mov_b32_e32 v28, s13
	v_mov_b32_e32 v19, 0
	v_mov_b32_e32 v13, 0
	v_mov_b32_e32 v15, 0
	v_mov_b32_e32 v29, s15
.LBB266_13:                             ; =>This Inner Loop Header: Depth=1
	v_ashrrev_i32_e32 v11, 31, v10
	v_lshlrev_b64 v[32:33], 2, v[10:11]
	v_subrev_u32_e32 v22, 17, v20
	v_lshlrev_b64 v[34:35], 4, v[22:23]
	v_add_co_u32_e32 v38, vcc, s10, v32
	v_add_u32_e32 v30, -8, v20
	v_mov_b32_e32 v31, v23
	v_addc_co_u32_e32 v39, vcc, v26, v33, vcc
	v_lshlrev_b64 v[30:31], 4, v[30:31]
	v_add_co_u32_e32 v40, vcc, s12, v34
	v_addc_co_u32_e32 v41, vcc, v28, v35, vcc
	v_add_co_u32_e32 v42, vcc, s12, v30
	v_addc_co_u32_e32 v43, vcc, v28, v31, vcc
	global_load_dword v11, v[38:39], off
	global_load_dwordx4 v[30:33], v[40:41], off
	global_load_dwordx4 v[34:37], v[40:41], off offset:16
	v_mov_b32_e32 v21, v23
	v_lshlrev_b64 v[21:22], 4, v[20:21]
	v_mov_b32_e32 v25, v23
	v_add_co_u32_e32 v21, vcc, s12, v21
	v_addc_co_u32_e32 v22, vcc, v28, v22, vcc
	v_add_u32_e32 v10, 32, v10
	s_waitcnt vmcnt(2)
	v_subrev_u32_e32 v11, s2, v11
	v_lshl_add_u32 v24, v11, 3, v11
	v_lshlrev_b64 v[38:39], 4, v[24:25]
	v_add_co_u32_e32 v38, vcc, s14, v38
	v_addc_co_u32_e32 v39, vcc, v29, v39, vcc
	global_load_dwordx4 v[38:41], v[38:39], off
	s_waitcnt vmcnt(0)
	v_fma_f64 v[18:19], v[30:31], v[38:39], v[18:19]
	v_fma_f64 v[16:17], v[32:33], v[38:39], v[16:17]
	v_fma_f64 v[44:45], -v[32:33], v[40:41], v[18:19]
	v_fma_f64 v[46:47], v[30:31], v[40:41], v[16:17]
	global_load_dwordx4 v[16:19], v[42:43], off
	global_load_dwordx4 v[30:33], v[21:22], off
	v_add_u32_e32 v22, 1, v24
	s_waitcnt vmcnt(1)
	v_fma_f64 v[11:12], v[16:17], v[38:39], v[12:13]
	v_fma_f64 v[13:14], v[18:19], v[38:39], v[14:15]
	v_fma_f64 v[38:39], -v[18:19], v[40:41], v[11:12]
	v_lshlrev_b64 v[11:12], 4, v[22:23]
	v_add_u32_e32 v22, -7, v20
	v_fma_f64 v[40:41], v[16:17], v[40:41], v[13:14]
	v_lshlrev_b64 v[13:14], 4, v[22:23]
	v_add_co_u32_e32 v11, vcc, s14, v11
	v_addc_co_u32_e32 v12, vcc, v29, v12, vcc
	v_add_co_u32_e32 v15, vcc, s12, v13
	v_addc_co_u32_e32 v16, vcc, v28, v14, vcc
	global_load_dwordx4 v[11:14], v[11:12], off
	v_add_u32_e32 v22, -15, v20
	v_lshlrev_b64 v[42:43], 4, v[22:23]
	v_add_u32_e32 v22, 2, v24
	s_waitcnt vmcnt(0)
	v_fma_f64 v[17:18], v[34:35], v[11:12], v[44:45]
	v_fma_f64 v[44:45], v[36:37], v[11:12], v[46:47]
	v_fma_f64 v[46:47], -v[36:37], v[13:14], v[17:18]
	global_load_dwordx4 v[15:18], v[15:16], off
	v_fma_f64 v[44:45], v[34:35], v[13:14], v[44:45]
	v_add_co_u32_e32 v34, vcc, s12, v42
	v_addc_co_u32_e32 v35, vcc, v28, v43, vcc
	global_load_dwordx4 v[34:37], v[34:35], off
	s_waitcnt vmcnt(1)
	v_fma_f64 v[38:39], v[15:16], v[11:12], v[38:39]
	v_fma_f64 v[11:12], v[17:18], v[11:12], v[40:41]
	v_fma_f64 v[38:39], -v[17:18], v[13:14], v[38:39]
	v_fma_f64 v[40:41], v[15:16], v[13:14], v[11:12]
	v_lshlrev_b64 v[11:12], 4, v[22:23]
	v_add_u32_e32 v22, -6, v20
	v_lshlrev_b64 v[13:14], 4, v[22:23]
	v_add_co_u32_e32 v11, vcc, s14, v11
	v_addc_co_u32_e32 v12, vcc, v29, v12, vcc
	v_add_co_u32_e32 v15, vcc, s12, v13
	v_addc_co_u32_e32 v16, vcc, v28, v14, vcc
	global_load_dwordx4 v[11:14], v[11:12], off
	v_add_u32_e32 v22, -14, v20
	v_lshlrev_b64 v[42:43], 4, v[22:23]
	v_add_u32_e32 v22, 3, v24
	s_waitcnt vmcnt(0)
	v_fma_f64 v[17:18], v[34:35], v[11:12], v[46:47]
	v_fma_f64 v[44:45], v[36:37], v[11:12], v[44:45]
	v_fma_f64 v[46:47], -v[36:37], v[13:14], v[17:18]
	global_load_dwordx4 v[15:18], v[15:16], off
	v_fma_f64 v[44:45], v[34:35], v[13:14], v[44:45]
	v_add_co_u32_e32 v34, vcc, s12, v42
	v_addc_co_u32_e32 v35, vcc, v28, v43, vcc
	global_load_dwordx4 v[34:37], v[34:35], off
	s_waitcnt vmcnt(1)
	v_fma_f64 v[38:39], v[15:16], v[11:12], v[38:39]
	v_fma_f64 v[11:12], v[17:18], v[11:12], v[40:41]
	v_fma_f64 v[38:39], -v[17:18], v[13:14], v[38:39]
	v_fma_f64 v[40:41], v[15:16], v[13:14], v[11:12]
	v_lshlrev_b64 v[11:12], 4, v[22:23]
	v_add_u32_e32 v22, -5, v20
	;; [unrolled: 25-line block ×6, first 2 shown]
	v_add_co_u32_e32 v11, vcc, s14, v11
	v_addc_co_u32_e32 v12, vcc, v29, v12, vcc
	global_load_dwordx4 v[11:14], v[11:12], off
	v_lshlrev_b64 v[15:16], 4, v[22:23]
	v_add_u32_e32 v22, -9, v20
	v_add_co_u32_e32 v15, vcc, s12, v15
	v_addc_co_u32_e32 v16, vcc, v28, v16, vcc
	v_lshlrev_b64 v[42:43], 4, v[22:23]
	v_add_u32_e32 v22, 8, v24
	v_lshlrev_b64 v[21:22], 4, v[22:23]
	v_add_u32_e32 v20, 0x240, v20
	s_waitcnt vmcnt(0)
	v_fma_f64 v[17:18], v[34:35], v[11:12], v[46:47]
	v_fma_f64 v[24:25], v[36:37], v[11:12], v[44:45]
	v_fma_f64 v[44:45], -v[36:37], v[13:14], v[17:18]
	global_load_dwordx4 v[15:18], v[15:16], off
	v_fma_f64 v[24:25], v[34:35], v[13:14], v[24:25]
	v_add_co_u32_e32 v34, vcc, s12, v42
	v_addc_co_u32_e32 v35, vcc, v28, v43, vcc
	global_load_dwordx4 v[34:37], v[34:35], off
	v_add_co_u32_e32 v21, vcc, s14, v21
	v_addc_co_u32_e32 v22, vcc, v29, v22, vcc
	v_cmp_ge_i32_e32 vcc, v10, v27
	s_or_b64 s[0:1], vcc, s[0:1]
	s_waitcnt vmcnt(1)
	v_fma_f64 v[38:39], v[15:16], v[11:12], v[38:39]
	v_fma_f64 v[11:12], v[17:18], v[11:12], v[40:41]
	v_fma_f64 v[17:18], -v[17:18], v[13:14], v[38:39]
	v_fma_f64 v[38:39], v[15:16], v[13:14], v[11:12]
	global_load_dwordx4 v[12:15], v[21:22], off
	s_waitcnt vmcnt(0)
	v_fma_f64 v[21:22], v[34:35], v[12:13], v[44:45]
	v_fma_f64 v[24:25], v[36:37], v[12:13], v[24:25]
	;; [unrolled: 1-line block ×4, first 2 shown]
	v_fma_f64 v[18:19], -v[36:37], v[14:15], v[21:22]
	v_fma_f64 v[16:17], v[34:35], v[14:15], v[24:25]
	v_fma_f64 v[12:13], -v[32:33], v[14:15], v[40:41]
	v_fma_f64 v[14:15], v[30:31], v[14:15], v[38:39]
	s_andn2_b64 exec, exec, s[0:1]
	s_cbranch_execnz .LBB266_13
; %bb.14:
	s_or_b64 exec, exec, s[0:1]
.LBB266_15:
	s_or_b64 exec, exec, s[6:7]
.LBB266_16:
	v_mov_b32_dpp v10, v18 row_shr:1 row_mask:0xf bank_mask:0xf
	v_mov_b32_dpp v11, v19 row_shr:1 row_mask:0xf bank_mask:0xf
	v_add_f64 v[10:11], v[18:19], v[10:11]
	v_mov_b32_dpp v18, v16 row_shr:1 row_mask:0xf bank_mask:0xf
	v_mov_b32_dpp v19, v17 row_shr:1 row_mask:0xf bank_mask:0xf
	v_add_f64 v[16:17], v[16:17], v[18:19]
	;; [unrolled: 3-line block ×3, first 2 shown]
	v_cmp_eq_u32_e32 vcc, 31, v0
	v_mov_b32_dpp v18, v10 row_shr:2 row_mask:0xf bank_mask:0xf
	v_mov_b32_dpp v19, v11 row_shr:2 row_mask:0xf bank_mask:0xf
	v_add_f64 v[10:11], v[10:11], v[18:19]
	v_mov_b32_dpp v18, v14 row_shr:1 row_mask:0xf bank_mask:0xf
	v_mov_b32_dpp v19, v15 row_shr:1 row_mask:0xf bank_mask:0xf
	v_add_f64 v[14:15], v[14:15], v[18:19]
	;; [unrolled: 3-line block ×4, first 2 shown]
	v_mov_b32_dpp v20, v12 row_shr:2 row_mask:0xf bank_mask:0xf
	v_mov_b32_dpp v21, v13 row_shr:2 row_mask:0xf bank_mask:0xf
	;; [unrolled: 1-line block ×3, first 2 shown]
	v_add_f64 v[12:13], v[12:13], v[20:21]
	v_mov_b32_dpp v19, v15 row_shr:2 row_mask:0xf bank_mask:0xf
	v_add_f64 v[14:15], v[14:15], v[18:19]
	v_mov_b32_dpp v20, v16 row_shr:4 row_mask:0xf bank_mask:0xe
	v_mov_b32_dpp v21, v17 row_shr:4 row_mask:0xf bank_mask:0xe
	v_add_f64 v[16:17], v[16:17], v[20:21]
	v_mov_b32_dpp v18, v10 row_shr:8 row_mask:0xf bank_mask:0xc
	v_mov_b32_dpp v19, v11 row_shr:8 row_mask:0xf bank_mask:0xc
	;; [unrolled: 1-line block ×4, first 2 shown]
	v_add_f64 v[20:21], v[12:13], v[20:21]
	v_mov_b32_dpp v12, v14 row_shr:4 row_mask:0xf bank_mask:0xe
	v_mov_b32_dpp v13, v15 row_shr:4 row_mask:0xf bank_mask:0xe
	v_add_f64 v[14:15], v[14:15], v[12:13]
	v_mov_b32_dpp v12, v16 row_shr:8 row_mask:0xf bank_mask:0xc
	v_mov_b32_dpp v13, v17 row_shr:8 row_mask:0xf bank_mask:0xc
	v_add_f64 v[12:13], v[16:17], v[12:13]
	v_add_f64 v[10:11], v[10:11], v[18:19]
	v_mov_b32_dpp v16, v20 row_shr:8 row_mask:0xf bank_mask:0xc
	v_mov_b32_dpp v17, v21 row_shr:8 row_mask:0xf bank_mask:0xc
	v_add_f64 v[18:19], v[20:21], v[16:17]
	v_mov_b32_dpp v16, v14 row_shr:8 row_mask:0xf bank_mask:0xc
	v_mov_b32_dpp v17, v15 row_shr:8 row_mask:0xf bank_mask:0xc
	v_add_f64 v[14:15], v[14:15], v[16:17]
	v_mov_b32_dpp v16, v12 row_bcast:15 row_mask:0xa bank_mask:0xf
	v_mov_b32_dpp v24, v10 row_bcast:15 row_mask:0xa bank_mask:0xf
	;; [unrolled: 1-line block ×8, first 2 shown]
	s_and_b64 exec, exec, vcc
	s_cbranch_execz .LBB266_21
; %bb.17:
	v_cmp_eq_f64_e32 vcc, 0, v[5:6]
	v_cmp_eq_f64_e64 s[0:1], 0, v[7:8]
	v_add_f64 v[10:11], v[10:11], v[24:25]
	v_add_f64 v[16:17], v[12:13], v[16:17]
	;; [unrolled: 1-line block ×4, first 2 shown]
	s_load_dwordx2 s[2:3], s[4:5], 0x48
	s_and_b64 s[0:1], vcc, s[0:1]
	s_and_saveexec_b64 s[4:5], s[0:1]
	s_xor_b64 s[0:1], exec, s[4:5]
	s_cbranch_execz .LBB266_19
; %bb.18:
	v_mul_f64 v[5:6], v[16:17], -v[3:4]
	v_mul_f64 v[7:8], v[1:2], v[16:17]
	v_mul_f64 v[16:17], v[14:15], -v[3:4]
	v_mul_f64 v[14:15], v[1:2], v[14:15]
	v_lshlrev_b32_e32 v9, 1, v9
	s_waitcnt lgkmcnt(0)
	v_mov_b32_e32 v18, s3
	v_fma_f64 v[5:6], v[1:2], v[10:11], v[5:6]
	v_fma_f64 v[7:8], v[3:4], v[10:11], v[7:8]
	;; [unrolled: 1-line block ×4, first 2 shown]
	v_ashrrev_i32_e32 v10, 31, v9
	v_lshlrev_b64 v[9:10], 4, v[9:10]
                                        ; implicit-def: $vgpr16_vgpr17
                                        ; implicit-def: $vgpr12_vgpr13
                                        ; implicit-def: $vgpr14_vgpr15
	v_add_co_u32_e32 v9, vcc, s2, v9
	v_addc_co_u32_e32 v10, vcc, v18, v10, vcc
	global_store_dwordx4 v[9:10], v[5:8], off
	global_store_dwordx4 v[9:10], v[0:3], off offset:16
                                        ; implicit-def: $vgpr9
                                        ; implicit-def: $vgpr10_vgpr11
                                        ; implicit-def: $vgpr7_vgpr8
                                        ; implicit-def: $vgpr3_vgpr4
.LBB266_19:
	s_andn2_saveexec_b64 s[0:1], s[0:1]
	s_cbranch_execz .LBB266_21
; %bb.20:
	v_lshlrev_b32_e32 v18, 1, v9
	v_ashrrev_i32_e32 v19, 31, v18
	v_lshlrev_b64 v[18:19], 4, v[18:19]
	s_waitcnt lgkmcnt(0)
	v_mov_b32_e32 v0, s3
	v_add_co_u32_e32 v26, vcc, s2, v18
	v_addc_co_u32_e32 v27, vcc, v0, v19, vcc
	global_load_dwordx4 v[18:21], v[26:27], off
	global_load_dwordx4 v[22:25], v[26:27], off offset:16
	v_mul_f64 v[28:29], v[16:17], -v[3:4]
	v_mul_f64 v[16:17], v[1:2], v[16:17]
	v_mul_f64 v[30:31], v[14:15], -v[3:4]
	v_mul_f64 v[14:15], v[1:2], v[14:15]
	v_fma_f64 v[28:29], v[1:2], v[10:11], v[28:29]
	v_fma_f64 v[9:10], v[3:4], v[10:11], v[16:17]
	;; [unrolled: 1-line block ×4, first 2 shown]
	s_waitcnt vmcnt(1)
	v_fma_f64 v[11:12], v[5:6], v[18:19], v[28:29]
	v_fma_f64 v[9:10], v[7:8], v[18:19], v[9:10]
	s_waitcnt vmcnt(0)
	v_fma_f64 v[13:14], v[5:6], v[22:23], v[0:1]
	v_fma_f64 v[15:16], v[7:8], v[22:23], v[2:3]
	v_fma_f64 v[0:1], -v[7:8], v[20:21], v[11:12]
	v_fma_f64 v[2:3], v[5:6], v[20:21], v[9:10]
	v_fma_f64 v[7:8], -v[7:8], v[24:25], v[13:14]
	v_fma_f64 v[9:10], v[5:6], v[24:25], v[15:16]
	global_store_dwordx4 v[26:27], v[0:3], off
	global_store_dwordx4 v[26:27], v[7:10], off offset:16
.LBB266_21:
	s_endpgm
	.section	.rodata,"a",@progbits
	.p2align	6, 0x0
	.amdhsa_kernel _ZN9rocsparseL19gebsrmvn_2xn_kernelILj128ELj9ELj32E21rocsparse_complex_numIdEEEvi20rocsparse_direction_NS_24const_host_device_scalarIT2_EEPKiS8_PKS5_SA_S6_PS5_21rocsparse_index_base_b
		.amdhsa_group_segment_fixed_size 0
		.amdhsa_private_segment_fixed_size 0
		.amdhsa_kernarg_size 88
		.amdhsa_user_sgpr_count 6
		.amdhsa_user_sgpr_private_segment_buffer 1
		.amdhsa_user_sgpr_dispatch_ptr 0
		.amdhsa_user_sgpr_queue_ptr 0
		.amdhsa_user_sgpr_kernarg_segment_ptr 1
		.amdhsa_user_sgpr_dispatch_id 0
		.amdhsa_user_sgpr_flat_scratch_init 0
		.amdhsa_user_sgpr_private_segment_size 0
		.amdhsa_uses_dynamic_stack 0
		.amdhsa_system_sgpr_private_segment_wavefront_offset 0
		.amdhsa_system_sgpr_workgroup_id_x 1
		.amdhsa_system_sgpr_workgroup_id_y 0
		.amdhsa_system_sgpr_workgroup_id_z 0
		.amdhsa_system_sgpr_workgroup_info 0
		.amdhsa_system_vgpr_workitem_id 0
		.amdhsa_next_free_vgpr 58
		.amdhsa_next_free_sgpr 16
		.amdhsa_reserve_vcc 1
		.amdhsa_reserve_flat_scratch 0
		.amdhsa_float_round_mode_32 0
		.amdhsa_float_round_mode_16_64 0
		.amdhsa_float_denorm_mode_32 3
		.amdhsa_float_denorm_mode_16_64 3
		.amdhsa_dx10_clamp 1
		.amdhsa_ieee_mode 1
		.amdhsa_fp16_overflow 0
		.amdhsa_exception_fp_ieee_invalid_op 0
		.amdhsa_exception_fp_denorm_src 0
		.amdhsa_exception_fp_ieee_div_zero 0
		.amdhsa_exception_fp_ieee_overflow 0
		.amdhsa_exception_fp_ieee_underflow 0
		.amdhsa_exception_fp_ieee_inexact 0
		.amdhsa_exception_int_div_zero 0
	.end_amdhsa_kernel
	.section	.text._ZN9rocsparseL19gebsrmvn_2xn_kernelILj128ELj9ELj32E21rocsparse_complex_numIdEEEvi20rocsparse_direction_NS_24const_host_device_scalarIT2_EEPKiS8_PKS5_SA_S6_PS5_21rocsparse_index_base_b,"axG",@progbits,_ZN9rocsparseL19gebsrmvn_2xn_kernelILj128ELj9ELj32E21rocsparse_complex_numIdEEEvi20rocsparse_direction_NS_24const_host_device_scalarIT2_EEPKiS8_PKS5_SA_S6_PS5_21rocsparse_index_base_b,comdat
.Lfunc_end266:
	.size	_ZN9rocsparseL19gebsrmvn_2xn_kernelILj128ELj9ELj32E21rocsparse_complex_numIdEEEvi20rocsparse_direction_NS_24const_host_device_scalarIT2_EEPKiS8_PKS5_SA_S6_PS5_21rocsparse_index_base_b, .Lfunc_end266-_ZN9rocsparseL19gebsrmvn_2xn_kernelILj128ELj9ELj32E21rocsparse_complex_numIdEEEvi20rocsparse_direction_NS_24const_host_device_scalarIT2_EEPKiS8_PKS5_SA_S6_PS5_21rocsparse_index_base_b
                                        ; -- End function
	.set _ZN9rocsparseL19gebsrmvn_2xn_kernelILj128ELj9ELj32E21rocsparse_complex_numIdEEEvi20rocsparse_direction_NS_24const_host_device_scalarIT2_EEPKiS8_PKS5_SA_S6_PS5_21rocsparse_index_base_b.num_vgpr, 58
	.set _ZN9rocsparseL19gebsrmvn_2xn_kernelILj128ELj9ELj32E21rocsparse_complex_numIdEEEvi20rocsparse_direction_NS_24const_host_device_scalarIT2_EEPKiS8_PKS5_SA_S6_PS5_21rocsparse_index_base_b.num_agpr, 0
	.set _ZN9rocsparseL19gebsrmvn_2xn_kernelILj128ELj9ELj32E21rocsparse_complex_numIdEEEvi20rocsparse_direction_NS_24const_host_device_scalarIT2_EEPKiS8_PKS5_SA_S6_PS5_21rocsparse_index_base_b.numbered_sgpr, 16
	.set _ZN9rocsparseL19gebsrmvn_2xn_kernelILj128ELj9ELj32E21rocsparse_complex_numIdEEEvi20rocsparse_direction_NS_24const_host_device_scalarIT2_EEPKiS8_PKS5_SA_S6_PS5_21rocsparse_index_base_b.num_named_barrier, 0
	.set _ZN9rocsparseL19gebsrmvn_2xn_kernelILj128ELj9ELj32E21rocsparse_complex_numIdEEEvi20rocsparse_direction_NS_24const_host_device_scalarIT2_EEPKiS8_PKS5_SA_S6_PS5_21rocsparse_index_base_b.private_seg_size, 0
	.set _ZN9rocsparseL19gebsrmvn_2xn_kernelILj128ELj9ELj32E21rocsparse_complex_numIdEEEvi20rocsparse_direction_NS_24const_host_device_scalarIT2_EEPKiS8_PKS5_SA_S6_PS5_21rocsparse_index_base_b.uses_vcc, 1
	.set _ZN9rocsparseL19gebsrmvn_2xn_kernelILj128ELj9ELj32E21rocsparse_complex_numIdEEEvi20rocsparse_direction_NS_24const_host_device_scalarIT2_EEPKiS8_PKS5_SA_S6_PS5_21rocsparse_index_base_b.uses_flat_scratch, 0
	.set _ZN9rocsparseL19gebsrmvn_2xn_kernelILj128ELj9ELj32E21rocsparse_complex_numIdEEEvi20rocsparse_direction_NS_24const_host_device_scalarIT2_EEPKiS8_PKS5_SA_S6_PS5_21rocsparse_index_base_b.has_dyn_sized_stack, 0
	.set _ZN9rocsparseL19gebsrmvn_2xn_kernelILj128ELj9ELj32E21rocsparse_complex_numIdEEEvi20rocsparse_direction_NS_24const_host_device_scalarIT2_EEPKiS8_PKS5_SA_S6_PS5_21rocsparse_index_base_b.has_recursion, 0
	.set _ZN9rocsparseL19gebsrmvn_2xn_kernelILj128ELj9ELj32E21rocsparse_complex_numIdEEEvi20rocsparse_direction_NS_24const_host_device_scalarIT2_EEPKiS8_PKS5_SA_S6_PS5_21rocsparse_index_base_b.has_indirect_call, 0
	.section	.AMDGPU.csdata,"",@progbits
; Kernel info:
; codeLenInByte = 4076
; TotalNumSgprs: 20
; NumVgprs: 58
; ScratchSize: 0
; MemoryBound: 0
; FloatMode: 240
; IeeeMode: 1
; LDSByteSize: 0 bytes/workgroup (compile time only)
; SGPRBlocks: 2
; VGPRBlocks: 14
; NumSGPRsForWavesPerEU: 20
; NumVGPRsForWavesPerEU: 58
; Occupancy: 4
; WaveLimiterHint : 1
; COMPUTE_PGM_RSRC2:SCRATCH_EN: 0
; COMPUTE_PGM_RSRC2:USER_SGPR: 6
; COMPUTE_PGM_RSRC2:TRAP_HANDLER: 0
; COMPUTE_PGM_RSRC2:TGID_X_EN: 1
; COMPUTE_PGM_RSRC2:TGID_Y_EN: 0
; COMPUTE_PGM_RSRC2:TGID_Z_EN: 0
; COMPUTE_PGM_RSRC2:TIDIG_COMP_CNT: 0
	.section	.text._ZN9rocsparseL19gebsrmvn_2xn_kernelILj128ELj9ELj64E21rocsparse_complex_numIdEEEvi20rocsparse_direction_NS_24const_host_device_scalarIT2_EEPKiS8_PKS5_SA_S6_PS5_21rocsparse_index_base_b,"axG",@progbits,_ZN9rocsparseL19gebsrmvn_2xn_kernelILj128ELj9ELj64E21rocsparse_complex_numIdEEEvi20rocsparse_direction_NS_24const_host_device_scalarIT2_EEPKiS8_PKS5_SA_S6_PS5_21rocsparse_index_base_b,comdat
	.globl	_ZN9rocsparseL19gebsrmvn_2xn_kernelILj128ELj9ELj64E21rocsparse_complex_numIdEEEvi20rocsparse_direction_NS_24const_host_device_scalarIT2_EEPKiS8_PKS5_SA_S6_PS5_21rocsparse_index_base_b ; -- Begin function _ZN9rocsparseL19gebsrmvn_2xn_kernelILj128ELj9ELj64E21rocsparse_complex_numIdEEEvi20rocsparse_direction_NS_24const_host_device_scalarIT2_EEPKiS8_PKS5_SA_S6_PS5_21rocsparse_index_base_b
	.p2align	8
	.type	_ZN9rocsparseL19gebsrmvn_2xn_kernelILj128ELj9ELj64E21rocsparse_complex_numIdEEEvi20rocsparse_direction_NS_24const_host_device_scalarIT2_EEPKiS8_PKS5_SA_S6_PS5_21rocsparse_index_base_b,@function
_ZN9rocsparseL19gebsrmvn_2xn_kernelILj128ELj9ELj64E21rocsparse_complex_numIdEEEvi20rocsparse_direction_NS_24const_host_device_scalarIT2_EEPKiS8_PKS5_SA_S6_PS5_21rocsparse_index_base_b: ; @_ZN9rocsparseL19gebsrmvn_2xn_kernelILj128ELj9ELj64E21rocsparse_complex_numIdEEEvi20rocsparse_direction_NS_24const_host_device_scalarIT2_EEPKiS8_PKS5_SA_S6_PS5_21rocsparse_index_base_b
; %bb.0:
	s_load_dwordx2 s[0:1], s[4:5], 0x8
	s_load_dwordx2 s[8:9], s[4:5], 0x38
	;; [unrolled: 1-line block ×3, first 2 shown]
	s_add_u32 s7, s4, 8
	s_addc_u32 s10, s5, 0
	s_add_u32 s11, s4, 56
	s_addc_u32 s12, s5, 0
	s_waitcnt lgkmcnt(0)
	s_bitcmp1_b32 s3, 0
	s_cselect_b32 s1, s10, s1
	s_cselect_b32 s0, s7, s0
	v_mov_b32_e32 v1, s0
	v_mov_b32_e32 v2, s1
	flat_load_dwordx4 v[1:4], v[1:2]
	s_cselect_b32 s0, s12, s9
	s_cselect_b32 s1, s11, s8
	v_mov_b32_e32 v5, s1
	v_mov_b32_e32 v6, s0
	flat_load_dwordx4 v[5:8], v[5:6]
	s_waitcnt vmcnt(0) lgkmcnt(0)
	v_cmp_eq_f64_e32 vcc, 0, v[1:2]
	v_cmp_eq_f64_e64 s[0:1], 0, v[3:4]
	s_and_b64 s[10:11], vcc, s[0:1]
	s_mov_b64 s[0:1], -1
	s_and_saveexec_b64 s[8:9], s[10:11]
	s_cbranch_execz .LBB267_2
; %bb.1:
	v_cmp_neq_f64_e32 vcc, 1.0, v[5:6]
	v_cmp_neq_f64_e64 s[0:1], 0, v[7:8]
	s_or_b64 s[0:1], vcc, s[0:1]
	s_orn2_b64 s[0:1], s[0:1], exec
.LBB267_2:
	s_or_b64 exec, exec, s[8:9]
	s_and_saveexec_b64 s[8:9], s[0:1]
	s_cbranch_execz .LBB267_21
; %bb.3:
	s_load_dwordx2 s[0:1], s[4:5], 0x0
	v_lshrrev_b32_e32 v9, 6, v0
	v_lshl_or_b32 v9, s6, 1, v9
	s_waitcnt lgkmcnt(0)
	v_cmp_gt_i32_e32 vcc, s0, v9
	s_and_b64 exec, exec, vcc
	s_cbranch_execz .LBB267_21
; %bb.4:
	s_load_dwordx8 s[8:15], s[4:5], 0x18
	v_ashrrev_i32_e32 v10, 31, v9
	v_lshlrev_b64 v[10:11], 2, v[9:10]
	v_and_b32_e32 v0, 63, v0
	s_cmp_lg_u32 s1, 0
	s_waitcnt lgkmcnt(0)
	v_mov_b32_e32 v12, s9
	v_add_co_u32_e32 v10, vcc, s8, v10
	v_addc_co_u32_e32 v11, vcc, v12, v11, vcc
	global_load_dwordx2 v[10:11], v[10:11], off
	s_waitcnt vmcnt(0)
	v_subrev_u32_e32 v10, s2, v10
	v_subrev_u32_e32 v27, s2, v11
	v_add_u32_e32 v10, v10, v0
	v_cmp_lt_i32_e64 s[0:1], v10, v27
	s_cbranch_scc0 .LBB267_10
; %bb.5:
	v_mov_b32_e32 v16, 0
	v_mov_b32_e32 v18, 0
	v_mov_b32_e32 v12, 0
	v_mov_b32_e32 v14, 0
	v_mov_b32_e32 v17, 0
	v_mov_b32_e32 v19, 0
	v_mov_b32_e32 v13, 0
	v_mov_b32_e32 v15, 0
	s_and_saveexec_b64 s[6:7], s[0:1]
	s_cbranch_execz .LBB267_9
; %bb.6:
	v_mad_u64_u32 v[20:21], s[8:9], v10, 18, 16
	v_mov_b32_e32 v16, 0
	v_mov_b32_e32 v18, 0
	v_mov_b32_e32 v12, 0
	v_mov_b32_e32 v14, 0
	v_mov_b32_e32 v17, 0
	s_mov_b64 s[8:9], 0
	v_mov_b32_e32 v11, s11
	v_mov_b32_e32 v23, 0
	;; [unrolled: 1-line block ×8, first 2 shown]
.LBB267_7:                              ; =>This Inner Loop Header: Depth=1
	v_ashrrev_i32_e32 v25, 31, v24
	v_lshlrev_b64 v[30:31], 2, v[24:25]
	v_add_u32_e32 v22, -16, v20
	v_lshlrev_b64 v[32:33], 4, v[22:23]
	v_add_co_u32_e32 v38, vcc, s10, v30
	v_mov_b32_e32 v21, v23
	v_addc_co_u32_e32 v39, vcc, v11, v31, vcc
	v_lshlrev_b64 v[34:35], 4, v[20:21]
	v_add_co_u32_e32 v40, vcc, s12, v32
	v_addc_co_u32_e32 v41, vcc, v28, v33, vcc
	v_add_co_u32_e32 v50, vcc, s12, v34
	v_addc_co_u32_e32 v51, vcc, v28, v35, vcc
	global_load_dword v25, v[38:39], off
	global_load_dwordx4 v[30:33], v[40:41], off
	global_load_dwordx4 v[34:37], v[40:41], off offset:16
	v_add_u32_e32 v22, -14, v20
	v_lshlrev_b64 v[21:22], 4, v[22:23]
	v_mov_b32_e32 v26, v23
	v_add_co_u32_e32 v21, vcc, s12, v21
	v_addc_co_u32_e32 v22, vcc, v28, v22, vcc
	global_load_dwordx4 v[38:41], v[21:22], off
	global_load_dwordx4 v[42:45], v[21:22], off offset:16
	v_add_u32_e32 v24, 64, v24
	s_waitcnt vmcnt(4)
	v_subrev_u32_e32 v21, s2, v25
	v_lshl_add_u32 v25, v21, 3, v21
	v_lshlrev_b64 v[46:47], 4, v[25:26]
	v_add_u32_e32 v22, 1, v25
	v_add_co_u32_e32 v46, vcc, s14, v46
	v_addc_co_u32_e32 v47, vcc, v29, v47, vcc
	global_load_dwordx4 v[46:49], v[46:47], off
	v_lshlrev_b64 v[52:53], 4, v[22:23]
	v_add_u32_e32 v22, -12, v20
	s_waitcnt vmcnt(0)
	v_fma_f64 v[18:19], v[30:31], v[46:47], v[18:19]
	v_fma_f64 v[12:13], v[34:35], v[46:47], v[12:13]
	v_fma_f64 v[14:15], v[36:37], v[46:47], v[14:15]
	v_fma_f64 v[16:17], v[32:33], v[46:47], v[16:17]
	v_fma_f64 v[32:33], -v[32:33], v[48:49], v[18:19]
	v_add_co_u32_e32 v18, vcc, s14, v52
	v_addc_co_u32_e32 v19, vcc, v29, v53, vcc
	v_fma_f64 v[36:37], -v[36:37], v[48:49], v[12:13]
	v_fma_f64 v[34:35], v[34:35], v[48:49], v[14:15]
	global_load_dwordx4 v[12:15], v[18:19], off
	v_fma_f64 v[30:31], v[30:31], v[48:49], v[16:17]
	v_lshlrev_b64 v[16:17], 4, v[22:23]
	v_add_u32_e32 v22, 2, v25
	v_lshlrev_b64 v[52:53], 4, v[22:23]
	v_add_co_u32_e32 v46, vcc, s12, v16
	v_addc_co_u32_e32 v47, vcc, v28, v17, vcc
	v_add_co_u32_e32 v52, vcc, s14, v52
	v_addc_co_u32_e32 v53, vcc, v29, v53, vcc
	global_load_dwordx4 v[16:19], v[46:47], off
	v_add_u32_e32 v22, -10, v20
	v_lshlrev_b64 v[48:49], 4, v[22:23]
	v_add_u32_e32 v22, 3, v25
	v_add_co_u32_e32 v48, vcc, s12, v48
	v_addc_co_u32_e32 v49, vcc, v28, v49, vcc
	s_waitcnt vmcnt(1)
	v_fma_f64 v[32:33], v[38:39], v[12:13], v[32:33]
	v_fma_f64 v[30:31], v[40:41], v[12:13], v[30:31]
	;; [unrolled: 1-line block ×4, first 2 shown]
	v_fma_f64 v[40:41], -v[40:41], v[14:15], v[32:33]
	v_fma_f64 v[38:39], v[38:39], v[14:15], v[30:31]
	global_load_dwordx4 v[30:33], v[46:47], off offset:16
	v_fma_f64 v[44:45], -v[44:45], v[14:15], v[36:37]
	v_fma_f64 v[42:43], v[42:43], v[14:15], v[12:13]
	global_load_dwordx4 v[12:15], v[52:53], off
	v_lshlrev_b64 v[46:47], 4, v[22:23]
	global_load_dwordx4 v[34:37], v[48:49], off
	v_add_co_u32_e32 v46, vcc, s14, v46
	v_addc_co_u32_e32 v47, vcc, v29, v47, vcc
	v_add_u32_e32 v22, -8, v20
	v_lshlrev_b64 v[52:53], 4, v[22:23]
	v_add_u32_e32 v22, 4, v25
	s_waitcnt vmcnt(1)
	v_fma_f64 v[40:41], v[16:17], v[12:13], v[40:41]
	v_fma_f64 v[38:39], v[18:19], v[12:13], v[38:39]
	;; [unrolled: 1-line block ×4, first 2 shown]
	v_fma_f64 v[40:41], -v[18:19], v[14:15], v[40:41]
	v_fma_f64 v[38:39], v[16:17], v[14:15], v[38:39]
	global_load_dwordx4 v[16:19], v[48:49], off offset:16
	v_fma_f64 v[42:43], -v[32:33], v[14:15], v[44:45]
	v_fma_f64 v[44:45], v[30:31], v[14:15], v[12:13]
	global_load_dwordx4 v[12:15], v[46:47], off
	v_lshlrev_b64 v[48:49], 4, v[22:23]
	v_add_co_u32_e32 v46, vcc, s12, v52
	v_addc_co_u32_e32 v47, vcc, v28, v53, vcc
	v_add_co_u32_e32 v48, vcc, s14, v48
	v_addc_co_u32_e32 v49, vcc, v29, v49, vcc
	global_load_dwordx4 v[30:33], v[46:47], off
	v_add_u32_e32 v22, -6, v20
	v_lshlrev_b64 v[52:53], 4, v[22:23]
	v_add_u32_e32 v22, 5, v25
	s_waitcnt vmcnt(1)
	v_fma_f64 v[40:41], v[34:35], v[12:13], v[40:41]
	v_fma_f64 v[38:39], v[36:37], v[12:13], v[38:39]
	;; [unrolled: 1-line block ×4, first 2 shown]
	v_fma_f64 v[40:41], -v[36:37], v[14:15], v[40:41]
	v_fma_f64 v[38:39], v[34:35], v[14:15], v[38:39]
	global_load_dwordx4 v[34:37], v[46:47], off offset:16
	v_fma_f64 v[42:43], -v[18:19], v[14:15], v[42:43]
	v_fma_f64 v[44:45], v[16:17], v[14:15], v[12:13]
	global_load_dwordx4 v[12:15], v[48:49], off
	v_lshlrev_b64 v[46:47], 4, v[22:23]
	v_add_co_u32_e32 v48, vcc, s12, v52
	v_addc_co_u32_e32 v49, vcc, v28, v53, vcc
	v_add_co_u32_e32 v46, vcc, s14, v46
	v_addc_co_u32_e32 v47, vcc, v29, v47, vcc
	global_load_dwordx4 v[16:19], v[48:49], off
	v_add_u32_e32 v22, -4, v20
	v_lshlrev_b64 v[52:53], 4, v[22:23]
	v_add_u32_e32 v22, 6, v25
	s_waitcnt vmcnt(1)
	v_fma_f64 v[40:41], v[30:31], v[12:13], v[40:41]
	v_fma_f64 v[38:39], v[32:33], v[12:13], v[38:39]
	;; [unrolled: 1-line block ×4, first 2 shown]
	v_fma_f64 v[40:41], -v[32:33], v[14:15], v[40:41]
	v_fma_f64 v[38:39], v[30:31], v[14:15], v[38:39]
	v_fma_f64 v[42:43], -v[36:37], v[14:15], v[42:43]
	v_fma_f64 v[44:45], v[34:35], v[14:15], v[12:13]
	global_load_dwordx4 v[12:15], v[46:47], off
	global_load_dwordx4 v[30:33], v[48:49], off offset:16
	v_lshlrev_b64 v[48:49], 4, v[22:23]
	v_add_co_u32_e32 v46, vcc, s12, v52
	v_addc_co_u32_e32 v47, vcc, v28, v53, vcc
	v_add_co_u32_e32 v48, vcc, s14, v48
	v_addc_co_u32_e32 v49, vcc, v29, v49, vcc
	global_load_dwordx4 v[34:37], v[46:47], off
	v_add_u32_e32 v22, -2, v20
	v_lshlrev_b64 v[52:53], 4, v[22:23]
	v_add_u32_e32 v22, 7, v25
	v_lshlrev_b64 v[21:22], 4, v[22:23]
	v_add_u32_e32 v20, 0x480, v20
	s_waitcnt vmcnt(2)
	v_fma_f64 v[38:39], v[18:19], v[12:13], v[38:39]
	v_fma_f64 v[40:41], v[16:17], v[12:13], v[40:41]
	;; [unrolled: 1-line block ×3, first 2 shown]
	s_waitcnt vmcnt(1)
	v_fma_f64 v[38:39], v[30:31], v[12:13], v[42:43]
	v_fma_f64 v[12:13], v[32:33], v[12:13], v[44:45]
	v_fma_f64 v[54:55], -v[18:19], v[14:15], v[40:41]
	global_load_dwordx4 v[16:19], v[46:47], off offset:16
	v_add_co_u32_e32 v46, vcc, s12, v52
	v_addc_co_u32_e32 v47, vcc, v28, v53, vcc
	v_fma_f64 v[42:43], -v[32:33], v[14:15], v[38:39]
	v_fma_f64 v[44:45], v[30:31], v[14:15], v[12:13]
	global_load_dwordx4 v[12:15], v[48:49], off
	global_load_dwordx4 v[30:33], v[46:47], off
	global_load_dwordx4 v[38:41], v[46:47], off offset:16
	v_add_co_u32_e32 v21, vcc, s14, v21
	v_addc_co_u32_e32 v22, vcc, v29, v22, vcc
	s_waitcnt vmcnt(2)
	v_fma_f64 v[46:47], v[34:35], v[12:13], v[54:55]
	v_fma_f64 v[48:49], v[36:37], v[12:13], v[56:57]
	v_fma_f64 v[52:53], -v[36:37], v[14:15], v[46:47]
	v_fma_f64 v[54:55], v[34:35], v[14:15], v[48:49]
	global_load_dwordx4 v[34:37], v[21:22], off
	v_fma_f64 v[21:22], v[16:17], v[12:13], v[42:43]
	v_fma_f64 v[12:13], v[18:19], v[12:13], v[44:45]
	v_fma_f64 v[18:19], -v[18:19], v[14:15], v[21:22]
	v_add_u32_e32 v22, 8, v25
	v_lshlrev_b64 v[21:22], 4, v[22:23]
	v_fma_f64 v[16:17], v[16:17], v[14:15], v[12:13]
	v_add_co_u32_e32 v21, vcc, s14, v21
	v_addc_co_u32_e32 v22, vcc, v29, v22, vcc
	global_load_dwordx4 v[12:15], v[50:51], off
	global_load_dwordx4 v[42:45], v[50:51], off offset:16
	global_load_dwordx4 v[46:49], v[21:22], off
	v_cmp_ge_i32_e32 vcc, v24, v27
	s_or_b64 s[8:9], vcc, s[8:9]
	s_waitcnt vmcnt(3)
	v_fma_f64 v[21:22], v[30:31], v[34:35], v[52:53]
	v_fma_f64 v[25:26], v[32:33], v[34:35], v[54:55]
	;; [unrolled: 1-line block ×4, first 2 shown]
	v_fma_f64 v[21:22], -v[32:33], v[36:37], v[21:22]
	v_fma_f64 v[25:26], v[30:31], v[36:37], v[25:26]
	v_fma_f64 v[18:19], -v[40:41], v[36:37], v[18:19]
	v_fma_f64 v[16:17], v[38:39], v[36:37], v[16:17]
	s_waitcnt vmcnt(0)
	v_fma_f64 v[21:22], v[12:13], v[46:47], v[21:22]
	v_fma_f64 v[25:26], v[14:15], v[46:47], v[25:26]
	;; [unrolled: 1-line block ×4, first 2 shown]
	v_fma_f64 v[18:19], -v[14:15], v[48:49], v[21:22]
	v_fma_f64 v[16:17], v[12:13], v[48:49], v[25:26]
	v_fma_f64 v[12:13], -v[44:45], v[48:49], v[30:31]
	v_fma_f64 v[14:15], v[42:43], v[48:49], v[32:33]
	s_andn2_b64 exec, exec, s[8:9]
	s_cbranch_execnz .LBB267_7
; %bb.8:
	s_or_b64 exec, exec, s[8:9]
.LBB267_9:
	s_or_b64 exec, exec, s[6:7]
	s_cbranch_execz .LBB267_11
	s_branch .LBB267_16
.LBB267_10:
                                        ; implicit-def: $vgpr16_vgpr17
                                        ; implicit-def: $vgpr18_vgpr19
                                        ; implicit-def: $vgpr12_vgpr13
                                        ; implicit-def: $vgpr14_vgpr15
.LBB267_11:
	v_mov_b32_e32 v16, 0
	v_mov_b32_e32 v18, 0
	;; [unrolled: 1-line block ×8, first 2 shown]
	s_and_saveexec_b64 s[6:7], s[0:1]
	s_cbranch_execz .LBB267_15
; %bb.12:
	v_mad_u64_u32 v[20:21], s[0:1], v10, 18, 17
	v_mov_b32_e32 v16, 0
	v_mov_b32_e32 v18, 0
	;; [unrolled: 1-line block ×5, first 2 shown]
	s_mov_b64 s[0:1], 0
	v_mov_b32_e32 v26, s11
	v_mov_b32_e32 v23, 0
	;; [unrolled: 1-line block ×7, first 2 shown]
.LBB267_13:                             ; =>This Inner Loop Header: Depth=1
	v_ashrrev_i32_e32 v11, 31, v10
	v_lshlrev_b64 v[32:33], 2, v[10:11]
	v_subrev_u32_e32 v22, 17, v20
	v_lshlrev_b64 v[34:35], 4, v[22:23]
	v_add_co_u32_e32 v38, vcc, s10, v32
	v_add_u32_e32 v30, -8, v20
	v_mov_b32_e32 v31, v23
	v_addc_co_u32_e32 v39, vcc, v26, v33, vcc
	v_lshlrev_b64 v[30:31], 4, v[30:31]
	v_add_co_u32_e32 v40, vcc, s12, v34
	v_addc_co_u32_e32 v41, vcc, v28, v35, vcc
	v_add_co_u32_e32 v42, vcc, s12, v30
	v_addc_co_u32_e32 v43, vcc, v28, v31, vcc
	global_load_dword v11, v[38:39], off
	global_load_dwordx4 v[30:33], v[40:41], off
	global_load_dwordx4 v[34:37], v[40:41], off offset:16
	v_mov_b32_e32 v21, v23
	v_lshlrev_b64 v[21:22], 4, v[20:21]
	v_mov_b32_e32 v25, v23
	v_add_co_u32_e32 v21, vcc, s12, v21
	v_addc_co_u32_e32 v22, vcc, v28, v22, vcc
	v_add_u32_e32 v10, 64, v10
	s_waitcnt vmcnt(2)
	v_subrev_u32_e32 v11, s2, v11
	v_lshl_add_u32 v24, v11, 3, v11
	v_lshlrev_b64 v[38:39], 4, v[24:25]
	v_add_co_u32_e32 v38, vcc, s14, v38
	v_addc_co_u32_e32 v39, vcc, v29, v39, vcc
	global_load_dwordx4 v[38:41], v[38:39], off
	s_waitcnt vmcnt(0)
	v_fma_f64 v[18:19], v[30:31], v[38:39], v[18:19]
	v_fma_f64 v[16:17], v[32:33], v[38:39], v[16:17]
	v_fma_f64 v[44:45], -v[32:33], v[40:41], v[18:19]
	v_fma_f64 v[46:47], v[30:31], v[40:41], v[16:17]
	global_load_dwordx4 v[16:19], v[42:43], off
	global_load_dwordx4 v[30:33], v[21:22], off
	v_add_u32_e32 v22, 1, v24
	s_waitcnt vmcnt(1)
	v_fma_f64 v[11:12], v[16:17], v[38:39], v[12:13]
	v_fma_f64 v[13:14], v[18:19], v[38:39], v[14:15]
	v_fma_f64 v[38:39], -v[18:19], v[40:41], v[11:12]
	v_lshlrev_b64 v[11:12], 4, v[22:23]
	v_add_u32_e32 v22, -7, v20
	v_fma_f64 v[40:41], v[16:17], v[40:41], v[13:14]
	v_lshlrev_b64 v[13:14], 4, v[22:23]
	v_add_co_u32_e32 v11, vcc, s14, v11
	v_addc_co_u32_e32 v12, vcc, v29, v12, vcc
	v_add_co_u32_e32 v15, vcc, s12, v13
	v_addc_co_u32_e32 v16, vcc, v28, v14, vcc
	global_load_dwordx4 v[11:14], v[11:12], off
	v_add_u32_e32 v22, -15, v20
	v_lshlrev_b64 v[42:43], 4, v[22:23]
	v_add_u32_e32 v22, 2, v24
	s_waitcnt vmcnt(0)
	v_fma_f64 v[17:18], v[34:35], v[11:12], v[44:45]
	v_fma_f64 v[44:45], v[36:37], v[11:12], v[46:47]
	v_fma_f64 v[46:47], -v[36:37], v[13:14], v[17:18]
	global_load_dwordx4 v[15:18], v[15:16], off
	v_fma_f64 v[44:45], v[34:35], v[13:14], v[44:45]
	v_add_co_u32_e32 v34, vcc, s12, v42
	v_addc_co_u32_e32 v35, vcc, v28, v43, vcc
	global_load_dwordx4 v[34:37], v[34:35], off
	s_waitcnt vmcnt(1)
	v_fma_f64 v[38:39], v[15:16], v[11:12], v[38:39]
	v_fma_f64 v[11:12], v[17:18], v[11:12], v[40:41]
	v_fma_f64 v[38:39], -v[17:18], v[13:14], v[38:39]
	v_fma_f64 v[40:41], v[15:16], v[13:14], v[11:12]
	v_lshlrev_b64 v[11:12], 4, v[22:23]
	v_add_u32_e32 v22, -6, v20
	v_lshlrev_b64 v[13:14], 4, v[22:23]
	v_add_co_u32_e32 v11, vcc, s14, v11
	v_addc_co_u32_e32 v12, vcc, v29, v12, vcc
	v_add_co_u32_e32 v15, vcc, s12, v13
	v_addc_co_u32_e32 v16, vcc, v28, v14, vcc
	global_load_dwordx4 v[11:14], v[11:12], off
	v_add_u32_e32 v22, -14, v20
	v_lshlrev_b64 v[42:43], 4, v[22:23]
	v_add_u32_e32 v22, 3, v24
	s_waitcnt vmcnt(0)
	v_fma_f64 v[17:18], v[34:35], v[11:12], v[46:47]
	v_fma_f64 v[44:45], v[36:37], v[11:12], v[44:45]
	v_fma_f64 v[46:47], -v[36:37], v[13:14], v[17:18]
	global_load_dwordx4 v[15:18], v[15:16], off
	v_fma_f64 v[44:45], v[34:35], v[13:14], v[44:45]
	v_add_co_u32_e32 v34, vcc, s12, v42
	v_addc_co_u32_e32 v35, vcc, v28, v43, vcc
	global_load_dwordx4 v[34:37], v[34:35], off
	s_waitcnt vmcnt(1)
	v_fma_f64 v[38:39], v[15:16], v[11:12], v[38:39]
	v_fma_f64 v[11:12], v[17:18], v[11:12], v[40:41]
	v_fma_f64 v[38:39], -v[17:18], v[13:14], v[38:39]
	v_fma_f64 v[40:41], v[15:16], v[13:14], v[11:12]
	v_lshlrev_b64 v[11:12], 4, v[22:23]
	v_add_u32_e32 v22, -5, v20
	;; [unrolled: 25-line block ×6, first 2 shown]
	v_add_co_u32_e32 v11, vcc, s14, v11
	v_addc_co_u32_e32 v12, vcc, v29, v12, vcc
	global_load_dwordx4 v[11:14], v[11:12], off
	v_lshlrev_b64 v[15:16], 4, v[22:23]
	v_add_u32_e32 v22, -9, v20
	v_add_co_u32_e32 v15, vcc, s12, v15
	v_addc_co_u32_e32 v16, vcc, v28, v16, vcc
	v_lshlrev_b64 v[42:43], 4, v[22:23]
	v_add_u32_e32 v22, 8, v24
	v_lshlrev_b64 v[21:22], 4, v[22:23]
	v_add_u32_e32 v20, 0x480, v20
	s_waitcnt vmcnt(0)
	v_fma_f64 v[17:18], v[34:35], v[11:12], v[46:47]
	v_fma_f64 v[24:25], v[36:37], v[11:12], v[44:45]
	v_fma_f64 v[44:45], -v[36:37], v[13:14], v[17:18]
	global_load_dwordx4 v[15:18], v[15:16], off
	v_fma_f64 v[24:25], v[34:35], v[13:14], v[24:25]
	v_add_co_u32_e32 v34, vcc, s12, v42
	v_addc_co_u32_e32 v35, vcc, v28, v43, vcc
	global_load_dwordx4 v[34:37], v[34:35], off
	v_add_co_u32_e32 v21, vcc, s14, v21
	v_addc_co_u32_e32 v22, vcc, v29, v22, vcc
	v_cmp_ge_i32_e32 vcc, v10, v27
	s_or_b64 s[0:1], vcc, s[0:1]
	s_waitcnt vmcnt(1)
	v_fma_f64 v[38:39], v[15:16], v[11:12], v[38:39]
	v_fma_f64 v[11:12], v[17:18], v[11:12], v[40:41]
	v_fma_f64 v[17:18], -v[17:18], v[13:14], v[38:39]
	v_fma_f64 v[38:39], v[15:16], v[13:14], v[11:12]
	global_load_dwordx4 v[12:15], v[21:22], off
	s_waitcnt vmcnt(0)
	v_fma_f64 v[21:22], v[34:35], v[12:13], v[44:45]
	v_fma_f64 v[24:25], v[36:37], v[12:13], v[24:25]
	v_fma_f64 v[40:41], v[30:31], v[12:13], v[17:18]
	v_fma_f64 v[38:39], v[32:33], v[12:13], v[38:39]
	v_fma_f64 v[18:19], -v[36:37], v[14:15], v[21:22]
	v_fma_f64 v[16:17], v[34:35], v[14:15], v[24:25]
	v_fma_f64 v[12:13], -v[32:33], v[14:15], v[40:41]
	v_fma_f64 v[14:15], v[30:31], v[14:15], v[38:39]
	s_andn2_b64 exec, exec, s[0:1]
	s_cbranch_execnz .LBB267_13
; %bb.14:
	s_or_b64 exec, exec, s[0:1]
.LBB267_15:
	s_or_b64 exec, exec, s[6:7]
.LBB267_16:
	v_mov_b32_dpp v10, v18 row_shr:1 row_mask:0xf bank_mask:0xf
	v_mov_b32_dpp v11, v19 row_shr:1 row_mask:0xf bank_mask:0xf
	v_add_f64 v[10:11], v[18:19], v[10:11]
	v_mov_b32_dpp v18, v16 row_shr:1 row_mask:0xf bank_mask:0xf
	v_mov_b32_dpp v19, v17 row_shr:1 row_mask:0xf bank_mask:0xf
	v_add_f64 v[16:17], v[16:17], v[18:19]
	;; [unrolled: 3-line block ×3, first 2 shown]
	v_cmp_eq_u32_e32 vcc, 63, v0
	v_mov_b32_dpp v18, v10 row_shr:2 row_mask:0xf bank_mask:0xf
	v_mov_b32_dpp v19, v11 row_shr:2 row_mask:0xf bank_mask:0xf
	v_add_f64 v[10:11], v[10:11], v[18:19]
	v_mov_b32_dpp v18, v12 row_shr:1 row_mask:0xf bank_mask:0xf
	v_mov_b32_dpp v19, v13 row_shr:1 row_mask:0xf bank_mask:0xf
	v_add_f64 v[12:13], v[12:13], v[18:19]
	v_mov_b32_dpp v18, v16 row_shr:2 row_mask:0xf bank_mask:0xf
	v_mov_b32_dpp v19, v10 row_shr:4 row_mask:0xf bank_mask:0xe
	v_mov_b32_dpp v20, v11 row_shr:4 row_mask:0xf bank_mask:0xe
	v_add_f64 v[10:11], v[10:11], v[19:20]
	v_mov_b32_dpp v19, v17 row_shr:2 row_mask:0xf bank_mask:0xf
	;; [unrolled: 4-line block ×3, first 2 shown]
	v_add_f64 v[12:13], v[12:13], v[20:21]
	v_mov_b32_dpp v19, v15 row_shr:2 row_mask:0xf bank_mask:0xf
	v_add_f64 v[14:15], v[14:15], v[18:19]
	v_mov_b32_dpp v20, v10 row_shr:8 row_mask:0xf bank_mask:0xc
	v_mov_b32_dpp v21, v11 row_shr:8 row_mask:0xf bank_mask:0xc
	v_add_f64 v[10:11], v[10:11], v[20:21]
	v_mov_b32_dpp v18, v16 row_shr:4 row_mask:0xf bank_mask:0xe
	v_mov_b32_dpp v19, v17 row_shr:4 row_mask:0xf bank_mask:0xe
	;; [unrolled: 1-line block ×3, first 2 shown]
	v_add_f64 v[16:17], v[16:17], v[18:19]
	v_mov_b32_dpp v21, v13 row_shr:4 row_mask:0xf bank_mask:0xe
	v_add_f64 v[12:13], v[12:13], v[20:21]
	v_mov_b32_dpp v19, v14 row_shr:4 row_mask:0xf bank_mask:0xe
	v_mov_b32_dpp v20, v15 row_shr:4 row_mask:0xf bank_mask:0xe
	v_add_f64 v[14:15], v[14:15], v[19:20]
	v_mov_b32_dpp v18, v10 row_bcast:15 row_mask:0xa bank_mask:0xf
	v_mov_b32_dpp v19, v11 row_bcast:15 row_mask:0xa bank_mask:0xf
	v_mov_b32_dpp v20, v16 row_shr:8 row_mask:0xf bank_mask:0xc
	v_mov_b32_dpp v21, v17 row_shr:8 row_mask:0xf bank_mask:0xc
	v_add_f64 v[16:17], v[16:17], v[20:21]
	v_mov_b32_dpp v20, v12 row_shr:8 row_mask:0xf bank_mask:0xc
	v_mov_b32_dpp v21, v13 row_shr:8 row_mask:0xf bank_mask:0xc
	v_add_f64 v[20:21], v[12:13], v[20:21]
	;; [unrolled: 3-line block ×3, first 2 shown]
	v_add_f64 v[10:11], v[10:11], v[18:19]
	v_mov_b32_dpp v12, v16 row_bcast:15 row_mask:0xa bank_mask:0xf
	v_mov_b32_dpp v13, v17 row_bcast:15 row_mask:0xa bank_mask:0xf
	v_add_f64 v[12:13], v[16:17], v[12:13]
	v_mov_b32_dpp v16, v20 row_bcast:15 row_mask:0xa bank_mask:0xf
	v_mov_b32_dpp v17, v21 row_bcast:15 row_mask:0xa bank_mask:0xf
	;; [unrolled: 3-line block ×4, first 2 shown]
	v_mov_b32_dpp v16, v12 row_bcast:31 row_mask:0xc bank_mask:0xf
	v_mov_b32_dpp v17, v13 row_bcast:31 row_mask:0xc bank_mask:0xf
	;; [unrolled: 1-line block ×6, first 2 shown]
	s_and_b64 exec, exec, vcc
	s_cbranch_execz .LBB267_21
; %bb.17:
	v_cmp_eq_f64_e32 vcc, 0, v[5:6]
	v_cmp_eq_f64_e64 s[0:1], 0, v[7:8]
	v_add_f64 v[10:11], v[10:11], v[24:25]
	v_add_f64 v[16:17], v[12:13], v[16:17]
	;; [unrolled: 1-line block ×4, first 2 shown]
	s_load_dwordx2 s[2:3], s[4:5], 0x48
	s_and_b64 s[0:1], vcc, s[0:1]
	s_and_saveexec_b64 s[4:5], s[0:1]
	s_xor_b64 s[0:1], exec, s[4:5]
	s_cbranch_execz .LBB267_19
; %bb.18:
	v_mul_f64 v[5:6], v[16:17], -v[3:4]
	v_mul_f64 v[7:8], v[1:2], v[16:17]
	v_mul_f64 v[16:17], v[14:15], -v[3:4]
	v_mul_f64 v[14:15], v[1:2], v[14:15]
	v_lshlrev_b32_e32 v9, 1, v9
	s_waitcnt lgkmcnt(0)
	v_mov_b32_e32 v18, s3
	v_fma_f64 v[5:6], v[1:2], v[10:11], v[5:6]
	v_fma_f64 v[7:8], v[3:4], v[10:11], v[7:8]
	;; [unrolled: 1-line block ×4, first 2 shown]
	v_ashrrev_i32_e32 v10, 31, v9
	v_lshlrev_b64 v[9:10], 4, v[9:10]
                                        ; implicit-def: $vgpr16_vgpr17
                                        ; implicit-def: $vgpr12_vgpr13
                                        ; implicit-def: $vgpr14_vgpr15
	v_add_co_u32_e32 v9, vcc, s2, v9
	v_addc_co_u32_e32 v10, vcc, v18, v10, vcc
	global_store_dwordx4 v[9:10], v[5:8], off
	global_store_dwordx4 v[9:10], v[0:3], off offset:16
                                        ; implicit-def: $vgpr9
                                        ; implicit-def: $vgpr10_vgpr11
                                        ; implicit-def: $vgpr7_vgpr8
                                        ; implicit-def: $vgpr3_vgpr4
.LBB267_19:
	s_andn2_saveexec_b64 s[0:1], s[0:1]
	s_cbranch_execz .LBB267_21
; %bb.20:
	v_lshlrev_b32_e32 v18, 1, v9
	v_ashrrev_i32_e32 v19, 31, v18
	v_lshlrev_b64 v[18:19], 4, v[18:19]
	s_waitcnt lgkmcnt(0)
	v_mov_b32_e32 v0, s3
	v_add_co_u32_e32 v26, vcc, s2, v18
	v_addc_co_u32_e32 v27, vcc, v0, v19, vcc
	global_load_dwordx4 v[18:21], v[26:27], off
	global_load_dwordx4 v[22:25], v[26:27], off offset:16
	v_mul_f64 v[28:29], v[16:17], -v[3:4]
	v_mul_f64 v[16:17], v[1:2], v[16:17]
	v_mul_f64 v[30:31], v[14:15], -v[3:4]
	v_mul_f64 v[14:15], v[1:2], v[14:15]
	v_fma_f64 v[28:29], v[1:2], v[10:11], v[28:29]
	v_fma_f64 v[9:10], v[3:4], v[10:11], v[16:17]
	;; [unrolled: 1-line block ×4, first 2 shown]
	s_waitcnt vmcnt(1)
	v_fma_f64 v[11:12], v[5:6], v[18:19], v[28:29]
	v_fma_f64 v[9:10], v[7:8], v[18:19], v[9:10]
	s_waitcnt vmcnt(0)
	v_fma_f64 v[13:14], v[5:6], v[22:23], v[0:1]
	v_fma_f64 v[15:16], v[7:8], v[22:23], v[2:3]
	v_fma_f64 v[0:1], -v[7:8], v[20:21], v[11:12]
	v_fma_f64 v[2:3], v[5:6], v[20:21], v[9:10]
	v_fma_f64 v[7:8], -v[7:8], v[24:25], v[13:14]
	v_fma_f64 v[9:10], v[5:6], v[24:25], v[15:16]
	global_store_dwordx4 v[26:27], v[0:3], off
	global_store_dwordx4 v[26:27], v[7:10], off offset:16
.LBB267_21:
	s_endpgm
	.section	.rodata,"a",@progbits
	.p2align	6, 0x0
	.amdhsa_kernel _ZN9rocsparseL19gebsrmvn_2xn_kernelILj128ELj9ELj64E21rocsparse_complex_numIdEEEvi20rocsparse_direction_NS_24const_host_device_scalarIT2_EEPKiS8_PKS5_SA_S6_PS5_21rocsparse_index_base_b
		.amdhsa_group_segment_fixed_size 0
		.amdhsa_private_segment_fixed_size 0
		.amdhsa_kernarg_size 88
		.amdhsa_user_sgpr_count 6
		.amdhsa_user_sgpr_private_segment_buffer 1
		.amdhsa_user_sgpr_dispatch_ptr 0
		.amdhsa_user_sgpr_queue_ptr 0
		.amdhsa_user_sgpr_kernarg_segment_ptr 1
		.amdhsa_user_sgpr_dispatch_id 0
		.amdhsa_user_sgpr_flat_scratch_init 0
		.amdhsa_user_sgpr_private_segment_size 0
		.amdhsa_uses_dynamic_stack 0
		.amdhsa_system_sgpr_private_segment_wavefront_offset 0
		.amdhsa_system_sgpr_workgroup_id_x 1
		.amdhsa_system_sgpr_workgroup_id_y 0
		.amdhsa_system_sgpr_workgroup_id_z 0
		.amdhsa_system_sgpr_workgroup_info 0
		.amdhsa_system_vgpr_workitem_id 0
		.amdhsa_next_free_vgpr 58
		.amdhsa_next_free_sgpr 16
		.amdhsa_reserve_vcc 1
		.amdhsa_reserve_flat_scratch 0
		.amdhsa_float_round_mode_32 0
		.amdhsa_float_round_mode_16_64 0
		.amdhsa_float_denorm_mode_32 3
		.amdhsa_float_denorm_mode_16_64 3
		.amdhsa_dx10_clamp 1
		.amdhsa_ieee_mode 1
		.amdhsa_fp16_overflow 0
		.amdhsa_exception_fp_ieee_invalid_op 0
		.amdhsa_exception_fp_denorm_src 0
		.amdhsa_exception_fp_ieee_div_zero 0
		.amdhsa_exception_fp_ieee_overflow 0
		.amdhsa_exception_fp_ieee_underflow 0
		.amdhsa_exception_fp_ieee_inexact 0
		.amdhsa_exception_int_div_zero 0
	.end_amdhsa_kernel
	.section	.text._ZN9rocsparseL19gebsrmvn_2xn_kernelILj128ELj9ELj64E21rocsparse_complex_numIdEEEvi20rocsparse_direction_NS_24const_host_device_scalarIT2_EEPKiS8_PKS5_SA_S6_PS5_21rocsparse_index_base_b,"axG",@progbits,_ZN9rocsparseL19gebsrmvn_2xn_kernelILj128ELj9ELj64E21rocsparse_complex_numIdEEEvi20rocsparse_direction_NS_24const_host_device_scalarIT2_EEPKiS8_PKS5_SA_S6_PS5_21rocsparse_index_base_b,comdat
.Lfunc_end267:
	.size	_ZN9rocsparseL19gebsrmvn_2xn_kernelILj128ELj9ELj64E21rocsparse_complex_numIdEEEvi20rocsparse_direction_NS_24const_host_device_scalarIT2_EEPKiS8_PKS5_SA_S6_PS5_21rocsparse_index_base_b, .Lfunc_end267-_ZN9rocsparseL19gebsrmvn_2xn_kernelILj128ELj9ELj64E21rocsparse_complex_numIdEEEvi20rocsparse_direction_NS_24const_host_device_scalarIT2_EEPKiS8_PKS5_SA_S6_PS5_21rocsparse_index_base_b
                                        ; -- End function
	.set _ZN9rocsparseL19gebsrmvn_2xn_kernelILj128ELj9ELj64E21rocsparse_complex_numIdEEEvi20rocsparse_direction_NS_24const_host_device_scalarIT2_EEPKiS8_PKS5_SA_S6_PS5_21rocsparse_index_base_b.num_vgpr, 58
	.set _ZN9rocsparseL19gebsrmvn_2xn_kernelILj128ELj9ELj64E21rocsparse_complex_numIdEEEvi20rocsparse_direction_NS_24const_host_device_scalarIT2_EEPKiS8_PKS5_SA_S6_PS5_21rocsparse_index_base_b.num_agpr, 0
	.set _ZN9rocsparseL19gebsrmvn_2xn_kernelILj128ELj9ELj64E21rocsparse_complex_numIdEEEvi20rocsparse_direction_NS_24const_host_device_scalarIT2_EEPKiS8_PKS5_SA_S6_PS5_21rocsparse_index_base_b.numbered_sgpr, 16
	.set _ZN9rocsparseL19gebsrmvn_2xn_kernelILj128ELj9ELj64E21rocsparse_complex_numIdEEEvi20rocsparse_direction_NS_24const_host_device_scalarIT2_EEPKiS8_PKS5_SA_S6_PS5_21rocsparse_index_base_b.num_named_barrier, 0
	.set _ZN9rocsparseL19gebsrmvn_2xn_kernelILj128ELj9ELj64E21rocsparse_complex_numIdEEEvi20rocsparse_direction_NS_24const_host_device_scalarIT2_EEPKiS8_PKS5_SA_S6_PS5_21rocsparse_index_base_b.private_seg_size, 0
	.set _ZN9rocsparseL19gebsrmvn_2xn_kernelILj128ELj9ELj64E21rocsparse_complex_numIdEEEvi20rocsparse_direction_NS_24const_host_device_scalarIT2_EEPKiS8_PKS5_SA_S6_PS5_21rocsparse_index_base_b.uses_vcc, 1
	.set _ZN9rocsparseL19gebsrmvn_2xn_kernelILj128ELj9ELj64E21rocsparse_complex_numIdEEEvi20rocsparse_direction_NS_24const_host_device_scalarIT2_EEPKiS8_PKS5_SA_S6_PS5_21rocsparse_index_base_b.uses_flat_scratch, 0
	.set _ZN9rocsparseL19gebsrmvn_2xn_kernelILj128ELj9ELj64E21rocsparse_complex_numIdEEEvi20rocsparse_direction_NS_24const_host_device_scalarIT2_EEPKiS8_PKS5_SA_S6_PS5_21rocsparse_index_base_b.has_dyn_sized_stack, 0
	.set _ZN9rocsparseL19gebsrmvn_2xn_kernelILj128ELj9ELj64E21rocsparse_complex_numIdEEEvi20rocsparse_direction_NS_24const_host_device_scalarIT2_EEPKiS8_PKS5_SA_S6_PS5_21rocsparse_index_base_b.has_recursion, 0
	.set _ZN9rocsparseL19gebsrmvn_2xn_kernelILj128ELj9ELj64E21rocsparse_complex_numIdEEEvi20rocsparse_direction_NS_24const_host_device_scalarIT2_EEPKiS8_PKS5_SA_S6_PS5_21rocsparse_index_base_b.has_indirect_call, 0
	.section	.AMDGPU.csdata,"",@progbits
; Kernel info:
; codeLenInByte = 4172
; TotalNumSgprs: 20
; NumVgprs: 58
; ScratchSize: 0
; MemoryBound: 0
; FloatMode: 240
; IeeeMode: 1
; LDSByteSize: 0 bytes/workgroup (compile time only)
; SGPRBlocks: 2
; VGPRBlocks: 14
; NumSGPRsForWavesPerEU: 20
; NumVGPRsForWavesPerEU: 58
; Occupancy: 4
; WaveLimiterHint : 1
; COMPUTE_PGM_RSRC2:SCRATCH_EN: 0
; COMPUTE_PGM_RSRC2:USER_SGPR: 6
; COMPUTE_PGM_RSRC2:TRAP_HANDLER: 0
; COMPUTE_PGM_RSRC2:TGID_X_EN: 1
; COMPUTE_PGM_RSRC2:TGID_Y_EN: 0
; COMPUTE_PGM_RSRC2:TGID_Z_EN: 0
; COMPUTE_PGM_RSRC2:TIDIG_COMP_CNT: 0
	.section	.text._ZN9rocsparseL19gebsrmvn_2xn_kernelILj128ELj10ELj4E21rocsparse_complex_numIdEEEvi20rocsparse_direction_NS_24const_host_device_scalarIT2_EEPKiS8_PKS5_SA_S6_PS5_21rocsparse_index_base_b,"axG",@progbits,_ZN9rocsparseL19gebsrmvn_2xn_kernelILj128ELj10ELj4E21rocsparse_complex_numIdEEEvi20rocsparse_direction_NS_24const_host_device_scalarIT2_EEPKiS8_PKS5_SA_S6_PS5_21rocsparse_index_base_b,comdat
	.globl	_ZN9rocsparseL19gebsrmvn_2xn_kernelILj128ELj10ELj4E21rocsparse_complex_numIdEEEvi20rocsparse_direction_NS_24const_host_device_scalarIT2_EEPKiS8_PKS5_SA_S6_PS5_21rocsparse_index_base_b ; -- Begin function _ZN9rocsparseL19gebsrmvn_2xn_kernelILj128ELj10ELj4E21rocsparse_complex_numIdEEEvi20rocsparse_direction_NS_24const_host_device_scalarIT2_EEPKiS8_PKS5_SA_S6_PS5_21rocsparse_index_base_b
	.p2align	8
	.type	_ZN9rocsparseL19gebsrmvn_2xn_kernelILj128ELj10ELj4E21rocsparse_complex_numIdEEEvi20rocsparse_direction_NS_24const_host_device_scalarIT2_EEPKiS8_PKS5_SA_S6_PS5_21rocsparse_index_base_b,@function
_ZN9rocsparseL19gebsrmvn_2xn_kernelILj128ELj10ELj4E21rocsparse_complex_numIdEEEvi20rocsparse_direction_NS_24const_host_device_scalarIT2_EEPKiS8_PKS5_SA_S6_PS5_21rocsparse_index_base_b: ; @_ZN9rocsparseL19gebsrmvn_2xn_kernelILj128ELj10ELj4E21rocsparse_complex_numIdEEEvi20rocsparse_direction_NS_24const_host_device_scalarIT2_EEPKiS8_PKS5_SA_S6_PS5_21rocsparse_index_base_b
; %bb.0:
	s_load_dwordx2 s[0:1], s[4:5], 0x8
	s_load_dwordx2 s[2:3], s[4:5], 0x38
	;; [unrolled: 1-line block ×3, first 2 shown]
	s_add_u32 s7, s4, 8
	s_addc_u32 s8, s5, 0
	s_add_u32 s9, s4, 56
	s_addc_u32 s10, s5, 0
	s_waitcnt lgkmcnt(0)
	s_bitcmp1_b32 s17, 0
	s_cselect_b32 s1, s8, s1
	s_cselect_b32 s0, s7, s0
	v_mov_b32_e32 v1, s0
	v_mov_b32_e32 v2, s1
	flat_load_dwordx4 v[1:4], v[1:2]
	s_cselect_b32 s0, s10, s3
	s_cselect_b32 s1, s9, s2
	v_mov_b32_e32 v5, s1
	v_mov_b32_e32 v6, s0
	flat_load_dwordx4 v[5:8], v[5:6]
	s_waitcnt vmcnt(0) lgkmcnt(0)
	v_cmp_eq_f64_e32 vcc, 0, v[1:2]
	v_cmp_eq_f64_e64 s[0:1], 0, v[3:4]
	s_and_b64 s[8:9], vcc, s[0:1]
	s_mov_b64 s[0:1], -1
	s_and_saveexec_b64 s[2:3], s[8:9]
	s_cbranch_execz .LBB268_2
; %bb.1:
	v_cmp_neq_f64_e32 vcc, 1.0, v[5:6]
	v_cmp_neq_f64_e64 s[0:1], 0, v[7:8]
	s_or_b64 s[0:1], vcc, s[0:1]
	s_orn2_b64 s[0:1], s[0:1], exec
.LBB268_2:
	s_or_b64 exec, exec, s[2:3]
	s_and_saveexec_b64 s[2:3], s[0:1]
	s_cbranch_execz .LBB268_21
; %bb.3:
	s_load_dwordx2 s[0:1], s[4:5], 0x0
	v_lshrrev_b32_e32 v9, 2, v0
	v_lshl_or_b32 v9, s6, 5, v9
	s_waitcnt lgkmcnt(0)
	v_cmp_gt_i32_e32 vcc, s0, v9
	s_and_b64 exec, exec, vcc
	s_cbranch_execz .LBB268_21
; %bb.4:
	s_load_dwordx8 s[8:15], s[4:5], 0x18
	v_ashrrev_i32_e32 v10, 31, v9
	v_lshlrev_b64 v[10:11], 2, v[9:10]
	v_and_b32_e32 v0, 3, v0
	s_cmp_lg_u32 s1, 0
	s_waitcnt lgkmcnt(0)
	v_mov_b32_e32 v12, s9
	v_add_co_u32_e32 v10, vcc, s8, v10
	v_addc_co_u32_e32 v11, vcc, v12, v11, vcc
	global_load_dwordx2 v[10:11], v[10:11], off
	s_waitcnt vmcnt(0)
	v_subrev_u32_e32 v10, s16, v10
	v_subrev_u32_e32 v27, s16, v11
	v_add_u32_e32 v10, v10, v0
	v_cmp_lt_i32_e64 s[0:1], v10, v27
	s_cbranch_scc0 .LBB268_10
; %bb.5:
	v_mov_b32_e32 v12, 0
	v_mov_b32_e32 v18, 0
	;; [unrolled: 1-line block ×8, first 2 shown]
	s_and_saveexec_b64 s[8:9], s[0:1]
	s_cbranch_execz .LBB268_9
; %bb.6:
	v_mad_u64_u32 v[20:21], s[2:3], v10, 20, 18
	v_mov_b32_e32 v12, 0
	v_mov_b32_e32 v18, 0
	;; [unrolled: 1-line block ×5, first 2 shown]
	s_mov_b64 s[18:19], 0
	v_mov_b32_e32 v11, s11
	v_mov_b32_e32 v23, 0
	;; [unrolled: 1-line block ×8, first 2 shown]
.LBB268_7:                              ; =>This Inner Loop Header: Depth=1
	v_ashrrev_i32_e32 v25, 31, v24
	v_subrev_u32_e32 v22, 18, v20
	v_lshlrev_b64 v[30:31], 2, v[24:25]
	v_lshlrev_b64 v[32:33], 4, v[22:23]
	v_add_co_u32_e32 v36, vcc, s10, v30
	v_add_co_u32_e64 v38, s[2:3], s12, v32
	v_addc_co_u32_e32 v37, vcc, v11, v31, vcc
	v_addc_co_u32_e64 v39, vcc, v28, v33, s[2:3]
	global_load_dword v25, v[36:37], off
	global_load_dwordx4 v[30:33], v[38:39], off
	v_mov_b32_e32 v21, v23
	v_lshlrev_b64 v[34:35], 4, v[20:21]
	v_mov_b32_e32 v26, v23
	v_add_co_u32_e64 v40, s[6:7], s12, v34
	v_addc_co_u32_e64 v41, vcc, v28, v35, s[6:7]
	v_add_u32_e32 v22, -14, v20
	v_lshlrev_b64 v[21:22], 4, v[22:23]
	v_add_u32_e32 v24, 4, v24
	s_waitcnt vmcnt(1)
	v_subrev_u32_e32 v25, s16, v25
	v_mul_lo_u32 v25, v25, 10
	v_lshlrev_b64 v[34:35], 4, v[25:26]
	v_add_co_u32_e32 v42, vcc, s14, v34
	v_addc_co_u32_e32 v43, vcc, v29, v35, vcc
	global_load_dwordx4 v[34:37], v[42:43], off
	v_add_co_u32_e32 v21, vcc, s12, v21
	v_addc_co_u32_e32 v22, vcc, v28, v22, vcc
	s_waitcnt vmcnt(0)
	v_fma_f64 v[18:19], v[30:31], v[34:35], v[18:19]
	v_fma_f64 v[12:13], v[32:33], v[34:35], v[12:13]
	v_fma_f64 v[44:45], -v[32:33], v[36:37], v[18:19]
	v_fma_f64 v[46:47], v[30:31], v[36:37], v[12:13]
	global_load_dwordx4 v[30:33], v[38:39], off offset:16
	s_waitcnt vmcnt(0)
	v_fma_f64 v[12:13], v[30:31], v[34:35], v[16:17]
	v_fma_f64 v[14:15], v[32:33], v[34:35], v[14:15]
	v_fma_f64 v[34:35], -v[32:33], v[36:37], v[12:13]
	v_fma_f64 v[36:37], v[30:31], v[36:37], v[14:15]
	global_load_dwordx4 v[12:15], v[38:39], off offset:48
	global_load_dwordx4 v[16:19], v[38:39], off offset:32
	;; [unrolled: 1-line block ×3, first 2 shown]
	s_waitcnt vmcnt(0)
	v_fma_f64 v[38:39], v[16:17], v[30:31], v[44:45]
	v_fma_f64 v[42:43], v[18:19], v[30:31], v[46:47]
	v_fma_f64 v[34:35], v[12:13], v[30:31], v[34:35]
	v_fma_f64 v[30:31], v[14:15], v[30:31], v[36:37]
	v_fma_f64 v[38:39], -v[18:19], v[32:33], v[38:39]
	v_fma_f64 v[42:43], v[16:17], v[32:33], v[42:43]
	global_load_dwordx4 v[16:19], v[21:22], off offset:16
	v_fma_f64 v[34:35], -v[14:15], v[32:33], v[34:35]
	v_fma_f64 v[36:37], v[12:13], v[32:33], v[30:31]
	global_load_dwordx4 v[12:15], v[21:22], off
	v_add_u32_e32 v22, 2, v25
	v_lshlrev_b64 v[30:31], 4, v[22:23]
	v_add_u32_e32 v22, -12, v20
	v_add_co_u32_e32 v44, vcc, s14, v30
	v_addc_co_u32_e32 v45, vcc, v29, v31, vcc
	global_load_dwordx4 v[30:33], v[44:45], off
	v_lshlrev_b64 v[46:47], 4, v[22:23]
	v_add_u32_e32 v22, -10, v20
	v_lshlrev_b64 v[48:49], 4, v[22:23]
	v_add_u32_e32 v22, 4, v25
	s_waitcnt vmcnt(0)
	v_fma_f64 v[38:39], v[12:13], v[30:31], v[38:39]
	v_fma_f64 v[42:43], v[14:15], v[30:31], v[42:43]
	v_fma_f64 v[38:39], -v[14:15], v[32:33], v[38:39]
	v_fma_f64 v[42:43], v[12:13], v[32:33], v[42:43]
	v_fma_f64 v[12:13], v[16:17], v[30:31], v[34:35]
	;; [unrolled: 1-line block ×3, first 2 shown]
	v_add_co_u32_e32 v34, vcc, s12, v46
	v_addc_co_u32_e32 v35, vcc, v28, v47, vcc
	v_lshlrev_b64 v[36:37], 4, v[22:23]
	v_add_u32_e32 v22, -8, v20
	v_fma_f64 v[30:31], -v[18:19], v[32:33], v[12:13]
	v_fma_f64 v[32:33], v[16:17], v[32:33], v[14:15]
	global_load_dwordx4 v[12:15], v[44:45], off offset:16
	global_load_dwordx4 v[16:19], v[34:35], off
	v_add_co_u32_e32 v44, vcc, s12, v48
	v_addc_co_u32_e32 v45, vcc, v28, v49, vcc
	v_lshlrev_b64 v[46:47], 4, v[22:23]
	v_add_u32_e32 v22, -6, v20
	s_waitcnt vmcnt(0)
	v_fma_f64 v[38:39], v[16:17], v[12:13], v[38:39]
	v_fma_f64 v[42:43], v[18:19], v[12:13], v[42:43]
	v_fma_f64 v[38:39], -v[18:19], v[14:15], v[38:39]
	v_fma_f64 v[42:43], v[16:17], v[14:15], v[42:43]
	global_load_dwordx4 v[16:19], v[34:35], off offset:16
	v_add_co_u32_e32 v34, vcc, s14, v36
	v_addc_co_u32_e32 v35, vcc, v29, v37, vcc
	s_waitcnt vmcnt(0)
	v_fma_f64 v[30:31], v[16:17], v[12:13], v[30:31]
	v_fma_f64 v[12:13], v[18:19], v[12:13], v[32:33]
	v_fma_f64 v[30:31], -v[18:19], v[14:15], v[30:31]
	v_fma_f64 v[32:33], v[16:17], v[14:15], v[12:13]
	global_load_dwordx4 v[12:15], v[44:45], off
	global_load_dwordx4 v[16:19], v[34:35], off
	s_waitcnt vmcnt(0)
	v_fma_f64 v[36:37], v[12:13], v[16:17], v[38:39]
	v_fma_f64 v[38:39], v[14:15], v[16:17], v[42:43]
	v_lshlrev_b64 v[42:43], 4, v[22:23]
	v_add_u32_e32 v22, 6, v25
	v_lshlrev_b64 v[48:49], 4, v[22:23]
	v_add_u32_e32 v22, -4, v20
	v_fma_f64 v[36:37], -v[14:15], v[18:19], v[36:37]
	v_fma_f64 v[38:39], v[12:13], v[18:19], v[38:39]
	global_load_dwordx4 v[12:15], v[44:45], off offset:16
	v_add_co_u32_e32 v44, vcc, s12, v46
	v_addc_co_u32_e32 v45, vcc, v28, v47, vcc
	v_lshlrev_b64 v[46:47], 4, v[22:23]
	v_add_u32_e32 v22, -2, v20
	v_add_u32_e32 v20, 0x50, v20
	s_waitcnt vmcnt(0)
	v_fma_f64 v[30:31], v[12:13], v[16:17], v[30:31]
	v_fma_f64 v[16:17], v[14:15], v[16:17], v[32:33]
	v_fma_f64 v[30:31], -v[14:15], v[18:19], v[30:31]
	v_fma_f64 v[32:33], v[12:13], v[18:19], v[16:17]
	global_load_dwordx4 v[12:15], v[34:35], off offset:16
	global_load_dwordx4 v[16:19], v[44:45], off
	s_waitcnt vmcnt(0)
	v_fma_f64 v[34:35], v[16:17], v[12:13], v[36:37]
	v_fma_f64 v[36:37], v[18:19], v[12:13], v[38:39]
	v_add_co_u32_e32 v38, vcc, s12, v42
	v_addc_co_u32_e32 v39, vcc, v28, v43, vcc
	v_add_co_u32_e32 v42, vcc, s14, v48
	v_fma_f64 v[34:35], -v[18:19], v[14:15], v[34:35]
	v_fma_f64 v[36:37], v[16:17], v[14:15], v[36:37]
	global_load_dwordx4 v[16:19], v[44:45], off offset:16
	v_addc_co_u32_e32 v43, vcc, v29, v49, vcc
	v_lshlrev_b64 v[44:45], 4, v[22:23]
	v_add_u32_e32 v22, 8, v25
	v_add_co_u32_e32 v21, vcc, s12, v46
	v_lshlrev_b64 v[48:49], 4, v[22:23]
	v_addc_co_u32_e32 v22, vcc, v28, v47, vcc
	s_waitcnt vmcnt(0)
	v_fma_f64 v[30:31], v[16:17], v[12:13], v[30:31]
	v_fma_f64 v[12:13], v[18:19], v[12:13], v[32:33]
	v_fma_f64 v[30:31], -v[18:19], v[14:15], v[30:31]
	v_fma_f64 v[32:33], v[16:17], v[14:15], v[12:13]
	global_load_dwordx4 v[12:15], v[38:39], off
	global_load_dwordx4 v[16:19], v[42:43], off
	s_waitcnt vmcnt(0)
	v_fma_f64 v[25:26], v[12:13], v[16:17], v[34:35]
	v_fma_f64 v[34:35], v[14:15], v[16:17], v[36:37]
	v_fma_f64 v[25:26], -v[14:15], v[18:19], v[25:26]
	v_fma_f64 v[34:35], v[12:13], v[18:19], v[34:35]
	global_load_dwordx4 v[12:15], v[38:39], off offset:16
	s_waitcnt vmcnt(0)
	v_fma_f64 v[30:31], v[12:13], v[16:17], v[30:31]
	v_fma_f64 v[16:17], v[14:15], v[16:17], v[32:33]
	v_fma_f64 v[36:37], -v[14:15], v[18:19], v[30:31]
	v_fma_f64 v[38:39], v[12:13], v[18:19], v[16:17]
	global_load_dwordx4 v[12:15], v[42:43], off offset:16
	global_load_dwordx4 v[16:19], v[21:22], off
	global_load_dwordx4 v[30:33], v[21:22], off offset:16
	v_add_co_u32_e32 v42, vcc, s12, v44
	v_addc_co_u32_e32 v43, vcc, v28, v45, vcc
	v_add_co_u32_e32 v44, vcc, s14, v48
	v_addc_co_u32_e32 v45, vcc, v29, v49, vcc
	v_cmp_ge_i32_e32 vcc, v24, v27
	s_or_b64 s[18:19], vcc, s[18:19]
	s_waitcnt vmcnt(1)
	v_fma_f64 v[21:22], v[16:17], v[12:13], v[25:26]
	v_fma_f64 v[25:26], v[18:19], v[12:13], v[34:35]
	v_fma_f64 v[21:22], -v[18:19], v[14:15], v[21:22]
	v_fma_f64 v[25:26], v[16:17], v[14:15], v[25:26]
	s_waitcnt vmcnt(0)
	v_fma_f64 v[16:17], v[30:31], v[12:13], v[36:37]
	v_fma_f64 v[12:13], v[32:33], v[12:13], v[38:39]
	v_fma_f64 v[38:39], -v[32:33], v[14:15], v[16:17]
	v_fma_f64 v[46:47], v[30:31], v[14:15], v[12:13]
	global_load_dwordx4 v[12:15], v[42:43], off offset:16
	global_load_dwordx4 v[16:19], v[42:43], off
	global_load_dwordx4 v[30:33], v[44:45], off
	s_waitcnt vmcnt(0)
	v_fma_f64 v[21:22], v[16:17], v[30:31], v[21:22]
	v_fma_f64 v[25:26], v[18:19], v[30:31], v[25:26]
	;; [unrolled: 1-line block ×4, first 2 shown]
	v_fma_f64 v[21:22], -v[18:19], v[32:33], v[21:22]
	v_fma_f64 v[25:26], v[16:17], v[32:33], v[25:26]
	global_load_dwordx4 v[16:19], v[40:41], off
	global_load_dwordx4 v[34:37], v[40:41], off offset:16
	v_fma_f64 v[38:39], -v[14:15], v[32:33], v[38:39]
	v_fma_f64 v[30:31], v[12:13], v[32:33], v[30:31]
	global_load_dwordx4 v[12:15], v[44:45], off offset:16
	s_waitcnt vmcnt(0)
	v_fma_f64 v[21:22], v[16:17], v[12:13], v[21:22]
	v_fma_f64 v[25:26], v[18:19], v[12:13], v[25:26]
	;; [unrolled: 1-line block ×4, first 2 shown]
	v_fma_f64 v[18:19], -v[18:19], v[14:15], v[21:22]
	v_fma_f64 v[12:13], v[16:17], v[14:15], v[25:26]
	v_fma_f64 v[16:17], -v[36:37], v[14:15], v[32:33]
	v_fma_f64 v[14:15], v[34:35], v[14:15], v[30:31]
	s_andn2_b64 exec, exec, s[18:19]
	s_cbranch_execnz .LBB268_7
; %bb.8:
	s_or_b64 exec, exec, s[18:19]
.LBB268_9:
	s_or_b64 exec, exec, s[8:9]
	s_cbranch_execz .LBB268_11
	s_branch .LBB268_16
.LBB268_10:
                                        ; implicit-def: $vgpr12_vgpr13
                                        ; implicit-def: $vgpr18_vgpr19
                                        ; implicit-def: $vgpr16_vgpr17
                                        ; implicit-def: $vgpr14_vgpr15
.LBB268_11:
	v_mov_b32_e32 v12, 0
	v_mov_b32_e32 v18, 0
	;; [unrolled: 1-line block ×8, first 2 shown]
	s_and_saveexec_b64 s[2:3], s[0:1]
	s_cbranch_execz .LBB268_15
; %bb.12:
	v_mad_u64_u32 v[20:21], s[0:1], v10, 20, 19
	v_mov_b32_e32 v12, 0
	v_mov_b32_e32 v18, 0
	v_mov_b32_e32 v16, 0
	v_mov_b32_e32 v14, 0
	v_mov_b32_e32 v13, 0
	s_mov_b64 s[0:1], 0
	v_mov_b32_e32 v26, s11
	v_mov_b32_e32 v23, 0
	;; [unrolled: 1-line block ×7, first 2 shown]
.LBB268_13:                             ; =>This Inner Loop Header: Depth=1
	v_ashrrev_i32_e32 v11, 31, v10
	v_lshlrev_b64 v[32:33], 2, v[10:11]
	v_subrev_u32_e32 v22, 19, v20
	v_lshlrev_b64 v[34:35], 4, v[22:23]
	v_add_co_u32_e32 v38, vcc, s10, v32
	v_add_u32_e32 v30, -9, v20
	v_mov_b32_e32 v31, v23
	v_addc_co_u32_e32 v39, vcc, v26, v33, vcc
	v_lshlrev_b64 v[30:31], 4, v[30:31]
	v_add_co_u32_e32 v50, vcc, s12, v34
	v_mov_b32_e32 v21, v23
	v_addc_co_u32_e32 v51, vcc, v28, v35, vcc
	v_lshlrev_b64 v[36:37], 4, v[20:21]
	v_add_co_u32_e32 v46, vcc, s12, v30
	v_addc_co_u32_e32 v47, vcc, v28, v31, vcc
	v_add_co_u32_e32 v52, vcc, s12, v36
	v_addc_co_u32_e32 v53, vcc, v28, v37, vcc
	global_load_dword v11, v[38:39], off
	global_load_dwordx4 v[30:33], v[50:51], off
	global_load_dwordx4 v[34:37], v[50:51], off offset:16
	v_mov_b32_e32 v25, v23
	v_add_u32_e32 v22, -8, v20
	v_lshlrev_b64 v[21:22], 4, v[22:23]
	v_add_u32_e32 v10, 4, v10
	s_waitcnt vmcnt(2)
	v_subrev_u32_e32 v11, s16, v11
	v_mul_lo_u32 v24, v11, 10
	v_lshlrev_b64 v[38:39], 4, v[24:25]
	v_add_co_u32_e32 v48, vcc, s14, v38
	v_addc_co_u32_e32 v49, vcc, v29, v39, vcc
	global_load_dwordx4 v[38:41], v[48:49], off
	global_load_dwordx4 v[42:45], v[48:49], off offset:16
	s_waitcnt vmcnt(1)
	v_fma_f64 v[18:19], v[30:31], v[38:39], v[18:19]
	v_fma_f64 v[11:12], v[32:33], v[38:39], v[12:13]
	v_fma_f64 v[54:55], -v[32:33], v[40:41], v[18:19]
	v_fma_f64 v[56:57], v[30:31], v[40:41], v[11:12]
	global_load_dwordx4 v[30:33], v[46:47], off
	v_add_co_u32_e32 v11, vcc, s12, v21
	v_addc_co_u32_e32 v12, vcc, v28, v22, vcc
	global_load_dwordx4 v[46:49], v[11:12], off
	v_add_u32_e32 v22, 2, v24
	s_waitcnt vmcnt(1)
	v_fma_f64 v[11:12], v[30:31], v[38:39], v[16:17]
	v_fma_f64 v[13:14], v[32:33], v[38:39], v[14:15]
	v_fma_f64 v[38:39], -v[32:33], v[40:41], v[11:12]
	v_fma_f64 v[40:41], v[30:31], v[40:41], v[13:14]
	global_load_dwordx4 v[11:14], v[50:51], off offset:32
	global_load_dwordx4 v[15:18], v[50:51], off offset:48
	global_load_dwordx4 v[30:33], v[52:53], off
	v_fma_f64 v[52:53], v[36:37], v[42:43], v[56:57]
	v_fma_f64 v[50:51], v[34:35], v[42:43], v[54:55]
	;; [unrolled: 1-line block ×3, first 2 shown]
	v_lshlrev_b64 v[34:35], 4, v[22:23]
	v_fma_f64 v[50:51], -v[36:37], v[44:45], v[50:51]
	v_add_co_u32_e32 v54, vcc, s14, v34
	v_addc_co_u32_e32 v55, vcc, v29, v35, vcc
	s_waitcnt vmcnt(3)
	v_fma_f64 v[34:35], v[46:47], v[42:43], v[38:39]
	v_fma_f64 v[36:37], v[48:49], v[42:43], v[40:41]
	global_load_dwordx4 v[38:41], v[54:55], off offset:16
	v_add_u32_e32 v22, -7, v20
	v_lshlrev_b64 v[56:57], 4, v[22:23]
	v_add_u32_e32 v22, -6, v20
	v_lshlrev_b64 v[42:43], 4, v[22:23]
	v_add_u32_e32 v22, -15, v20
	v_fma_f64 v[48:49], -v[48:49], v[44:45], v[34:35]
	v_fma_f64 v[46:47], v[46:47], v[44:45], v[36:37]
	global_load_dwordx4 v[34:37], v[54:55], off
	v_add_co_u32_e32 v44, vcc, s12, v56
	v_addc_co_u32_e32 v45, vcc, v28, v57, vcc
	v_add_co_u32_e32 v42, vcc, s12, v42
	v_addc_co_u32_e32 v43, vcc, v28, v43, vcc
	s_waitcnt vmcnt(0)
	v_fma_f64 v[50:51], v[11:12], v[34:35], v[50:51]
	v_fma_f64 v[52:53], v[13:14], v[34:35], v[52:53]
	v_fma_f64 v[50:51], -v[13:14], v[36:37], v[50:51]
	v_fma_f64 v[52:53], v[11:12], v[36:37], v[52:53]
	global_load_dwordx4 v[11:14], v[44:45], off
	v_fma_f64 v[50:51], v[15:16], v[38:39], v[50:51]
	global_load_dwordx4 v[42:45], v[42:43], off
	v_fma_f64 v[52:53], v[17:18], v[38:39], v[52:53]
	v_fma_f64 v[50:51], -v[17:18], v[40:41], v[50:51]
	v_fma_f64 v[52:53], v[15:16], v[40:41], v[52:53]
	s_waitcnt vmcnt(1)
	v_fma_f64 v[48:49], v[11:12], v[34:35], v[48:49]
	v_fma_f64 v[34:35], v[13:14], v[34:35], v[46:47]
	v_fma_f64 v[46:47], -v[13:14], v[36:37], v[48:49]
	v_fma_f64 v[34:35], v[11:12], v[36:37], v[34:35]
	v_lshlrev_b64 v[11:12], 4, v[22:23]
	v_add_u32_e32 v22, 4, v24
	v_lshlrev_b64 v[13:14], 4, v[22:23]
	v_add_co_u32_e32 v11, vcc, s12, v11
	v_addc_co_u32_e32 v12, vcc, v28, v12, vcc
	s_waitcnt vmcnt(0)
	v_fma_f64 v[15:16], v[42:43], v[38:39], v[46:47]
	v_fma_f64 v[17:18], v[44:45], v[38:39], v[34:35]
	v_add_co_u32_e32 v48, vcc, s14, v13
	v_addc_co_u32_e32 v49, vcc, v29, v14, vcc
	global_load_dwordx4 v[11:14], v[11:12], off
	v_add_u32_e32 v22, -5, v20
	v_fma_f64 v[44:45], -v[44:45], v[40:41], v[15:16]
	v_fma_f64 v[42:43], v[42:43], v[40:41], v[17:18]
	global_load_dwordx4 v[15:18], v[48:49], off
	v_lshlrev_b64 v[36:37], 4, v[22:23]
	v_add_u32_e32 v22, -14, v20
	v_add_co_u32_e32 v38, vcc, s12, v36
	v_addc_co_u32_e32 v39, vcc, v28, v37, vcc
	global_load_dwordx4 v[38:41], v[38:39], off
	v_lshlrev_b64 v[54:55], 4, v[22:23]
	global_load_dwordx4 v[34:37], v[48:49], off offset:16
	v_add_co_u32_e32 v48, vcc, s12, v54
	v_addc_co_u32_e32 v49, vcc, v28, v55, vcc
	v_add_u32_e32 v22, -4, v20
	v_lshlrev_b64 v[46:47], 4, v[22:23]
	v_add_u32_e32 v22, -13, v20
	v_add_co_u32_e32 v46, vcc, s12, v46
	v_addc_co_u32_e32 v47, vcc, v28, v47, vcc
	v_lshlrev_b64 v[54:55], 4, v[22:23]
	v_add_u32_e32 v22, 6, v24
	s_waitcnt vmcnt(2)
	v_fma_f64 v[50:51], v[11:12], v[15:16], v[50:51]
	v_fma_f64 v[52:53], v[13:14], v[15:16], v[52:53]
	s_waitcnt vmcnt(1)
	v_fma_f64 v[44:45], v[38:39], v[15:16], v[44:45]
	v_fma_f64 v[50:51], -v[13:14], v[17:18], v[50:51]
	v_fma_f64 v[52:53], v[11:12], v[17:18], v[52:53]
	global_load_dwordx4 v[11:14], v[48:49], off
	v_fma_f64 v[15:16], v[40:41], v[15:16], v[42:43]
	v_fma_f64 v[42:43], -v[40:41], v[17:18], v[44:45]
	v_add_co_u32_e32 v40, vcc, s12, v54
	v_addc_co_u32_e32 v41, vcc, v28, v55, vcc
	v_fma_f64 v[44:45], v[38:39], v[17:18], v[15:16]
	global_load_dwordx4 v[15:18], v[46:47], off
	v_lshlrev_b64 v[38:39], 4, v[22:23]
	v_add_u32_e32 v22, -3, v20
	v_add_co_u32_e32 v48, vcc, s14, v38
	v_addc_co_u32_e32 v49, vcc, v29, v39, vcc
	global_load_dwordx4 v[38:41], v[40:41], off
	v_lshlrev_b64 v[46:47], 4, v[22:23]
	v_add_u32_e32 v22, -12, v20
	v_lshlrev_b64 v[54:55], 4, v[22:23]
	v_add_u32_e32 v22, -2, v20
	s_waitcnt vmcnt(2)
	v_fma_f64 v[50:51], v[11:12], v[34:35], v[50:51]
	v_fma_f64 v[52:53], v[13:14], v[34:35], v[52:53]
	v_fma_f64 v[50:51], -v[13:14], v[36:37], v[50:51]
	v_fma_f64 v[52:53], v[11:12], v[36:37], v[52:53]
	s_waitcnt vmcnt(1)
	v_fma_f64 v[11:12], v[15:16], v[34:35], v[42:43]
	v_fma_f64 v[13:14], v[17:18], v[34:35], v[44:45]
	v_add_co_u32_e32 v34, vcc, s12, v46
	v_addc_co_u32_e32 v35, vcc, v28, v47, vcc
	v_lshlrev_b64 v[46:47], 4, v[22:23]
	v_add_u32_e32 v22, -11, v20
	v_fma_f64 v[42:43], -v[17:18], v[36:37], v[11:12]
	v_fma_f64 v[44:45], v[15:16], v[36:37], v[13:14]
	global_load_dwordx4 v[11:14], v[48:49], off
	global_load_dwordx4 v[15:18], v[48:49], off offset:16
	v_add_co_u32_e32 v48, vcc, s12, v54
	global_load_dwordx4 v[34:37], v[34:35], off
	v_addc_co_u32_e32 v49, vcc, v28, v55, vcc
	v_lshlrev_b64 v[54:55], 4, v[22:23]
	v_add_u32_e32 v22, 8, v24
	v_add_co_u32_e32 v46, vcc, s12, v46
	v_addc_co_u32_e32 v47, vcc, v28, v47, vcc
	s_waitcnt vmcnt(2)
	v_fma_f64 v[24:25], v[38:39], v[11:12], v[50:51]
	v_fma_f64 v[50:51], v[40:41], v[11:12], v[52:53]
	s_waitcnt vmcnt(0)
	v_fma_f64 v[42:43], v[34:35], v[11:12], v[42:43]
	v_fma_f64 v[11:12], v[36:37], v[11:12], v[44:45]
	v_fma_f64 v[24:25], -v[40:41], v[13:14], v[24:25]
	v_fma_f64 v[50:51], v[38:39], v[13:14], v[50:51]
	global_load_dwordx4 v[38:41], v[48:49], off
	v_fma_f64 v[52:53], -v[36:37], v[13:14], v[42:43]
	v_fma_f64 v[56:57], v[34:35], v[13:14], v[11:12]
	global_load_dwordx4 v[11:14], v[46:47], off
	v_lshlrev_b64 v[48:49], 4, v[22:23]
	v_add_co_u32_e32 v34, vcc, s12, v54
	v_add_u32_e32 v22, -1, v20
	v_addc_co_u32_e32 v35, vcc, v28, v55, vcc
	v_lshlrev_b64 v[42:43], 4, v[22:23]
	v_add_co_u32_e32 v46, vcc, s14, v48
	v_addc_co_u32_e32 v47, vcc, v29, v49, vcc
	v_add_co_u32_e32 v42, vcc, s12, v42
	v_addc_co_u32_e32 v43, vcc, v28, v43, vcc
	global_load_dwordx4 v[34:37], v[34:35], off
	v_add_u32_e32 v22, -10, v20
	v_add_u32_e32 v20, 0x50, v20
	s_waitcnt vmcnt(2)
	v_fma_f64 v[24:25], v[38:39], v[15:16], v[24:25]
	v_fma_f64 v[44:45], v[40:41], v[15:16], v[50:51]
	s_waitcnt vmcnt(1)
	v_fma_f64 v[50:51], v[11:12], v[15:16], v[52:53]
	v_fma_f64 v[15:16], v[13:14], v[15:16], v[56:57]
	v_fma_f64 v[24:25], -v[40:41], v[17:18], v[24:25]
	v_fma_f64 v[48:49], v[38:39], v[17:18], v[44:45]
	global_load_dwordx4 v[38:41], v[46:47], off
	v_fma_f64 v[50:51], -v[13:14], v[17:18], v[50:51]
	global_load_dwordx4 v[42:45], v[42:43], off
	v_fma_f64 v[52:53], v[11:12], v[17:18], v[15:16]
	v_lshlrev_b64 v[16:17], 4, v[22:23]
	global_load_dwordx4 v[12:15], v[46:47], off offset:16
	v_add_co_u32_e32 v16, vcc, s12, v16
	v_addc_co_u32_e32 v17, vcc, v28, v17, vcc
	global_load_dwordx4 v[16:19], v[16:17], off
	v_cmp_ge_i32_e32 vcc, v10, v27
	s_or_b64 s[0:1], vcc, s[0:1]
	s_waitcnt vmcnt(3)
	v_fma_f64 v[21:22], v[34:35], v[38:39], v[24:25]
	v_fma_f64 v[24:25], v[36:37], v[38:39], v[48:49]
	s_waitcnt vmcnt(2)
	v_fma_f64 v[46:47], v[42:43], v[38:39], v[50:51]
	v_fma_f64 v[38:39], v[44:45], v[38:39], v[52:53]
	v_fma_f64 v[21:22], -v[36:37], v[40:41], v[21:22]
	v_fma_f64 v[24:25], v[34:35], v[40:41], v[24:25]
	v_fma_f64 v[34:35], -v[44:45], v[40:41], v[46:47]
	v_fma_f64 v[36:37], v[42:43], v[40:41], v[38:39]
	s_waitcnt vmcnt(0)
	v_fma_f64 v[21:22], v[16:17], v[12:13], v[21:22]
	v_fma_f64 v[24:25], v[18:19], v[12:13], v[24:25]
	;; [unrolled: 1-line block ×4, first 2 shown]
	v_fma_f64 v[18:19], -v[18:19], v[14:15], v[21:22]
	v_fma_f64 v[12:13], v[16:17], v[14:15], v[24:25]
	v_fma_f64 v[16:17], -v[32:33], v[14:15], v[34:35]
	v_fma_f64 v[14:15], v[30:31], v[14:15], v[36:37]
	s_andn2_b64 exec, exec, s[0:1]
	s_cbranch_execnz .LBB268_13
; %bb.14:
	s_or_b64 exec, exec, s[0:1]
.LBB268_15:
	s_or_b64 exec, exec, s[2:3]
.LBB268_16:
	v_mov_b32_dpp v10, v18 row_shr:1 row_mask:0xf bank_mask:0xf
	v_mov_b32_dpp v11, v19 row_shr:1 row_mask:0xf bank_mask:0xf
	v_add_f64 v[10:11], v[18:19], v[10:11]
	v_mov_b32_dpp v18, v12 row_shr:1 row_mask:0xf bank_mask:0xf
	v_mov_b32_dpp v19, v13 row_shr:1 row_mask:0xf bank_mask:0xf
	v_add_f64 v[12:13], v[12:13], v[18:19]
	;; [unrolled: 3-line block ×4, first 2 shown]
	v_mov_b32_dpp v24, v10 row_shr:2 row_mask:0xf bank_mask:0xf
	v_mov_b32_dpp v25, v11 row_shr:2 row_mask:0xf bank_mask:0xf
	;; [unrolled: 1-line block ×6, first 2 shown]
	v_cmp_eq_u32_e32 vcc, 3, v0
	v_mov_b32_dpp v20, v14 row_shr:2 row_mask:0xf bank_mask:0xf
	v_mov_b32_dpp v21, v15 row_shr:2 row_mask:0xf bank_mask:0xf
	s_and_b64 exec, exec, vcc
	s_cbranch_execz .LBB268_21
; %bb.17:
	v_cmp_eq_f64_e32 vcc, 0, v[5:6]
	v_cmp_eq_f64_e64 s[0:1], 0, v[7:8]
	v_add_f64 v[10:11], v[10:11], v[24:25]
	v_add_f64 v[16:17], v[12:13], v[16:17]
	;; [unrolled: 1-line block ×4, first 2 shown]
	s_load_dwordx2 s[2:3], s[4:5], 0x48
	s_and_b64 s[0:1], vcc, s[0:1]
	s_and_saveexec_b64 s[4:5], s[0:1]
	s_xor_b64 s[0:1], exec, s[4:5]
	s_cbranch_execz .LBB268_19
; %bb.18:
	v_mul_f64 v[5:6], v[16:17], -v[3:4]
	v_mul_f64 v[7:8], v[1:2], v[16:17]
	v_mul_f64 v[16:17], v[14:15], -v[3:4]
	v_mul_f64 v[14:15], v[1:2], v[14:15]
	v_lshlrev_b32_e32 v9, 1, v9
	s_waitcnt lgkmcnt(0)
	v_mov_b32_e32 v18, s3
	v_fma_f64 v[5:6], v[1:2], v[10:11], v[5:6]
	v_fma_f64 v[7:8], v[3:4], v[10:11], v[7:8]
	;; [unrolled: 1-line block ×4, first 2 shown]
	v_ashrrev_i32_e32 v10, 31, v9
	v_lshlrev_b64 v[9:10], 4, v[9:10]
                                        ; implicit-def: $vgpr16_vgpr17
                                        ; implicit-def: $vgpr12_vgpr13
                                        ; implicit-def: $vgpr14_vgpr15
	v_add_co_u32_e32 v9, vcc, s2, v9
	v_addc_co_u32_e32 v10, vcc, v18, v10, vcc
	global_store_dwordx4 v[9:10], v[5:8], off
	global_store_dwordx4 v[9:10], v[0:3], off offset:16
                                        ; implicit-def: $vgpr9
                                        ; implicit-def: $vgpr10_vgpr11
                                        ; implicit-def: $vgpr7_vgpr8
                                        ; implicit-def: $vgpr3_vgpr4
.LBB268_19:
	s_andn2_saveexec_b64 s[0:1], s[0:1]
	s_cbranch_execz .LBB268_21
; %bb.20:
	v_lshlrev_b32_e32 v18, 1, v9
	v_ashrrev_i32_e32 v19, 31, v18
	v_lshlrev_b64 v[18:19], 4, v[18:19]
	s_waitcnt lgkmcnt(0)
	v_mov_b32_e32 v0, s3
	v_add_co_u32_e32 v26, vcc, s2, v18
	v_addc_co_u32_e32 v27, vcc, v0, v19, vcc
	global_load_dwordx4 v[18:21], v[26:27], off
	global_load_dwordx4 v[22:25], v[26:27], off offset:16
	v_mul_f64 v[28:29], v[16:17], -v[3:4]
	v_mul_f64 v[16:17], v[1:2], v[16:17]
	v_mul_f64 v[30:31], v[14:15], -v[3:4]
	v_mul_f64 v[14:15], v[1:2], v[14:15]
	v_fma_f64 v[28:29], v[1:2], v[10:11], v[28:29]
	v_fma_f64 v[9:10], v[3:4], v[10:11], v[16:17]
	;; [unrolled: 1-line block ×4, first 2 shown]
	s_waitcnt vmcnt(1)
	v_fma_f64 v[11:12], v[5:6], v[18:19], v[28:29]
	v_fma_f64 v[9:10], v[7:8], v[18:19], v[9:10]
	s_waitcnt vmcnt(0)
	v_fma_f64 v[13:14], v[5:6], v[22:23], v[0:1]
	v_fma_f64 v[15:16], v[7:8], v[22:23], v[2:3]
	v_fma_f64 v[0:1], -v[7:8], v[20:21], v[11:12]
	v_fma_f64 v[2:3], v[5:6], v[20:21], v[9:10]
	v_fma_f64 v[7:8], -v[7:8], v[24:25], v[13:14]
	v_fma_f64 v[9:10], v[5:6], v[24:25], v[15:16]
	global_store_dwordx4 v[26:27], v[0:3], off
	global_store_dwordx4 v[26:27], v[7:10], off offset:16
.LBB268_21:
	s_endpgm
	.section	.rodata,"a",@progbits
	.p2align	6, 0x0
	.amdhsa_kernel _ZN9rocsparseL19gebsrmvn_2xn_kernelILj128ELj10ELj4E21rocsparse_complex_numIdEEEvi20rocsparse_direction_NS_24const_host_device_scalarIT2_EEPKiS8_PKS5_SA_S6_PS5_21rocsparse_index_base_b
		.amdhsa_group_segment_fixed_size 0
		.amdhsa_private_segment_fixed_size 0
		.amdhsa_kernarg_size 88
		.amdhsa_user_sgpr_count 6
		.amdhsa_user_sgpr_private_segment_buffer 1
		.amdhsa_user_sgpr_dispatch_ptr 0
		.amdhsa_user_sgpr_queue_ptr 0
		.amdhsa_user_sgpr_kernarg_segment_ptr 1
		.amdhsa_user_sgpr_dispatch_id 0
		.amdhsa_user_sgpr_flat_scratch_init 0
		.amdhsa_user_sgpr_private_segment_size 0
		.amdhsa_uses_dynamic_stack 0
		.amdhsa_system_sgpr_private_segment_wavefront_offset 0
		.amdhsa_system_sgpr_workgroup_id_x 1
		.amdhsa_system_sgpr_workgroup_id_y 0
		.amdhsa_system_sgpr_workgroup_id_z 0
		.amdhsa_system_sgpr_workgroup_info 0
		.amdhsa_system_vgpr_workitem_id 0
		.amdhsa_next_free_vgpr 58
		.amdhsa_next_free_sgpr 20
		.amdhsa_reserve_vcc 1
		.amdhsa_reserve_flat_scratch 0
		.amdhsa_float_round_mode_32 0
		.amdhsa_float_round_mode_16_64 0
		.amdhsa_float_denorm_mode_32 3
		.amdhsa_float_denorm_mode_16_64 3
		.amdhsa_dx10_clamp 1
		.amdhsa_ieee_mode 1
		.amdhsa_fp16_overflow 0
		.amdhsa_exception_fp_ieee_invalid_op 0
		.amdhsa_exception_fp_denorm_src 0
		.amdhsa_exception_fp_ieee_div_zero 0
		.amdhsa_exception_fp_ieee_overflow 0
		.amdhsa_exception_fp_ieee_underflow 0
		.amdhsa_exception_fp_ieee_inexact 0
		.amdhsa_exception_int_div_zero 0
	.end_amdhsa_kernel
	.section	.text._ZN9rocsparseL19gebsrmvn_2xn_kernelILj128ELj10ELj4E21rocsparse_complex_numIdEEEvi20rocsparse_direction_NS_24const_host_device_scalarIT2_EEPKiS8_PKS5_SA_S6_PS5_21rocsparse_index_base_b,"axG",@progbits,_ZN9rocsparseL19gebsrmvn_2xn_kernelILj128ELj10ELj4E21rocsparse_complex_numIdEEEvi20rocsparse_direction_NS_24const_host_device_scalarIT2_EEPKiS8_PKS5_SA_S6_PS5_21rocsparse_index_base_b,comdat
.Lfunc_end268:
	.size	_ZN9rocsparseL19gebsrmvn_2xn_kernelILj128ELj10ELj4E21rocsparse_complex_numIdEEEvi20rocsparse_direction_NS_24const_host_device_scalarIT2_EEPKiS8_PKS5_SA_S6_PS5_21rocsparse_index_base_b, .Lfunc_end268-_ZN9rocsparseL19gebsrmvn_2xn_kernelILj128ELj10ELj4E21rocsparse_complex_numIdEEEvi20rocsparse_direction_NS_24const_host_device_scalarIT2_EEPKiS8_PKS5_SA_S6_PS5_21rocsparse_index_base_b
                                        ; -- End function
	.set _ZN9rocsparseL19gebsrmvn_2xn_kernelILj128ELj10ELj4E21rocsparse_complex_numIdEEEvi20rocsparse_direction_NS_24const_host_device_scalarIT2_EEPKiS8_PKS5_SA_S6_PS5_21rocsparse_index_base_b.num_vgpr, 58
	.set _ZN9rocsparseL19gebsrmvn_2xn_kernelILj128ELj10ELj4E21rocsparse_complex_numIdEEEvi20rocsparse_direction_NS_24const_host_device_scalarIT2_EEPKiS8_PKS5_SA_S6_PS5_21rocsparse_index_base_b.num_agpr, 0
	.set _ZN9rocsparseL19gebsrmvn_2xn_kernelILj128ELj10ELj4E21rocsparse_complex_numIdEEEvi20rocsparse_direction_NS_24const_host_device_scalarIT2_EEPKiS8_PKS5_SA_S6_PS5_21rocsparse_index_base_b.numbered_sgpr, 20
	.set _ZN9rocsparseL19gebsrmvn_2xn_kernelILj128ELj10ELj4E21rocsparse_complex_numIdEEEvi20rocsparse_direction_NS_24const_host_device_scalarIT2_EEPKiS8_PKS5_SA_S6_PS5_21rocsparse_index_base_b.num_named_barrier, 0
	.set _ZN9rocsparseL19gebsrmvn_2xn_kernelILj128ELj10ELj4E21rocsparse_complex_numIdEEEvi20rocsparse_direction_NS_24const_host_device_scalarIT2_EEPKiS8_PKS5_SA_S6_PS5_21rocsparse_index_base_b.private_seg_size, 0
	.set _ZN9rocsparseL19gebsrmvn_2xn_kernelILj128ELj10ELj4E21rocsparse_complex_numIdEEEvi20rocsparse_direction_NS_24const_host_device_scalarIT2_EEPKiS8_PKS5_SA_S6_PS5_21rocsparse_index_base_b.uses_vcc, 1
	.set _ZN9rocsparseL19gebsrmvn_2xn_kernelILj128ELj10ELj4E21rocsparse_complex_numIdEEEvi20rocsparse_direction_NS_24const_host_device_scalarIT2_EEPKiS8_PKS5_SA_S6_PS5_21rocsparse_index_base_b.uses_flat_scratch, 0
	.set _ZN9rocsparseL19gebsrmvn_2xn_kernelILj128ELj10ELj4E21rocsparse_complex_numIdEEEvi20rocsparse_direction_NS_24const_host_device_scalarIT2_EEPKiS8_PKS5_SA_S6_PS5_21rocsparse_index_base_b.has_dyn_sized_stack, 0
	.set _ZN9rocsparseL19gebsrmvn_2xn_kernelILj128ELj10ELj4E21rocsparse_complex_numIdEEEvi20rocsparse_direction_NS_24const_host_device_scalarIT2_EEPKiS8_PKS5_SA_S6_PS5_21rocsparse_index_base_b.has_recursion, 0
	.set _ZN9rocsparseL19gebsrmvn_2xn_kernelILj128ELj10ELj4E21rocsparse_complex_numIdEEEvi20rocsparse_direction_NS_24const_host_device_scalarIT2_EEPKiS8_PKS5_SA_S6_PS5_21rocsparse_index_base_b.has_indirect_call, 0
	.section	.AMDGPU.csdata,"",@progbits
; Kernel info:
; codeLenInByte = 3844
; TotalNumSgprs: 24
; NumVgprs: 58
; ScratchSize: 0
; MemoryBound: 1
; FloatMode: 240
; IeeeMode: 1
; LDSByteSize: 0 bytes/workgroup (compile time only)
; SGPRBlocks: 2
; VGPRBlocks: 14
; NumSGPRsForWavesPerEU: 24
; NumVGPRsForWavesPerEU: 58
; Occupancy: 4
; WaveLimiterHint : 1
; COMPUTE_PGM_RSRC2:SCRATCH_EN: 0
; COMPUTE_PGM_RSRC2:USER_SGPR: 6
; COMPUTE_PGM_RSRC2:TRAP_HANDLER: 0
; COMPUTE_PGM_RSRC2:TGID_X_EN: 1
; COMPUTE_PGM_RSRC2:TGID_Y_EN: 0
; COMPUTE_PGM_RSRC2:TGID_Z_EN: 0
; COMPUTE_PGM_RSRC2:TIDIG_COMP_CNT: 0
	.section	.text._ZN9rocsparseL19gebsrmvn_2xn_kernelILj128ELj10ELj8E21rocsparse_complex_numIdEEEvi20rocsparse_direction_NS_24const_host_device_scalarIT2_EEPKiS8_PKS5_SA_S6_PS5_21rocsparse_index_base_b,"axG",@progbits,_ZN9rocsparseL19gebsrmvn_2xn_kernelILj128ELj10ELj8E21rocsparse_complex_numIdEEEvi20rocsparse_direction_NS_24const_host_device_scalarIT2_EEPKiS8_PKS5_SA_S6_PS5_21rocsparse_index_base_b,comdat
	.globl	_ZN9rocsparseL19gebsrmvn_2xn_kernelILj128ELj10ELj8E21rocsparse_complex_numIdEEEvi20rocsparse_direction_NS_24const_host_device_scalarIT2_EEPKiS8_PKS5_SA_S6_PS5_21rocsparse_index_base_b ; -- Begin function _ZN9rocsparseL19gebsrmvn_2xn_kernelILj128ELj10ELj8E21rocsparse_complex_numIdEEEvi20rocsparse_direction_NS_24const_host_device_scalarIT2_EEPKiS8_PKS5_SA_S6_PS5_21rocsparse_index_base_b
	.p2align	8
	.type	_ZN9rocsparseL19gebsrmvn_2xn_kernelILj128ELj10ELj8E21rocsparse_complex_numIdEEEvi20rocsparse_direction_NS_24const_host_device_scalarIT2_EEPKiS8_PKS5_SA_S6_PS5_21rocsparse_index_base_b,@function
_ZN9rocsparseL19gebsrmvn_2xn_kernelILj128ELj10ELj8E21rocsparse_complex_numIdEEEvi20rocsparse_direction_NS_24const_host_device_scalarIT2_EEPKiS8_PKS5_SA_S6_PS5_21rocsparse_index_base_b: ; @_ZN9rocsparseL19gebsrmvn_2xn_kernelILj128ELj10ELj8E21rocsparse_complex_numIdEEEvi20rocsparse_direction_NS_24const_host_device_scalarIT2_EEPKiS8_PKS5_SA_S6_PS5_21rocsparse_index_base_b
; %bb.0:
	s_load_dwordx2 s[0:1], s[4:5], 0x8
	s_load_dwordx2 s[2:3], s[4:5], 0x38
	;; [unrolled: 1-line block ×3, first 2 shown]
	s_add_u32 s7, s4, 8
	s_addc_u32 s8, s5, 0
	s_add_u32 s9, s4, 56
	s_addc_u32 s10, s5, 0
	s_waitcnt lgkmcnt(0)
	s_bitcmp1_b32 s17, 0
	s_cselect_b32 s1, s8, s1
	s_cselect_b32 s0, s7, s0
	v_mov_b32_e32 v1, s0
	v_mov_b32_e32 v2, s1
	flat_load_dwordx4 v[1:4], v[1:2]
	s_cselect_b32 s0, s10, s3
	s_cselect_b32 s1, s9, s2
	v_mov_b32_e32 v5, s1
	v_mov_b32_e32 v6, s0
	flat_load_dwordx4 v[5:8], v[5:6]
	s_waitcnt vmcnt(0) lgkmcnt(0)
	v_cmp_eq_f64_e32 vcc, 0, v[1:2]
	v_cmp_eq_f64_e64 s[0:1], 0, v[3:4]
	s_and_b64 s[8:9], vcc, s[0:1]
	s_mov_b64 s[0:1], -1
	s_and_saveexec_b64 s[2:3], s[8:9]
	s_cbranch_execz .LBB269_2
; %bb.1:
	v_cmp_neq_f64_e32 vcc, 1.0, v[5:6]
	v_cmp_neq_f64_e64 s[0:1], 0, v[7:8]
	s_or_b64 s[0:1], vcc, s[0:1]
	s_orn2_b64 s[0:1], s[0:1], exec
.LBB269_2:
	s_or_b64 exec, exec, s[2:3]
	s_and_saveexec_b64 s[2:3], s[0:1]
	s_cbranch_execz .LBB269_21
; %bb.3:
	s_load_dwordx2 s[0:1], s[4:5], 0x0
	v_lshrrev_b32_e32 v9, 3, v0
	v_lshl_or_b32 v9, s6, 4, v9
	s_waitcnt lgkmcnt(0)
	v_cmp_gt_i32_e32 vcc, s0, v9
	s_and_b64 exec, exec, vcc
	s_cbranch_execz .LBB269_21
; %bb.4:
	s_load_dwordx8 s[8:15], s[4:5], 0x18
	v_ashrrev_i32_e32 v10, 31, v9
	v_lshlrev_b64 v[10:11], 2, v[9:10]
	v_and_b32_e32 v0, 7, v0
	s_cmp_lg_u32 s1, 0
	s_waitcnt lgkmcnt(0)
	v_mov_b32_e32 v12, s9
	v_add_co_u32_e32 v10, vcc, s8, v10
	v_addc_co_u32_e32 v11, vcc, v12, v11, vcc
	global_load_dwordx2 v[10:11], v[10:11], off
	s_waitcnt vmcnt(0)
	v_subrev_u32_e32 v10, s16, v10
	v_subrev_u32_e32 v27, s16, v11
	v_add_u32_e32 v10, v10, v0
	v_cmp_lt_i32_e64 s[0:1], v10, v27
	s_cbranch_scc0 .LBB269_10
; %bb.5:
	v_mov_b32_e32 v14, 0
	v_mov_b32_e32 v18, 0
	;; [unrolled: 1-line block ×8, first 2 shown]
	s_and_saveexec_b64 s[8:9], s[0:1]
	s_cbranch_execz .LBB269_9
; %bb.6:
	v_mad_u64_u32 v[20:21], s[2:3], v10, 20, 18
	v_mov_b32_e32 v14, 0
	v_mov_b32_e32 v18, 0
	;; [unrolled: 1-line block ×5, first 2 shown]
	s_mov_b64 s[18:19], 0
	v_mov_b32_e32 v11, s11
	v_mov_b32_e32 v23, 0
	;; [unrolled: 1-line block ×8, first 2 shown]
.LBB269_7:                              ; =>This Inner Loop Header: Depth=1
	v_ashrrev_i32_e32 v25, 31, v24
	v_subrev_u32_e32 v22, 18, v20
	v_lshlrev_b64 v[30:31], 2, v[24:25]
	v_lshlrev_b64 v[32:33], 4, v[22:23]
	v_add_co_u32_e32 v36, vcc, s10, v30
	v_add_co_u32_e64 v38, s[2:3], s12, v32
	v_addc_co_u32_e32 v37, vcc, v11, v31, vcc
	v_addc_co_u32_e64 v39, vcc, v28, v33, s[2:3]
	global_load_dword v25, v[36:37], off
	global_load_dwordx4 v[30:33], v[38:39], off
	v_mov_b32_e32 v21, v23
	v_lshlrev_b64 v[34:35], 4, v[20:21]
	v_mov_b32_e32 v26, v23
	v_add_co_u32_e64 v40, s[6:7], s12, v34
	v_addc_co_u32_e64 v41, vcc, v28, v35, s[6:7]
	v_add_u32_e32 v22, -14, v20
	v_lshlrev_b64 v[21:22], 4, v[22:23]
	v_add_u32_e32 v24, 8, v24
	s_waitcnt vmcnt(1)
	v_subrev_u32_e32 v25, s16, v25
	v_mul_lo_u32 v25, v25, 10
	v_lshlrev_b64 v[34:35], 4, v[25:26]
	v_add_co_u32_e32 v42, vcc, s14, v34
	v_addc_co_u32_e32 v43, vcc, v29, v35, vcc
	global_load_dwordx4 v[34:37], v[42:43], off
	v_add_co_u32_e32 v21, vcc, s12, v21
	v_addc_co_u32_e32 v22, vcc, v28, v22, vcc
	s_waitcnt vmcnt(0)
	v_fma_f64 v[18:19], v[30:31], v[34:35], v[18:19]
	v_fma_f64 v[14:15], v[32:33], v[34:35], v[14:15]
	v_fma_f64 v[44:45], -v[32:33], v[36:37], v[18:19]
	v_fma_f64 v[46:47], v[30:31], v[36:37], v[14:15]
	global_load_dwordx4 v[30:33], v[38:39], off offset:16
	s_waitcnt vmcnt(0)
	v_fma_f64 v[14:15], v[30:31], v[34:35], v[16:17]
	v_fma_f64 v[12:13], v[32:33], v[34:35], v[12:13]
	v_fma_f64 v[34:35], -v[32:33], v[36:37], v[14:15]
	v_fma_f64 v[36:37], v[30:31], v[36:37], v[12:13]
	global_load_dwordx4 v[12:15], v[38:39], off offset:48
	global_load_dwordx4 v[16:19], v[38:39], off offset:32
	;; [unrolled: 1-line block ×3, first 2 shown]
	s_waitcnt vmcnt(0)
	v_fma_f64 v[38:39], v[16:17], v[30:31], v[44:45]
	v_fma_f64 v[42:43], v[18:19], v[30:31], v[46:47]
	;; [unrolled: 1-line block ×4, first 2 shown]
	v_fma_f64 v[38:39], -v[18:19], v[32:33], v[38:39]
	v_fma_f64 v[42:43], v[16:17], v[32:33], v[42:43]
	global_load_dwordx4 v[16:19], v[21:22], off offset:16
	v_fma_f64 v[34:35], -v[14:15], v[32:33], v[34:35]
	v_fma_f64 v[36:37], v[12:13], v[32:33], v[30:31]
	global_load_dwordx4 v[12:15], v[21:22], off
	v_add_u32_e32 v22, 2, v25
	v_lshlrev_b64 v[30:31], 4, v[22:23]
	v_add_u32_e32 v22, -12, v20
	v_add_co_u32_e32 v44, vcc, s14, v30
	v_addc_co_u32_e32 v45, vcc, v29, v31, vcc
	global_load_dwordx4 v[30:33], v[44:45], off
	v_lshlrev_b64 v[46:47], 4, v[22:23]
	v_add_u32_e32 v22, -10, v20
	v_lshlrev_b64 v[48:49], 4, v[22:23]
	v_add_u32_e32 v22, 4, v25
	s_waitcnt vmcnt(0)
	v_fma_f64 v[38:39], v[12:13], v[30:31], v[38:39]
	v_fma_f64 v[42:43], v[14:15], v[30:31], v[42:43]
	v_fma_f64 v[38:39], -v[14:15], v[32:33], v[38:39]
	v_fma_f64 v[42:43], v[12:13], v[32:33], v[42:43]
	v_fma_f64 v[12:13], v[16:17], v[30:31], v[34:35]
	;; [unrolled: 1-line block ×3, first 2 shown]
	v_add_co_u32_e32 v34, vcc, s12, v46
	v_addc_co_u32_e32 v35, vcc, v28, v47, vcc
	v_lshlrev_b64 v[36:37], 4, v[22:23]
	v_add_u32_e32 v22, -8, v20
	v_fma_f64 v[30:31], -v[18:19], v[32:33], v[12:13]
	v_fma_f64 v[32:33], v[16:17], v[32:33], v[14:15]
	global_load_dwordx4 v[12:15], v[44:45], off offset:16
	global_load_dwordx4 v[16:19], v[34:35], off
	v_add_co_u32_e32 v44, vcc, s12, v48
	v_addc_co_u32_e32 v45, vcc, v28, v49, vcc
	v_lshlrev_b64 v[46:47], 4, v[22:23]
	v_add_u32_e32 v22, -6, v20
	s_waitcnt vmcnt(0)
	v_fma_f64 v[38:39], v[16:17], v[12:13], v[38:39]
	v_fma_f64 v[42:43], v[18:19], v[12:13], v[42:43]
	v_fma_f64 v[38:39], -v[18:19], v[14:15], v[38:39]
	v_fma_f64 v[42:43], v[16:17], v[14:15], v[42:43]
	global_load_dwordx4 v[16:19], v[34:35], off offset:16
	v_add_co_u32_e32 v34, vcc, s14, v36
	v_addc_co_u32_e32 v35, vcc, v29, v37, vcc
	s_waitcnt vmcnt(0)
	v_fma_f64 v[30:31], v[16:17], v[12:13], v[30:31]
	v_fma_f64 v[12:13], v[18:19], v[12:13], v[32:33]
	v_fma_f64 v[30:31], -v[18:19], v[14:15], v[30:31]
	v_fma_f64 v[32:33], v[16:17], v[14:15], v[12:13]
	global_load_dwordx4 v[12:15], v[44:45], off
	global_load_dwordx4 v[16:19], v[34:35], off
	s_waitcnt vmcnt(0)
	v_fma_f64 v[36:37], v[12:13], v[16:17], v[38:39]
	v_fma_f64 v[38:39], v[14:15], v[16:17], v[42:43]
	v_lshlrev_b64 v[42:43], 4, v[22:23]
	v_add_u32_e32 v22, 6, v25
	v_lshlrev_b64 v[48:49], 4, v[22:23]
	v_add_u32_e32 v22, -4, v20
	v_fma_f64 v[36:37], -v[14:15], v[18:19], v[36:37]
	v_fma_f64 v[38:39], v[12:13], v[18:19], v[38:39]
	global_load_dwordx4 v[12:15], v[44:45], off offset:16
	v_add_co_u32_e32 v44, vcc, s12, v46
	v_addc_co_u32_e32 v45, vcc, v28, v47, vcc
	v_lshlrev_b64 v[46:47], 4, v[22:23]
	v_add_u32_e32 v22, -2, v20
	v_add_u32_e32 v20, 0xa0, v20
	s_waitcnt vmcnt(0)
	v_fma_f64 v[30:31], v[12:13], v[16:17], v[30:31]
	v_fma_f64 v[16:17], v[14:15], v[16:17], v[32:33]
	v_fma_f64 v[30:31], -v[14:15], v[18:19], v[30:31]
	v_fma_f64 v[32:33], v[12:13], v[18:19], v[16:17]
	global_load_dwordx4 v[12:15], v[34:35], off offset:16
	global_load_dwordx4 v[16:19], v[44:45], off
	s_waitcnt vmcnt(0)
	v_fma_f64 v[34:35], v[16:17], v[12:13], v[36:37]
	v_fma_f64 v[36:37], v[18:19], v[12:13], v[38:39]
	v_add_co_u32_e32 v38, vcc, s12, v42
	v_addc_co_u32_e32 v39, vcc, v28, v43, vcc
	v_add_co_u32_e32 v42, vcc, s14, v48
	v_fma_f64 v[34:35], -v[18:19], v[14:15], v[34:35]
	v_fma_f64 v[36:37], v[16:17], v[14:15], v[36:37]
	global_load_dwordx4 v[16:19], v[44:45], off offset:16
	v_addc_co_u32_e32 v43, vcc, v29, v49, vcc
	v_lshlrev_b64 v[44:45], 4, v[22:23]
	v_add_u32_e32 v22, 8, v25
	v_add_co_u32_e32 v21, vcc, s12, v46
	v_lshlrev_b64 v[48:49], 4, v[22:23]
	v_addc_co_u32_e32 v22, vcc, v28, v47, vcc
	s_waitcnt vmcnt(0)
	v_fma_f64 v[30:31], v[16:17], v[12:13], v[30:31]
	v_fma_f64 v[12:13], v[18:19], v[12:13], v[32:33]
	v_fma_f64 v[30:31], -v[18:19], v[14:15], v[30:31]
	v_fma_f64 v[32:33], v[16:17], v[14:15], v[12:13]
	global_load_dwordx4 v[12:15], v[38:39], off
	global_load_dwordx4 v[16:19], v[42:43], off
	s_waitcnt vmcnt(0)
	v_fma_f64 v[25:26], v[12:13], v[16:17], v[34:35]
	v_fma_f64 v[34:35], v[14:15], v[16:17], v[36:37]
	v_fma_f64 v[25:26], -v[14:15], v[18:19], v[25:26]
	v_fma_f64 v[34:35], v[12:13], v[18:19], v[34:35]
	global_load_dwordx4 v[12:15], v[38:39], off offset:16
	s_waitcnt vmcnt(0)
	v_fma_f64 v[30:31], v[12:13], v[16:17], v[30:31]
	v_fma_f64 v[16:17], v[14:15], v[16:17], v[32:33]
	v_fma_f64 v[36:37], -v[14:15], v[18:19], v[30:31]
	v_fma_f64 v[38:39], v[12:13], v[18:19], v[16:17]
	global_load_dwordx4 v[12:15], v[42:43], off offset:16
	global_load_dwordx4 v[16:19], v[21:22], off
	global_load_dwordx4 v[30:33], v[21:22], off offset:16
	v_add_co_u32_e32 v42, vcc, s12, v44
	v_addc_co_u32_e32 v43, vcc, v28, v45, vcc
	v_add_co_u32_e32 v44, vcc, s14, v48
	v_addc_co_u32_e32 v45, vcc, v29, v49, vcc
	v_cmp_ge_i32_e32 vcc, v24, v27
	s_or_b64 s[18:19], vcc, s[18:19]
	s_waitcnt vmcnt(1)
	v_fma_f64 v[21:22], v[16:17], v[12:13], v[25:26]
	v_fma_f64 v[25:26], v[18:19], v[12:13], v[34:35]
	v_fma_f64 v[21:22], -v[18:19], v[14:15], v[21:22]
	v_fma_f64 v[25:26], v[16:17], v[14:15], v[25:26]
	s_waitcnt vmcnt(0)
	v_fma_f64 v[16:17], v[30:31], v[12:13], v[36:37]
	v_fma_f64 v[12:13], v[32:33], v[12:13], v[38:39]
	v_fma_f64 v[38:39], -v[32:33], v[14:15], v[16:17]
	v_fma_f64 v[46:47], v[30:31], v[14:15], v[12:13]
	global_load_dwordx4 v[12:15], v[42:43], off offset:16
	global_load_dwordx4 v[16:19], v[42:43], off
	global_load_dwordx4 v[30:33], v[44:45], off
	s_waitcnt vmcnt(0)
	v_fma_f64 v[21:22], v[16:17], v[30:31], v[21:22]
	v_fma_f64 v[25:26], v[18:19], v[30:31], v[25:26]
	;; [unrolled: 1-line block ×4, first 2 shown]
	v_fma_f64 v[21:22], -v[18:19], v[32:33], v[21:22]
	v_fma_f64 v[25:26], v[16:17], v[32:33], v[25:26]
	global_load_dwordx4 v[16:19], v[40:41], off
	global_load_dwordx4 v[34:37], v[40:41], off offset:16
	v_fma_f64 v[14:15], -v[14:15], v[32:33], v[38:39]
	v_fma_f64 v[12:13], v[12:13], v[32:33], v[30:31]
	global_load_dwordx4 v[30:33], v[44:45], off offset:16
	s_waitcnt vmcnt(0)
	v_fma_f64 v[21:22], v[16:17], v[30:31], v[21:22]
	v_fma_f64 v[25:26], v[18:19], v[30:31], v[25:26]
	;; [unrolled: 1-line block ×4, first 2 shown]
	v_fma_f64 v[18:19], -v[18:19], v[32:33], v[21:22]
	v_fma_f64 v[14:15], v[16:17], v[32:33], v[25:26]
	v_fma_f64 v[16:17], -v[36:37], v[32:33], v[38:39]
	v_fma_f64 v[12:13], v[34:35], v[32:33], v[12:13]
	s_andn2_b64 exec, exec, s[18:19]
	s_cbranch_execnz .LBB269_7
; %bb.8:
	s_or_b64 exec, exec, s[18:19]
.LBB269_9:
	s_or_b64 exec, exec, s[8:9]
	s_cbranch_execz .LBB269_11
	s_branch .LBB269_16
.LBB269_10:
                                        ; implicit-def: $vgpr14_vgpr15
                                        ; implicit-def: $vgpr18_vgpr19
                                        ; implicit-def: $vgpr16_vgpr17
                                        ; implicit-def: $vgpr12_vgpr13
.LBB269_11:
	v_mov_b32_e32 v14, 0
	v_mov_b32_e32 v18, 0
	;; [unrolled: 1-line block ×8, first 2 shown]
	s_and_saveexec_b64 s[2:3], s[0:1]
	s_cbranch_execz .LBB269_15
; %bb.12:
	v_mad_u64_u32 v[20:21], s[0:1], v10, 20, 19
	v_mov_b32_e32 v14, 0
	v_mov_b32_e32 v18, 0
	v_mov_b32_e32 v16, 0
	v_mov_b32_e32 v12, 0
	v_mov_b32_e32 v15, 0
	s_mov_b64 s[0:1], 0
	v_mov_b32_e32 v26, s11
	v_mov_b32_e32 v23, 0
	;; [unrolled: 1-line block ×7, first 2 shown]
.LBB269_13:                             ; =>This Inner Loop Header: Depth=1
	v_ashrrev_i32_e32 v11, 31, v10
	v_lshlrev_b64 v[32:33], 2, v[10:11]
	v_subrev_u32_e32 v22, 19, v20
	v_lshlrev_b64 v[34:35], 4, v[22:23]
	v_add_co_u32_e32 v38, vcc, s10, v32
	v_add_u32_e32 v30, -9, v20
	v_mov_b32_e32 v31, v23
	v_addc_co_u32_e32 v39, vcc, v26, v33, vcc
	v_lshlrev_b64 v[30:31], 4, v[30:31]
	v_add_co_u32_e32 v50, vcc, s12, v34
	v_mov_b32_e32 v21, v23
	v_addc_co_u32_e32 v51, vcc, v28, v35, vcc
	v_lshlrev_b64 v[36:37], 4, v[20:21]
	v_add_co_u32_e32 v46, vcc, s12, v30
	v_addc_co_u32_e32 v47, vcc, v28, v31, vcc
	v_add_co_u32_e32 v52, vcc, s12, v36
	v_addc_co_u32_e32 v53, vcc, v28, v37, vcc
	global_load_dword v11, v[38:39], off
	global_load_dwordx4 v[30:33], v[50:51], off
	global_load_dwordx4 v[34:37], v[50:51], off offset:16
	v_mov_b32_e32 v25, v23
	v_add_u32_e32 v22, -8, v20
	v_lshlrev_b64 v[21:22], 4, v[22:23]
	v_add_u32_e32 v10, 8, v10
	s_waitcnt vmcnt(2)
	v_subrev_u32_e32 v11, s16, v11
	v_mul_lo_u32 v24, v11, 10
	v_lshlrev_b64 v[38:39], 4, v[24:25]
	v_add_co_u32_e32 v48, vcc, s14, v38
	v_addc_co_u32_e32 v49, vcc, v29, v39, vcc
	global_load_dwordx4 v[38:41], v[48:49], off
	global_load_dwordx4 v[42:45], v[48:49], off offset:16
	s_waitcnt vmcnt(1)
	v_fma_f64 v[18:19], v[30:31], v[38:39], v[18:19]
	v_fma_f64 v[14:15], v[32:33], v[38:39], v[14:15]
	v_fma_f64 v[54:55], -v[32:33], v[40:41], v[18:19]
	v_fma_f64 v[56:57], v[30:31], v[40:41], v[14:15]
	global_load_dwordx4 v[30:33], v[46:47], off
	v_add_co_u32_e32 v14, vcc, s12, v21
	v_addc_co_u32_e32 v15, vcc, v28, v22, vcc
	global_load_dwordx4 v[46:49], v[14:15], off
	v_add_u32_e32 v22, 2, v24
	s_waitcnt vmcnt(1)
	v_fma_f64 v[14:15], v[30:31], v[38:39], v[16:17]
	v_fma_f64 v[11:12], v[32:33], v[38:39], v[12:13]
	v_fma_f64 v[38:39], -v[32:33], v[40:41], v[14:15]
	v_fma_f64 v[40:41], v[30:31], v[40:41], v[11:12]
	global_load_dwordx4 v[11:14], v[50:51], off offset:32
	global_load_dwordx4 v[15:18], v[50:51], off offset:48
	global_load_dwordx4 v[30:33], v[52:53], off
	v_fma_f64 v[52:53], v[36:37], v[42:43], v[56:57]
	v_fma_f64 v[50:51], v[34:35], v[42:43], v[54:55]
	;; [unrolled: 1-line block ×3, first 2 shown]
	v_lshlrev_b64 v[34:35], 4, v[22:23]
	v_fma_f64 v[50:51], -v[36:37], v[44:45], v[50:51]
	v_add_co_u32_e32 v54, vcc, s14, v34
	v_addc_co_u32_e32 v55, vcc, v29, v35, vcc
	s_waitcnt vmcnt(3)
	v_fma_f64 v[34:35], v[46:47], v[42:43], v[38:39]
	v_fma_f64 v[36:37], v[48:49], v[42:43], v[40:41]
	global_load_dwordx4 v[38:41], v[54:55], off offset:16
	v_add_u32_e32 v22, -7, v20
	v_lshlrev_b64 v[56:57], 4, v[22:23]
	v_add_u32_e32 v22, -6, v20
	v_lshlrev_b64 v[42:43], 4, v[22:23]
	v_add_u32_e32 v22, -15, v20
	v_fma_f64 v[48:49], -v[48:49], v[44:45], v[34:35]
	v_fma_f64 v[46:47], v[46:47], v[44:45], v[36:37]
	global_load_dwordx4 v[34:37], v[54:55], off
	v_add_co_u32_e32 v44, vcc, s12, v56
	v_addc_co_u32_e32 v45, vcc, v28, v57, vcc
	v_add_co_u32_e32 v42, vcc, s12, v42
	v_addc_co_u32_e32 v43, vcc, v28, v43, vcc
	s_waitcnt vmcnt(0)
	v_fma_f64 v[50:51], v[11:12], v[34:35], v[50:51]
	v_fma_f64 v[52:53], v[13:14], v[34:35], v[52:53]
	v_fma_f64 v[50:51], -v[13:14], v[36:37], v[50:51]
	v_fma_f64 v[52:53], v[11:12], v[36:37], v[52:53]
	global_load_dwordx4 v[11:14], v[44:45], off
	v_fma_f64 v[50:51], v[15:16], v[38:39], v[50:51]
	global_load_dwordx4 v[42:45], v[42:43], off
	v_fma_f64 v[52:53], v[17:18], v[38:39], v[52:53]
	v_fma_f64 v[50:51], -v[17:18], v[40:41], v[50:51]
	v_fma_f64 v[52:53], v[15:16], v[40:41], v[52:53]
	s_waitcnt vmcnt(1)
	v_fma_f64 v[48:49], v[11:12], v[34:35], v[48:49]
	v_fma_f64 v[34:35], v[13:14], v[34:35], v[46:47]
	v_fma_f64 v[46:47], -v[13:14], v[36:37], v[48:49]
	v_fma_f64 v[34:35], v[11:12], v[36:37], v[34:35]
	v_lshlrev_b64 v[11:12], 4, v[22:23]
	v_add_u32_e32 v22, 4, v24
	v_lshlrev_b64 v[13:14], 4, v[22:23]
	v_add_co_u32_e32 v11, vcc, s12, v11
	v_addc_co_u32_e32 v12, vcc, v28, v12, vcc
	s_waitcnt vmcnt(0)
	v_fma_f64 v[15:16], v[42:43], v[38:39], v[46:47]
	v_fma_f64 v[17:18], v[44:45], v[38:39], v[34:35]
	v_add_co_u32_e32 v48, vcc, s14, v13
	v_addc_co_u32_e32 v49, vcc, v29, v14, vcc
	global_load_dwordx4 v[11:14], v[11:12], off
	v_add_u32_e32 v22, -5, v20
	v_fma_f64 v[44:45], -v[44:45], v[40:41], v[15:16]
	v_fma_f64 v[42:43], v[42:43], v[40:41], v[17:18]
	global_load_dwordx4 v[15:18], v[48:49], off
	v_lshlrev_b64 v[36:37], 4, v[22:23]
	v_add_u32_e32 v22, -14, v20
	v_add_co_u32_e32 v38, vcc, s12, v36
	v_addc_co_u32_e32 v39, vcc, v28, v37, vcc
	global_load_dwordx4 v[38:41], v[38:39], off
	v_lshlrev_b64 v[54:55], 4, v[22:23]
	global_load_dwordx4 v[34:37], v[48:49], off offset:16
	v_add_co_u32_e32 v48, vcc, s12, v54
	v_addc_co_u32_e32 v49, vcc, v28, v55, vcc
	v_add_u32_e32 v22, -4, v20
	v_lshlrev_b64 v[46:47], 4, v[22:23]
	v_add_u32_e32 v22, -13, v20
	v_add_co_u32_e32 v46, vcc, s12, v46
	v_addc_co_u32_e32 v47, vcc, v28, v47, vcc
	v_lshlrev_b64 v[54:55], 4, v[22:23]
	v_add_u32_e32 v22, 6, v24
	s_waitcnt vmcnt(2)
	v_fma_f64 v[50:51], v[11:12], v[15:16], v[50:51]
	v_fma_f64 v[52:53], v[13:14], v[15:16], v[52:53]
	s_waitcnt vmcnt(1)
	v_fma_f64 v[44:45], v[38:39], v[15:16], v[44:45]
	v_fma_f64 v[50:51], -v[13:14], v[17:18], v[50:51]
	v_fma_f64 v[52:53], v[11:12], v[17:18], v[52:53]
	global_load_dwordx4 v[11:14], v[48:49], off
	v_fma_f64 v[15:16], v[40:41], v[15:16], v[42:43]
	v_fma_f64 v[42:43], -v[40:41], v[17:18], v[44:45]
	v_add_co_u32_e32 v40, vcc, s12, v54
	v_addc_co_u32_e32 v41, vcc, v28, v55, vcc
	v_fma_f64 v[44:45], v[38:39], v[17:18], v[15:16]
	global_load_dwordx4 v[15:18], v[46:47], off
	v_lshlrev_b64 v[38:39], 4, v[22:23]
	v_add_u32_e32 v22, -3, v20
	v_add_co_u32_e32 v48, vcc, s14, v38
	v_addc_co_u32_e32 v49, vcc, v29, v39, vcc
	global_load_dwordx4 v[38:41], v[40:41], off
	v_lshlrev_b64 v[46:47], 4, v[22:23]
	v_add_u32_e32 v22, -12, v20
	v_lshlrev_b64 v[54:55], 4, v[22:23]
	v_add_u32_e32 v22, -2, v20
	s_waitcnt vmcnt(2)
	v_fma_f64 v[50:51], v[11:12], v[34:35], v[50:51]
	v_fma_f64 v[52:53], v[13:14], v[34:35], v[52:53]
	v_fma_f64 v[50:51], -v[13:14], v[36:37], v[50:51]
	v_fma_f64 v[52:53], v[11:12], v[36:37], v[52:53]
	s_waitcnt vmcnt(1)
	v_fma_f64 v[11:12], v[15:16], v[34:35], v[42:43]
	v_fma_f64 v[13:14], v[17:18], v[34:35], v[44:45]
	v_add_co_u32_e32 v34, vcc, s12, v46
	v_addc_co_u32_e32 v35, vcc, v28, v47, vcc
	v_lshlrev_b64 v[46:47], 4, v[22:23]
	v_add_u32_e32 v22, -11, v20
	v_fma_f64 v[42:43], -v[17:18], v[36:37], v[11:12]
	v_fma_f64 v[44:45], v[15:16], v[36:37], v[13:14]
	global_load_dwordx4 v[11:14], v[48:49], off
	global_load_dwordx4 v[15:18], v[48:49], off offset:16
	v_add_co_u32_e32 v48, vcc, s12, v54
	global_load_dwordx4 v[34:37], v[34:35], off
	v_addc_co_u32_e32 v49, vcc, v28, v55, vcc
	v_lshlrev_b64 v[54:55], 4, v[22:23]
	v_add_u32_e32 v22, 8, v24
	v_add_co_u32_e32 v46, vcc, s12, v46
	v_addc_co_u32_e32 v47, vcc, v28, v47, vcc
	s_waitcnt vmcnt(2)
	v_fma_f64 v[24:25], v[38:39], v[11:12], v[50:51]
	v_fma_f64 v[50:51], v[40:41], v[11:12], v[52:53]
	s_waitcnt vmcnt(0)
	v_fma_f64 v[42:43], v[34:35], v[11:12], v[42:43]
	v_fma_f64 v[11:12], v[36:37], v[11:12], v[44:45]
	v_fma_f64 v[24:25], -v[40:41], v[13:14], v[24:25]
	v_fma_f64 v[50:51], v[38:39], v[13:14], v[50:51]
	global_load_dwordx4 v[38:41], v[48:49], off
	v_fma_f64 v[52:53], -v[36:37], v[13:14], v[42:43]
	v_fma_f64 v[56:57], v[34:35], v[13:14], v[11:12]
	global_load_dwordx4 v[11:14], v[46:47], off
	v_lshlrev_b64 v[48:49], 4, v[22:23]
	v_add_co_u32_e32 v34, vcc, s12, v54
	v_add_u32_e32 v22, -1, v20
	v_addc_co_u32_e32 v35, vcc, v28, v55, vcc
	v_lshlrev_b64 v[42:43], 4, v[22:23]
	v_add_co_u32_e32 v46, vcc, s14, v48
	v_addc_co_u32_e32 v47, vcc, v29, v49, vcc
	v_add_co_u32_e32 v42, vcc, s12, v42
	v_addc_co_u32_e32 v43, vcc, v28, v43, vcc
	global_load_dwordx4 v[34:37], v[34:35], off
	v_add_u32_e32 v22, -10, v20
	v_add_u32_e32 v20, 0xa0, v20
	s_waitcnt vmcnt(2)
	v_fma_f64 v[24:25], v[38:39], v[15:16], v[24:25]
	v_fma_f64 v[44:45], v[40:41], v[15:16], v[50:51]
	s_waitcnt vmcnt(1)
	v_fma_f64 v[48:49], v[11:12], v[15:16], v[52:53]
	v_fma_f64 v[15:16], v[13:14], v[15:16], v[56:57]
	v_fma_f64 v[24:25], -v[40:41], v[17:18], v[24:25]
	v_fma_f64 v[50:51], v[38:39], v[17:18], v[44:45]
	global_load_dwordx4 v[38:41], v[46:47], off
	v_fma_f64 v[52:53], -v[13:14], v[17:18], v[48:49]
	global_load_dwordx4 v[42:45], v[42:43], off
	v_fma_f64 v[15:16], v[11:12], v[17:18], v[15:16]
	v_lshlrev_b64 v[11:12], 4, v[22:23]
	global_load_dwordx4 v[46:49], v[46:47], off offset:16
	v_add_co_u32_e32 v11, vcc, s12, v11
	v_addc_co_u32_e32 v12, vcc, v28, v12, vcc
	global_load_dwordx4 v[11:14], v[11:12], off
	v_cmp_ge_i32_e32 vcc, v10, v27
	s_or_b64 s[0:1], vcc, s[0:1]
	s_waitcnt vmcnt(3)
	v_fma_f64 v[17:18], v[34:35], v[38:39], v[24:25]
	v_fma_f64 v[21:22], v[36:37], v[38:39], v[50:51]
	s_waitcnt vmcnt(2)
	v_fma_f64 v[24:25], v[42:43], v[38:39], v[52:53]
	v_fma_f64 v[15:16], v[44:45], v[38:39], v[15:16]
	v_fma_f64 v[17:18], -v[36:37], v[40:41], v[17:18]
	v_fma_f64 v[21:22], v[34:35], v[40:41], v[21:22]
	v_fma_f64 v[24:25], -v[44:45], v[40:41], v[24:25]
	v_fma_f64 v[15:16], v[42:43], v[40:41], v[15:16]
	s_waitcnt vmcnt(0)
	v_fma_f64 v[17:18], v[11:12], v[46:47], v[17:18]
	v_fma_f64 v[21:22], v[13:14], v[46:47], v[21:22]
	;; [unrolled: 1-line block ×4, first 2 shown]
	v_fma_f64 v[18:19], -v[13:14], v[48:49], v[17:18]
	v_fma_f64 v[14:15], v[11:12], v[48:49], v[21:22]
	v_fma_f64 v[16:17], -v[32:33], v[48:49], v[24:25]
	v_fma_f64 v[12:13], v[30:31], v[48:49], v[34:35]
	s_andn2_b64 exec, exec, s[0:1]
	s_cbranch_execnz .LBB269_13
; %bb.14:
	s_or_b64 exec, exec, s[0:1]
.LBB269_15:
	s_or_b64 exec, exec, s[2:3]
.LBB269_16:
	v_mov_b32_dpp v10, v18 row_shr:1 row_mask:0xf bank_mask:0xf
	v_mov_b32_dpp v11, v19 row_shr:1 row_mask:0xf bank_mask:0xf
	v_add_f64 v[10:11], v[18:19], v[10:11]
	v_mov_b32_dpp v18, v14 row_shr:1 row_mask:0xf bank_mask:0xf
	v_mov_b32_dpp v19, v15 row_shr:1 row_mask:0xf bank_mask:0xf
	;; [unrolled: 1-line block ×4, first 2 shown]
	v_add_f64 v[14:15], v[14:15], v[18:19]
	v_add_f64 v[16:17], v[16:17], v[20:21]
	v_mov_b32_dpp v20, v12 row_shr:1 row_mask:0xf bank_mask:0xf
	v_mov_b32_dpp v21, v13 row_shr:1 row_mask:0xf bank_mask:0xf
	v_add_f64 v[20:21], v[12:13], v[20:21]
	v_mov_b32_dpp v18, v10 row_shr:2 row_mask:0xf bank_mask:0xf
	v_mov_b32_dpp v19, v11 row_shr:2 row_mask:0xf bank_mask:0xf
	;; [unrolled: 3-line block ×6, first 2 shown]
	v_mov_b32_dpp v16, v12 row_shr:4 row_mask:0xf bank_mask:0xe
	v_mov_b32_dpp v17, v13 row_shr:4 row_mask:0xf bank_mask:0xe
	;; [unrolled: 1-line block ×4, first 2 shown]
	v_cmp_eq_u32_e32 vcc, 7, v0
	v_mov_b32_dpp v20, v14 row_shr:4 row_mask:0xf bank_mask:0xe
	v_mov_b32_dpp v21, v15 row_shr:4 row_mask:0xf bank_mask:0xe
	s_and_b64 exec, exec, vcc
	s_cbranch_execz .LBB269_21
; %bb.17:
	v_cmp_eq_f64_e32 vcc, 0, v[5:6]
	v_cmp_eq_f64_e64 s[0:1], 0, v[7:8]
	v_add_f64 v[10:11], v[10:11], v[24:25]
	v_add_f64 v[16:17], v[12:13], v[16:17]
	;; [unrolled: 1-line block ×4, first 2 shown]
	s_load_dwordx2 s[2:3], s[4:5], 0x48
	s_and_b64 s[0:1], vcc, s[0:1]
	s_and_saveexec_b64 s[4:5], s[0:1]
	s_xor_b64 s[0:1], exec, s[4:5]
	s_cbranch_execz .LBB269_19
; %bb.18:
	v_mul_f64 v[5:6], v[16:17], -v[3:4]
	v_mul_f64 v[7:8], v[1:2], v[16:17]
	v_mul_f64 v[16:17], v[14:15], -v[3:4]
	v_mul_f64 v[14:15], v[1:2], v[14:15]
	v_lshlrev_b32_e32 v9, 1, v9
	s_waitcnt lgkmcnt(0)
	v_mov_b32_e32 v18, s3
	v_fma_f64 v[5:6], v[1:2], v[10:11], v[5:6]
	v_fma_f64 v[7:8], v[3:4], v[10:11], v[7:8]
	;; [unrolled: 1-line block ×4, first 2 shown]
	v_ashrrev_i32_e32 v10, 31, v9
	v_lshlrev_b64 v[9:10], 4, v[9:10]
                                        ; implicit-def: $vgpr16_vgpr17
                                        ; implicit-def: $vgpr12_vgpr13
                                        ; implicit-def: $vgpr14_vgpr15
	v_add_co_u32_e32 v9, vcc, s2, v9
	v_addc_co_u32_e32 v10, vcc, v18, v10, vcc
	global_store_dwordx4 v[9:10], v[5:8], off
	global_store_dwordx4 v[9:10], v[0:3], off offset:16
                                        ; implicit-def: $vgpr9
                                        ; implicit-def: $vgpr10_vgpr11
                                        ; implicit-def: $vgpr7_vgpr8
                                        ; implicit-def: $vgpr3_vgpr4
.LBB269_19:
	s_andn2_saveexec_b64 s[0:1], s[0:1]
	s_cbranch_execz .LBB269_21
; %bb.20:
	v_lshlrev_b32_e32 v18, 1, v9
	v_ashrrev_i32_e32 v19, 31, v18
	v_lshlrev_b64 v[18:19], 4, v[18:19]
	s_waitcnt lgkmcnt(0)
	v_mov_b32_e32 v0, s3
	v_add_co_u32_e32 v26, vcc, s2, v18
	v_addc_co_u32_e32 v27, vcc, v0, v19, vcc
	global_load_dwordx4 v[18:21], v[26:27], off
	global_load_dwordx4 v[22:25], v[26:27], off offset:16
	v_mul_f64 v[28:29], v[16:17], -v[3:4]
	v_mul_f64 v[16:17], v[1:2], v[16:17]
	v_mul_f64 v[30:31], v[14:15], -v[3:4]
	v_mul_f64 v[14:15], v[1:2], v[14:15]
	v_fma_f64 v[28:29], v[1:2], v[10:11], v[28:29]
	v_fma_f64 v[9:10], v[3:4], v[10:11], v[16:17]
	;; [unrolled: 1-line block ×4, first 2 shown]
	s_waitcnt vmcnt(1)
	v_fma_f64 v[11:12], v[5:6], v[18:19], v[28:29]
	v_fma_f64 v[9:10], v[7:8], v[18:19], v[9:10]
	s_waitcnt vmcnt(0)
	v_fma_f64 v[13:14], v[5:6], v[22:23], v[0:1]
	v_fma_f64 v[15:16], v[7:8], v[22:23], v[2:3]
	v_fma_f64 v[0:1], -v[7:8], v[20:21], v[11:12]
	v_fma_f64 v[2:3], v[5:6], v[20:21], v[9:10]
	v_fma_f64 v[7:8], -v[7:8], v[24:25], v[13:14]
	v_fma_f64 v[9:10], v[5:6], v[24:25], v[15:16]
	global_store_dwordx4 v[26:27], v[0:3], off
	global_store_dwordx4 v[26:27], v[7:10], off offset:16
.LBB269_21:
	s_endpgm
	.section	.rodata,"a",@progbits
	.p2align	6, 0x0
	.amdhsa_kernel _ZN9rocsparseL19gebsrmvn_2xn_kernelILj128ELj10ELj8E21rocsparse_complex_numIdEEEvi20rocsparse_direction_NS_24const_host_device_scalarIT2_EEPKiS8_PKS5_SA_S6_PS5_21rocsparse_index_base_b
		.amdhsa_group_segment_fixed_size 0
		.amdhsa_private_segment_fixed_size 0
		.amdhsa_kernarg_size 88
		.amdhsa_user_sgpr_count 6
		.amdhsa_user_sgpr_private_segment_buffer 1
		.amdhsa_user_sgpr_dispatch_ptr 0
		.amdhsa_user_sgpr_queue_ptr 0
		.amdhsa_user_sgpr_kernarg_segment_ptr 1
		.amdhsa_user_sgpr_dispatch_id 0
		.amdhsa_user_sgpr_flat_scratch_init 0
		.amdhsa_user_sgpr_private_segment_size 0
		.amdhsa_uses_dynamic_stack 0
		.amdhsa_system_sgpr_private_segment_wavefront_offset 0
		.amdhsa_system_sgpr_workgroup_id_x 1
		.amdhsa_system_sgpr_workgroup_id_y 0
		.amdhsa_system_sgpr_workgroup_id_z 0
		.amdhsa_system_sgpr_workgroup_info 0
		.amdhsa_system_vgpr_workitem_id 0
		.amdhsa_next_free_vgpr 58
		.amdhsa_next_free_sgpr 20
		.amdhsa_reserve_vcc 1
		.amdhsa_reserve_flat_scratch 0
		.amdhsa_float_round_mode_32 0
		.amdhsa_float_round_mode_16_64 0
		.amdhsa_float_denorm_mode_32 3
		.amdhsa_float_denorm_mode_16_64 3
		.amdhsa_dx10_clamp 1
		.amdhsa_ieee_mode 1
		.amdhsa_fp16_overflow 0
		.amdhsa_exception_fp_ieee_invalid_op 0
		.amdhsa_exception_fp_denorm_src 0
		.amdhsa_exception_fp_ieee_div_zero 0
		.amdhsa_exception_fp_ieee_overflow 0
		.amdhsa_exception_fp_ieee_underflow 0
		.amdhsa_exception_fp_ieee_inexact 0
		.amdhsa_exception_int_div_zero 0
	.end_amdhsa_kernel
	.section	.text._ZN9rocsparseL19gebsrmvn_2xn_kernelILj128ELj10ELj8E21rocsparse_complex_numIdEEEvi20rocsparse_direction_NS_24const_host_device_scalarIT2_EEPKiS8_PKS5_SA_S6_PS5_21rocsparse_index_base_b,"axG",@progbits,_ZN9rocsparseL19gebsrmvn_2xn_kernelILj128ELj10ELj8E21rocsparse_complex_numIdEEEvi20rocsparse_direction_NS_24const_host_device_scalarIT2_EEPKiS8_PKS5_SA_S6_PS5_21rocsparse_index_base_b,comdat
.Lfunc_end269:
	.size	_ZN9rocsparseL19gebsrmvn_2xn_kernelILj128ELj10ELj8E21rocsparse_complex_numIdEEEvi20rocsparse_direction_NS_24const_host_device_scalarIT2_EEPKiS8_PKS5_SA_S6_PS5_21rocsparse_index_base_b, .Lfunc_end269-_ZN9rocsparseL19gebsrmvn_2xn_kernelILj128ELj10ELj8E21rocsparse_complex_numIdEEEvi20rocsparse_direction_NS_24const_host_device_scalarIT2_EEPKiS8_PKS5_SA_S6_PS5_21rocsparse_index_base_b
                                        ; -- End function
	.set _ZN9rocsparseL19gebsrmvn_2xn_kernelILj128ELj10ELj8E21rocsparse_complex_numIdEEEvi20rocsparse_direction_NS_24const_host_device_scalarIT2_EEPKiS8_PKS5_SA_S6_PS5_21rocsparse_index_base_b.num_vgpr, 58
	.set _ZN9rocsparseL19gebsrmvn_2xn_kernelILj128ELj10ELj8E21rocsparse_complex_numIdEEEvi20rocsparse_direction_NS_24const_host_device_scalarIT2_EEPKiS8_PKS5_SA_S6_PS5_21rocsparse_index_base_b.num_agpr, 0
	.set _ZN9rocsparseL19gebsrmvn_2xn_kernelILj128ELj10ELj8E21rocsparse_complex_numIdEEEvi20rocsparse_direction_NS_24const_host_device_scalarIT2_EEPKiS8_PKS5_SA_S6_PS5_21rocsparse_index_base_b.numbered_sgpr, 20
	.set _ZN9rocsparseL19gebsrmvn_2xn_kernelILj128ELj10ELj8E21rocsparse_complex_numIdEEEvi20rocsparse_direction_NS_24const_host_device_scalarIT2_EEPKiS8_PKS5_SA_S6_PS5_21rocsparse_index_base_b.num_named_barrier, 0
	.set _ZN9rocsparseL19gebsrmvn_2xn_kernelILj128ELj10ELj8E21rocsparse_complex_numIdEEEvi20rocsparse_direction_NS_24const_host_device_scalarIT2_EEPKiS8_PKS5_SA_S6_PS5_21rocsparse_index_base_b.private_seg_size, 0
	.set _ZN9rocsparseL19gebsrmvn_2xn_kernelILj128ELj10ELj8E21rocsparse_complex_numIdEEEvi20rocsparse_direction_NS_24const_host_device_scalarIT2_EEPKiS8_PKS5_SA_S6_PS5_21rocsparse_index_base_b.uses_vcc, 1
	.set _ZN9rocsparseL19gebsrmvn_2xn_kernelILj128ELj10ELj8E21rocsparse_complex_numIdEEEvi20rocsparse_direction_NS_24const_host_device_scalarIT2_EEPKiS8_PKS5_SA_S6_PS5_21rocsparse_index_base_b.uses_flat_scratch, 0
	.set _ZN9rocsparseL19gebsrmvn_2xn_kernelILj128ELj10ELj8E21rocsparse_complex_numIdEEEvi20rocsparse_direction_NS_24const_host_device_scalarIT2_EEPKiS8_PKS5_SA_S6_PS5_21rocsparse_index_base_b.has_dyn_sized_stack, 0
	.set _ZN9rocsparseL19gebsrmvn_2xn_kernelILj128ELj10ELj8E21rocsparse_complex_numIdEEEvi20rocsparse_direction_NS_24const_host_device_scalarIT2_EEPKiS8_PKS5_SA_S6_PS5_21rocsparse_index_base_b.has_recursion, 0
	.set _ZN9rocsparseL19gebsrmvn_2xn_kernelILj128ELj10ELj8E21rocsparse_complex_numIdEEEvi20rocsparse_direction_NS_24const_host_device_scalarIT2_EEPKiS8_PKS5_SA_S6_PS5_21rocsparse_index_base_b.has_indirect_call, 0
	.section	.AMDGPU.csdata,"",@progbits
; Kernel info:
; codeLenInByte = 3940
; TotalNumSgprs: 24
; NumVgprs: 58
; ScratchSize: 0
; MemoryBound: 1
; FloatMode: 240
; IeeeMode: 1
; LDSByteSize: 0 bytes/workgroup (compile time only)
; SGPRBlocks: 2
; VGPRBlocks: 14
; NumSGPRsForWavesPerEU: 24
; NumVGPRsForWavesPerEU: 58
; Occupancy: 4
; WaveLimiterHint : 1
; COMPUTE_PGM_RSRC2:SCRATCH_EN: 0
; COMPUTE_PGM_RSRC2:USER_SGPR: 6
; COMPUTE_PGM_RSRC2:TRAP_HANDLER: 0
; COMPUTE_PGM_RSRC2:TGID_X_EN: 1
; COMPUTE_PGM_RSRC2:TGID_Y_EN: 0
; COMPUTE_PGM_RSRC2:TGID_Z_EN: 0
; COMPUTE_PGM_RSRC2:TIDIG_COMP_CNT: 0
	.section	.text._ZN9rocsparseL19gebsrmvn_2xn_kernelILj128ELj10ELj16E21rocsparse_complex_numIdEEEvi20rocsparse_direction_NS_24const_host_device_scalarIT2_EEPKiS8_PKS5_SA_S6_PS5_21rocsparse_index_base_b,"axG",@progbits,_ZN9rocsparseL19gebsrmvn_2xn_kernelILj128ELj10ELj16E21rocsparse_complex_numIdEEEvi20rocsparse_direction_NS_24const_host_device_scalarIT2_EEPKiS8_PKS5_SA_S6_PS5_21rocsparse_index_base_b,comdat
	.globl	_ZN9rocsparseL19gebsrmvn_2xn_kernelILj128ELj10ELj16E21rocsparse_complex_numIdEEEvi20rocsparse_direction_NS_24const_host_device_scalarIT2_EEPKiS8_PKS5_SA_S6_PS5_21rocsparse_index_base_b ; -- Begin function _ZN9rocsparseL19gebsrmvn_2xn_kernelILj128ELj10ELj16E21rocsparse_complex_numIdEEEvi20rocsparse_direction_NS_24const_host_device_scalarIT2_EEPKiS8_PKS5_SA_S6_PS5_21rocsparse_index_base_b
	.p2align	8
	.type	_ZN9rocsparseL19gebsrmvn_2xn_kernelILj128ELj10ELj16E21rocsparse_complex_numIdEEEvi20rocsparse_direction_NS_24const_host_device_scalarIT2_EEPKiS8_PKS5_SA_S6_PS5_21rocsparse_index_base_b,@function
_ZN9rocsparseL19gebsrmvn_2xn_kernelILj128ELj10ELj16E21rocsparse_complex_numIdEEEvi20rocsparse_direction_NS_24const_host_device_scalarIT2_EEPKiS8_PKS5_SA_S6_PS5_21rocsparse_index_base_b: ; @_ZN9rocsparseL19gebsrmvn_2xn_kernelILj128ELj10ELj16E21rocsparse_complex_numIdEEEvi20rocsparse_direction_NS_24const_host_device_scalarIT2_EEPKiS8_PKS5_SA_S6_PS5_21rocsparse_index_base_b
; %bb.0:
	s_load_dwordx2 s[0:1], s[4:5], 0x8
	s_load_dwordx2 s[2:3], s[4:5], 0x38
	;; [unrolled: 1-line block ×3, first 2 shown]
	s_add_u32 s7, s4, 8
	s_addc_u32 s8, s5, 0
	s_add_u32 s9, s4, 56
	s_addc_u32 s10, s5, 0
	s_waitcnt lgkmcnt(0)
	s_bitcmp1_b32 s17, 0
	s_cselect_b32 s1, s8, s1
	s_cselect_b32 s0, s7, s0
	v_mov_b32_e32 v1, s0
	v_mov_b32_e32 v2, s1
	flat_load_dwordx4 v[1:4], v[1:2]
	s_cselect_b32 s0, s10, s3
	s_cselect_b32 s1, s9, s2
	v_mov_b32_e32 v5, s1
	v_mov_b32_e32 v6, s0
	flat_load_dwordx4 v[5:8], v[5:6]
	s_waitcnt vmcnt(0) lgkmcnt(0)
	v_cmp_eq_f64_e32 vcc, 0, v[1:2]
	v_cmp_eq_f64_e64 s[0:1], 0, v[3:4]
	s_and_b64 s[8:9], vcc, s[0:1]
	s_mov_b64 s[0:1], -1
	s_and_saveexec_b64 s[2:3], s[8:9]
	s_cbranch_execz .LBB270_2
; %bb.1:
	v_cmp_neq_f64_e32 vcc, 1.0, v[5:6]
	v_cmp_neq_f64_e64 s[0:1], 0, v[7:8]
	s_or_b64 s[0:1], vcc, s[0:1]
	s_orn2_b64 s[0:1], s[0:1], exec
.LBB270_2:
	s_or_b64 exec, exec, s[2:3]
	s_and_saveexec_b64 s[2:3], s[0:1]
	s_cbranch_execz .LBB270_21
; %bb.3:
	s_load_dwordx2 s[0:1], s[4:5], 0x0
	v_lshrrev_b32_e32 v9, 4, v0
	v_lshl_or_b32 v9, s6, 3, v9
	s_waitcnt lgkmcnt(0)
	v_cmp_gt_i32_e32 vcc, s0, v9
	s_and_b64 exec, exec, vcc
	s_cbranch_execz .LBB270_21
; %bb.4:
	s_load_dwordx8 s[8:15], s[4:5], 0x18
	v_ashrrev_i32_e32 v10, 31, v9
	v_lshlrev_b64 v[10:11], 2, v[9:10]
	v_and_b32_e32 v0, 15, v0
	s_cmp_lg_u32 s1, 0
	s_waitcnt lgkmcnt(0)
	v_mov_b32_e32 v12, s9
	v_add_co_u32_e32 v10, vcc, s8, v10
	v_addc_co_u32_e32 v11, vcc, v12, v11, vcc
	global_load_dwordx2 v[10:11], v[10:11], off
	s_waitcnt vmcnt(0)
	v_subrev_u32_e32 v10, s16, v10
	v_subrev_u32_e32 v27, s16, v11
	v_add_u32_e32 v10, v10, v0
	v_cmp_lt_i32_e64 s[0:1], v10, v27
	s_cbranch_scc0 .LBB270_10
; %bb.5:
	v_mov_b32_e32 v16, 0
	v_mov_b32_e32 v18, 0
	;; [unrolled: 1-line block ×8, first 2 shown]
	s_and_saveexec_b64 s[8:9], s[0:1]
	s_cbranch_execz .LBB270_9
; %bb.6:
	v_mad_u64_u32 v[20:21], s[2:3], v10, 20, 18
	v_mov_b32_e32 v16, 0
	v_mov_b32_e32 v18, 0
	;; [unrolled: 1-line block ×5, first 2 shown]
	s_mov_b64 s[18:19], 0
	v_mov_b32_e32 v11, s11
	v_mov_b32_e32 v23, 0
	;; [unrolled: 1-line block ×8, first 2 shown]
.LBB270_7:                              ; =>This Inner Loop Header: Depth=1
	v_ashrrev_i32_e32 v25, 31, v24
	v_subrev_u32_e32 v22, 18, v20
	v_lshlrev_b64 v[30:31], 2, v[24:25]
	v_lshlrev_b64 v[32:33], 4, v[22:23]
	v_add_co_u32_e32 v36, vcc, s10, v30
	v_add_co_u32_e64 v38, s[2:3], s12, v32
	v_addc_co_u32_e32 v37, vcc, v11, v31, vcc
	v_addc_co_u32_e64 v39, vcc, v28, v33, s[2:3]
	global_load_dword v25, v[36:37], off
	global_load_dwordx4 v[30:33], v[38:39], off
	v_mov_b32_e32 v21, v23
	v_lshlrev_b64 v[34:35], 4, v[20:21]
	v_mov_b32_e32 v26, v23
	v_add_co_u32_e64 v40, s[6:7], s12, v34
	v_addc_co_u32_e64 v41, vcc, v28, v35, s[6:7]
	v_add_u32_e32 v22, -14, v20
	v_lshlrev_b64 v[21:22], 4, v[22:23]
	v_add_u32_e32 v24, 16, v24
	s_waitcnt vmcnt(1)
	v_subrev_u32_e32 v25, s16, v25
	v_mul_lo_u32 v25, v25, 10
	v_lshlrev_b64 v[34:35], 4, v[25:26]
	v_add_co_u32_e32 v42, vcc, s14, v34
	v_addc_co_u32_e32 v43, vcc, v29, v35, vcc
	global_load_dwordx4 v[34:37], v[42:43], off
	v_add_co_u32_e32 v21, vcc, s12, v21
	v_addc_co_u32_e32 v22, vcc, v28, v22, vcc
	s_waitcnt vmcnt(0)
	v_fma_f64 v[18:19], v[30:31], v[34:35], v[18:19]
	v_fma_f64 v[16:17], v[32:33], v[34:35], v[16:17]
	v_fma_f64 v[44:45], -v[32:33], v[36:37], v[18:19]
	v_fma_f64 v[46:47], v[30:31], v[36:37], v[16:17]
	global_load_dwordx4 v[16:19], v[38:39], off offset:16
	s_waitcnt vmcnt(0)
	v_fma_f64 v[12:13], v[16:17], v[34:35], v[12:13]
	v_fma_f64 v[14:15], v[18:19], v[34:35], v[14:15]
	v_fma_f64 v[34:35], -v[18:19], v[36:37], v[12:13]
	v_fma_f64 v[36:37], v[16:17], v[36:37], v[14:15]
	global_load_dwordx4 v[12:15], v[38:39], off offset:48
	global_load_dwordx4 v[16:19], v[38:39], off offset:32
	;; [unrolled: 1-line block ×3, first 2 shown]
	s_waitcnt vmcnt(0)
	v_fma_f64 v[38:39], v[16:17], v[30:31], v[44:45]
	v_fma_f64 v[42:43], v[18:19], v[30:31], v[46:47]
	;; [unrolled: 1-line block ×4, first 2 shown]
	v_fma_f64 v[38:39], -v[18:19], v[32:33], v[38:39]
	v_fma_f64 v[42:43], v[16:17], v[32:33], v[42:43]
	global_load_dwordx4 v[16:19], v[21:22], off offset:16
	v_fma_f64 v[34:35], -v[14:15], v[32:33], v[34:35]
	v_fma_f64 v[36:37], v[12:13], v[32:33], v[30:31]
	global_load_dwordx4 v[12:15], v[21:22], off
	v_add_u32_e32 v22, 2, v25
	v_lshlrev_b64 v[30:31], 4, v[22:23]
	v_add_u32_e32 v22, -12, v20
	v_add_co_u32_e32 v44, vcc, s14, v30
	v_addc_co_u32_e32 v45, vcc, v29, v31, vcc
	global_load_dwordx4 v[30:33], v[44:45], off
	v_lshlrev_b64 v[46:47], 4, v[22:23]
	v_add_u32_e32 v22, -10, v20
	v_lshlrev_b64 v[48:49], 4, v[22:23]
	v_add_u32_e32 v22, 4, v25
	s_waitcnt vmcnt(0)
	v_fma_f64 v[38:39], v[12:13], v[30:31], v[38:39]
	v_fma_f64 v[42:43], v[14:15], v[30:31], v[42:43]
	v_fma_f64 v[38:39], -v[14:15], v[32:33], v[38:39]
	v_fma_f64 v[42:43], v[12:13], v[32:33], v[42:43]
	v_fma_f64 v[12:13], v[16:17], v[30:31], v[34:35]
	;; [unrolled: 1-line block ×3, first 2 shown]
	v_add_co_u32_e32 v34, vcc, s12, v46
	v_addc_co_u32_e32 v35, vcc, v28, v47, vcc
	v_lshlrev_b64 v[36:37], 4, v[22:23]
	v_add_u32_e32 v22, -8, v20
	v_fma_f64 v[30:31], -v[18:19], v[32:33], v[12:13]
	v_fma_f64 v[32:33], v[16:17], v[32:33], v[14:15]
	global_load_dwordx4 v[12:15], v[44:45], off offset:16
	global_load_dwordx4 v[16:19], v[34:35], off
	v_add_co_u32_e32 v44, vcc, s12, v48
	v_addc_co_u32_e32 v45, vcc, v28, v49, vcc
	v_lshlrev_b64 v[46:47], 4, v[22:23]
	v_add_u32_e32 v22, -6, v20
	s_waitcnt vmcnt(0)
	v_fma_f64 v[38:39], v[16:17], v[12:13], v[38:39]
	v_fma_f64 v[42:43], v[18:19], v[12:13], v[42:43]
	v_fma_f64 v[38:39], -v[18:19], v[14:15], v[38:39]
	v_fma_f64 v[42:43], v[16:17], v[14:15], v[42:43]
	global_load_dwordx4 v[16:19], v[34:35], off offset:16
	v_add_co_u32_e32 v34, vcc, s14, v36
	v_addc_co_u32_e32 v35, vcc, v29, v37, vcc
	s_waitcnt vmcnt(0)
	v_fma_f64 v[30:31], v[16:17], v[12:13], v[30:31]
	v_fma_f64 v[12:13], v[18:19], v[12:13], v[32:33]
	v_fma_f64 v[30:31], -v[18:19], v[14:15], v[30:31]
	v_fma_f64 v[32:33], v[16:17], v[14:15], v[12:13]
	global_load_dwordx4 v[12:15], v[44:45], off
	global_load_dwordx4 v[16:19], v[34:35], off
	s_waitcnt vmcnt(0)
	v_fma_f64 v[36:37], v[12:13], v[16:17], v[38:39]
	v_fma_f64 v[38:39], v[14:15], v[16:17], v[42:43]
	v_lshlrev_b64 v[42:43], 4, v[22:23]
	v_add_u32_e32 v22, 6, v25
	v_lshlrev_b64 v[48:49], 4, v[22:23]
	v_add_u32_e32 v22, -4, v20
	v_fma_f64 v[36:37], -v[14:15], v[18:19], v[36:37]
	v_fma_f64 v[38:39], v[12:13], v[18:19], v[38:39]
	global_load_dwordx4 v[12:15], v[44:45], off offset:16
	v_add_co_u32_e32 v44, vcc, s12, v46
	v_addc_co_u32_e32 v45, vcc, v28, v47, vcc
	v_lshlrev_b64 v[46:47], 4, v[22:23]
	v_add_u32_e32 v22, -2, v20
	v_add_u32_e32 v20, 0x140, v20
	s_waitcnt vmcnt(0)
	v_fma_f64 v[30:31], v[12:13], v[16:17], v[30:31]
	v_fma_f64 v[16:17], v[14:15], v[16:17], v[32:33]
	v_fma_f64 v[30:31], -v[14:15], v[18:19], v[30:31]
	v_fma_f64 v[32:33], v[12:13], v[18:19], v[16:17]
	global_load_dwordx4 v[12:15], v[34:35], off offset:16
	global_load_dwordx4 v[16:19], v[44:45], off
	s_waitcnt vmcnt(0)
	v_fma_f64 v[34:35], v[16:17], v[12:13], v[36:37]
	v_fma_f64 v[36:37], v[18:19], v[12:13], v[38:39]
	v_add_co_u32_e32 v38, vcc, s12, v42
	v_addc_co_u32_e32 v39, vcc, v28, v43, vcc
	v_add_co_u32_e32 v42, vcc, s14, v48
	v_fma_f64 v[34:35], -v[18:19], v[14:15], v[34:35]
	v_fma_f64 v[36:37], v[16:17], v[14:15], v[36:37]
	global_load_dwordx4 v[16:19], v[44:45], off offset:16
	v_addc_co_u32_e32 v43, vcc, v29, v49, vcc
	v_lshlrev_b64 v[44:45], 4, v[22:23]
	v_add_u32_e32 v22, 8, v25
	v_add_co_u32_e32 v21, vcc, s12, v46
	v_lshlrev_b64 v[48:49], 4, v[22:23]
	v_addc_co_u32_e32 v22, vcc, v28, v47, vcc
	s_waitcnt vmcnt(0)
	v_fma_f64 v[30:31], v[16:17], v[12:13], v[30:31]
	v_fma_f64 v[12:13], v[18:19], v[12:13], v[32:33]
	v_fma_f64 v[30:31], -v[18:19], v[14:15], v[30:31]
	v_fma_f64 v[32:33], v[16:17], v[14:15], v[12:13]
	global_load_dwordx4 v[12:15], v[38:39], off
	global_load_dwordx4 v[16:19], v[42:43], off
	s_waitcnt vmcnt(0)
	v_fma_f64 v[25:26], v[12:13], v[16:17], v[34:35]
	v_fma_f64 v[34:35], v[14:15], v[16:17], v[36:37]
	v_fma_f64 v[25:26], -v[14:15], v[18:19], v[25:26]
	v_fma_f64 v[34:35], v[12:13], v[18:19], v[34:35]
	global_load_dwordx4 v[12:15], v[38:39], off offset:16
	s_waitcnt vmcnt(0)
	v_fma_f64 v[30:31], v[12:13], v[16:17], v[30:31]
	v_fma_f64 v[16:17], v[14:15], v[16:17], v[32:33]
	v_fma_f64 v[36:37], -v[14:15], v[18:19], v[30:31]
	v_fma_f64 v[38:39], v[12:13], v[18:19], v[16:17]
	global_load_dwordx4 v[12:15], v[42:43], off offset:16
	global_load_dwordx4 v[16:19], v[21:22], off
	global_load_dwordx4 v[30:33], v[21:22], off offset:16
	v_add_co_u32_e32 v42, vcc, s12, v44
	v_addc_co_u32_e32 v43, vcc, v28, v45, vcc
	v_add_co_u32_e32 v44, vcc, s14, v48
	v_addc_co_u32_e32 v45, vcc, v29, v49, vcc
	v_cmp_ge_i32_e32 vcc, v24, v27
	s_or_b64 s[18:19], vcc, s[18:19]
	s_waitcnt vmcnt(1)
	v_fma_f64 v[21:22], v[16:17], v[12:13], v[25:26]
	v_fma_f64 v[25:26], v[18:19], v[12:13], v[34:35]
	v_fma_f64 v[21:22], -v[18:19], v[14:15], v[21:22]
	v_fma_f64 v[25:26], v[16:17], v[14:15], v[25:26]
	s_waitcnt vmcnt(0)
	v_fma_f64 v[16:17], v[30:31], v[12:13], v[36:37]
	v_fma_f64 v[12:13], v[32:33], v[12:13], v[38:39]
	v_fma_f64 v[38:39], -v[32:33], v[14:15], v[16:17]
	v_fma_f64 v[46:47], v[30:31], v[14:15], v[12:13]
	global_load_dwordx4 v[12:15], v[42:43], off offset:16
	global_load_dwordx4 v[16:19], v[42:43], off
	global_load_dwordx4 v[30:33], v[44:45], off
	s_waitcnt vmcnt(0)
	v_fma_f64 v[21:22], v[16:17], v[30:31], v[21:22]
	v_fma_f64 v[25:26], v[18:19], v[30:31], v[25:26]
	;; [unrolled: 1-line block ×4, first 2 shown]
	v_fma_f64 v[21:22], -v[18:19], v[32:33], v[21:22]
	v_fma_f64 v[25:26], v[16:17], v[32:33], v[25:26]
	global_load_dwordx4 v[16:19], v[40:41], off
	global_load_dwordx4 v[34:37], v[40:41], off offset:16
	v_fma_f64 v[38:39], -v[14:15], v[32:33], v[38:39]
	v_fma_f64 v[30:31], v[12:13], v[32:33], v[30:31]
	global_load_dwordx4 v[12:15], v[44:45], off offset:16
	s_waitcnt vmcnt(0)
	v_fma_f64 v[21:22], v[16:17], v[12:13], v[21:22]
	v_fma_f64 v[25:26], v[18:19], v[12:13], v[25:26]
	;; [unrolled: 1-line block ×4, first 2 shown]
	v_fma_f64 v[18:19], -v[18:19], v[14:15], v[21:22]
	v_fma_f64 v[16:17], v[16:17], v[14:15], v[25:26]
	v_fma_f64 v[12:13], -v[36:37], v[14:15], v[32:33]
	v_fma_f64 v[14:15], v[34:35], v[14:15], v[30:31]
	s_andn2_b64 exec, exec, s[18:19]
	s_cbranch_execnz .LBB270_7
; %bb.8:
	s_or_b64 exec, exec, s[18:19]
.LBB270_9:
	s_or_b64 exec, exec, s[8:9]
	s_cbranch_execz .LBB270_11
	s_branch .LBB270_16
.LBB270_10:
                                        ; implicit-def: $vgpr16_vgpr17
                                        ; implicit-def: $vgpr18_vgpr19
                                        ; implicit-def: $vgpr12_vgpr13
                                        ; implicit-def: $vgpr14_vgpr15
.LBB270_11:
	v_mov_b32_e32 v16, 0
	v_mov_b32_e32 v18, 0
	;; [unrolled: 1-line block ×8, first 2 shown]
	s_and_saveexec_b64 s[2:3], s[0:1]
	s_cbranch_execz .LBB270_15
; %bb.12:
	v_mad_u64_u32 v[20:21], s[0:1], v10, 20, 19
	v_mov_b32_e32 v16, 0
	v_mov_b32_e32 v18, 0
	;; [unrolled: 1-line block ×5, first 2 shown]
	s_mov_b64 s[0:1], 0
	v_mov_b32_e32 v26, s11
	v_mov_b32_e32 v23, 0
	;; [unrolled: 1-line block ×7, first 2 shown]
.LBB270_13:                             ; =>This Inner Loop Header: Depth=1
	v_ashrrev_i32_e32 v11, 31, v10
	v_lshlrev_b64 v[32:33], 2, v[10:11]
	v_subrev_u32_e32 v22, 19, v20
	v_lshlrev_b64 v[34:35], 4, v[22:23]
	v_add_co_u32_e32 v38, vcc, s10, v32
	v_add_u32_e32 v30, -9, v20
	v_mov_b32_e32 v31, v23
	v_addc_co_u32_e32 v39, vcc, v26, v33, vcc
	v_lshlrev_b64 v[30:31], 4, v[30:31]
	v_add_co_u32_e32 v46, vcc, s12, v34
	v_mov_b32_e32 v21, v23
	v_addc_co_u32_e32 v47, vcc, v28, v35, vcc
	v_lshlrev_b64 v[36:37], 4, v[20:21]
	v_add_co_u32_e32 v48, vcc, s12, v30
	v_addc_co_u32_e32 v49, vcc, v28, v31, vcc
	v_add_co_u32_e32 v50, vcc, s12, v36
	v_addc_co_u32_e32 v51, vcc, v28, v37, vcc
	global_load_dword v11, v[38:39], off
	global_load_dwordx4 v[30:33], v[46:47], off
	global_load_dwordx4 v[34:37], v[46:47], off offset:16
	v_mov_b32_e32 v25, v23
	v_add_u32_e32 v22, -8, v20
	v_lshlrev_b64 v[21:22], 4, v[22:23]
	v_add_u32_e32 v10, 16, v10
	s_waitcnt vmcnt(2)
	v_subrev_u32_e32 v11, s16, v11
	v_mul_lo_u32 v24, v11, 10
	v_lshlrev_b64 v[38:39], 4, v[24:25]
	v_add_co_u32_e32 v52, vcc, s14, v38
	v_addc_co_u32_e32 v53, vcc, v29, v39, vcc
	global_load_dwordx4 v[38:41], v[52:53], off
	global_load_dwordx4 v[42:45], v[52:53], off offset:16
	v_add_co_u32_e32 v21, vcc, s12, v21
	v_addc_co_u32_e32 v22, vcc, v28, v22, vcc
	s_waitcnt vmcnt(1)
	v_fma_f64 v[18:19], v[30:31], v[38:39], v[18:19]
	v_fma_f64 v[16:17], v[32:33], v[38:39], v[16:17]
	v_fma_f64 v[52:53], -v[32:33], v[40:41], v[18:19]
	v_fma_f64 v[54:55], v[30:31], v[40:41], v[16:17]
	global_load_dwordx4 v[16:19], v[48:49], off
	global_load_dwordx4 v[30:33], v[21:22], off
	v_add_u32_e32 v22, 2, v24
	s_waitcnt vmcnt(1)
	v_fma_f64 v[11:12], v[16:17], v[38:39], v[12:13]
	v_fma_f64 v[13:14], v[18:19], v[38:39], v[14:15]
	v_fma_f64 v[48:49], -v[18:19], v[40:41], v[11:12]
	v_fma_f64 v[56:57], v[16:17], v[40:41], v[13:14]
	global_load_dwordx4 v[11:14], v[46:47], off offset:32
	global_load_dwordx4 v[15:18], v[46:47], off offset:48
	global_load_dwordx4 v[38:41], v[50:51], off
	v_fma_f64 v[50:51], v[36:37], v[42:43], v[54:55]
	v_fma_f64 v[46:47], v[34:35], v[42:43], v[52:53]
	s_waitcnt vmcnt(3)
	v_fma_f64 v[48:49], v[30:31], v[42:43], v[48:49]
	v_fma_f64 v[42:43], v[32:33], v[42:43], v[56:57]
	;; [unrolled: 1-line block ×3, first 2 shown]
	v_lshlrev_b64 v[34:35], 4, v[22:23]
	v_fma_f64 v[46:47], -v[36:37], v[44:45], v[46:47]
	v_add_co_u32_e32 v34, vcc, s14, v34
	v_addc_co_u32_e32 v35, vcc, v29, v35, vcc
	v_fma_f64 v[48:49], -v[32:33], v[44:45], v[48:49]
	v_fma_f64 v[52:53], v[30:31], v[44:45], v[42:43]
	global_load_dwordx4 v[30:33], v[34:35], off
	v_add_u32_e32 v22, -7, v20
	v_lshlrev_b64 v[36:37], 4, v[22:23]
	v_add_u32_e32 v22, -6, v20
	v_add_co_u32_e32 v44, vcc, s12, v36
	v_addc_co_u32_e32 v45, vcc, v28, v37, vcc
	global_load_dwordx4 v[34:37], v[34:35], off offset:16
	v_lshlrev_b64 v[42:43], 4, v[22:23]
	v_add_u32_e32 v22, -15, v20
	v_add_co_u32_e32 v42, vcc, s12, v42
	v_addc_co_u32_e32 v43, vcc, v28, v43, vcc
	s_waitcnt vmcnt(1)
	v_fma_f64 v[46:47], v[11:12], v[30:31], v[46:47]
	v_fma_f64 v[50:51], v[13:14], v[30:31], v[50:51]
	v_fma_f64 v[46:47], -v[13:14], v[32:33], v[46:47]
	v_fma_f64 v[50:51], v[11:12], v[32:33], v[50:51]
	global_load_dwordx4 v[11:14], v[44:45], off
	s_waitcnt vmcnt(1)
	v_fma_f64 v[46:47], v[15:16], v[34:35], v[46:47]
	global_load_dwordx4 v[42:45], v[42:43], off
	v_fma_f64 v[50:51], v[17:18], v[34:35], v[50:51]
	v_fma_f64 v[46:47], -v[17:18], v[36:37], v[46:47]
	v_fma_f64 v[50:51], v[15:16], v[36:37], v[50:51]
	s_waitcnt vmcnt(1)
	v_fma_f64 v[48:49], v[11:12], v[30:31], v[48:49]
	v_fma_f64 v[30:31], v[13:14], v[30:31], v[52:53]
	v_fma_f64 v[48:49], -v[13:14], v[32:33], v[48:49]
	v_fma_f64 v[30:31], v[11:12], v[32:33], v[30:31]
	v_lshlrev_b64 v[11:12], 4, v[22:23]
	v_add_u32_e32 v22, 4, v24
	v_lshlrev_b64 v[13:14], 4, v[22:23]
	v_add_co_u32_e32 v11, vcc, s12, v11
	v_addc_co_u32_e32 v12, vcc, v28, v12, vcc
	s_waitcnt vmcnt(0)
	v_fma_f64 v[15:16], v[42:43], v[34:35], v[48:49]
	v_fma_f64 v[17:18], v[44:45], v[34:35], v[30:31]
	v_add_co_u32_e32 v52, vcc, s14, v13
	v_addc_co_u32_e32 v53, vcc, v29, v14, vcc
	global_load_dwordx4 v[11:14], v[11:12], off
	v_add_u32_e32 v22, -5, v20
	v_fma_f64 v[44:45], -v[44:45], v[36:37], v[15:16]
	v_fma_f64 v[42:43], v[42:43], v[36:37], v[17:18]
	global_load_dwordx4 v[15:18], v[52:53], off
	v_lshlrev_b64 v[32:33], 4, v[22:23]
	v_add_u32_e32 v22, -14, v20
	v_add_co_u32_e32 v34, vcc, s12, v32
	v_addc_co_u32_e32 v35, vcc, v28, v33, vcc
	global_load_dwordx4 v[34:37], v[34:35], off
	v_lshlrev_b64 v[54:55], 4, v[22:23]
	global_load_dwordx4 v[30:33], v[52:53], off offset:16
	v_add_co_u32_e32 v52, vcc, s12, v54
	v_addc_co_u32_e32 v53, vcc, v28, v55, vcc
	v_add_u32_e32 v22, -4, v20
	v_lshlrev_b64 v[48:49], 4, v[22:23]
	v_add_u32_e32 v22, -13, v20
	v_add_co_u32_e32 v48, vcc, s12, v48
	v_addc_co_u32_e32 v49, vcc, v28, v49, vcc
	v_lshlrev_b64 v[54:55], 4, v[22:23]
	v_add_u32_e32 v22, 6, v24
	s_waitcnt vmcnt(2)
	v_fma_f64 v[46:47], v[11:12], v[15:16], v[46:47]
	v_fma_f64 v[50:51], v[13:14], v[15:16], v[50:51]
	s_waitcnt vmcnt(1)
	v_fma_f64 v[44:45], v[34:35], v[15:16], v[44:45]
	v_fma_f64 v[46:47], -v[13:14], v[17:18], v[46:47]
	v_fma_f64 v[50:51], v[11:12], v[17:18], v[50:51]
	global_load_dwordx4 v[11:14], v[52:53], off
	v_fma_f64 v[15:16], v[36:37], v[15:16], v[42:43]
	v_fma_f64 v[42:43], -v[36:37], v[17:18], v[44:45]
	v_add_co_u32_e32 v36, vcc, s12, v54
	v_addc_co_u32_e32 v37, vcc, v28, v55, vcc
	v_fma_f64 v[44:45], v[34:35], v[17:18], v[15:16]
	global_load_dwordx4 v[15:18], v[48:49], off
	v_lshlrev_b64 v[34:35], 4, v[22:23]
	v_add_u32_e32 v22, -3, v20
	v_add_co_u32_e32 v52, vcc, s14, v34
	v_addc_co_u32_e32 v53, vcc, v29, v35, vcc
	global_load_dwordx4 v[34:37], v[36:37], off
	v_lshlrev_b64 v[48:49], 4, v[22:23]
	v_add_u32_e32 v22, -12, v20
	v_lshlrev_b64 v[54:55], 4, v[22:23]
	v_add_u32_e32 v22, -2, v20
	s_waitcnt vmcnt(2)
	v_fma_f64 v[46:47], v[11:12], v[30:31], v[46:47]
	v_fma_f64 v[50:51], v[13:14], v[30:31], v[50:51]
	v_fma_f64 v[46:47], -v[13:14], v[32:33], v[46:47]
	v_fma_f64 v[50:51], v[11:12], v[32:33], v[50:51]
	s_waitcnt vmcnt(1)
	v_fma_f64 v[11:12], v[15:16], v[30:31], v[42:43]
	v_fma_f64 v[13:14], v[17:18], v[30:31], v[44:45]
	v_add_co_u32_e32 v30, vcc, s12, v48
	v_addc_co_u32_e32 v31, vcc, v28, v49, vcc
	v_lshlrev_b64 v[48:49], 4, v[22:23]
	v_add_u32_e32 v22, -11, v20
	v_fma_f64 v[42:43], -v[17:18], v[32:33], v[11:12]
	v_fma_f64 v[44:45], v[15:16], v[32:33], v[13:14]
	global_load_dwordx4 v[11:14], v[52:53], off
	global_load_dwordx4 v[15:18], v[52:53], off offset:16
	v_add_co_u32_e32 v52, vcc, s12, v54
	global_load_dwordx4 v[30:33], v[30:31], off
	v_addc_co_u32_e32 v53, vcc, v28, v55, vcc
	v_lshlrev_b64 v[54:55], 4, v[22:23]
	v_add_u32_e32 v22, 8, v24
	v_add_co_u32_e32 v48, vcc, s12, v48
	v_addc_co_u32_e32 v49, vcc, v28, v49, vcc
	s_waitcnt vmcnt(2)
	v_fma_f64 v[24:25], v[34:35], v[11:12], v[46:47]
	v_fma_f64 v[46:47], v[36:37], v[11:12], v[50:51]
	v_lshlrev_b64 v[50:51], 4, v[22:23]
	v_add_u32_e32 v22, -1, v20
	s_waitcnt vmcnt(0)
	v_fma_f64 v[42:43], v[30:31], v[11:12], v[42:43]
	v_fma_f64 v[11:12], v[32:33], v[11:12], v[44:45]
	v_fma_f64 v[24:25], -v[36:37], v[13:14], v[24:25]
	v_fma_f64 v[46:47], v[34:35], v[13:14], v[46:47]
	global_load_dwordx4 v[34:37], v[52:53], off
	v_fma_f64 v[52:53], -v[32:33], v[13:14], v[42:43]
	v_fma_f64 v[56:57], v[30:31], v[13:14], v[11:12]
	global_load_dwordx4 v[11:14], v[48:49], off
	v_add_co_u32_e32 v30, vcc, s12, v54
	v_addc_co_u32_e32 v31, vcc, v28, v55, vcc
	v_lshlrev_b64 v[42:43], 4, v[22:23]
	v_add_co_u32_e32 v48, vcc, s14, v50
	v_addc_co_u32_e32 v49, vcc, v29, v51, vcc
	v_add_co_u32_e32 v42, vcc, s12, v42
	v_addc_co_u32_e32 v43, vcc, v28, v43, vcc
	global_load_dwordx4 v[30:33], v[30:31], off
	v_add_u32_e32 v22, -10, v20
	v_add_u32_e32 v20, 0x140, v20
	s_waitcnt vmcnt(2)
	v_fma_f64 v[24:25], v[34:35], v[15:16], v[24:25]
	v_fma_f64 v[44:45], v[36:37], v[15:16], v[46:47]
	s_waitcnt vmcnt(1)
	v_fma_f64 v[50:51], v[11:12], v[15:16], v[52:53]
	v_fma_f64 v[15:16], v[13:14], v[15:16], v[56:57]
	v_fma_f64 v[24:25], -v[36:37], v[17:18], v[24:25]
	v_fma_f64 v[46:47], v[34:35], v[17:18], v[44:45]
	global_load_dwordx4 v[34:37], v[48:49], off
	v_fma_f64 v[50:51], -v[13:14], v[17:18], v[50:51]
	global_load_dwordx4 v[42:45], v[42:43], off
	v_fma_f64 v[52:53], v[11:12], v[17:18], v[15:16]
	v_lshlrev_b64 v[16:17], 4, v[22:23]
	global_load_dwordx4 v[12:15], v[48:49], off offset:16
	v_add_co_u32_e32 v16, vcc, s12, v16
	v_addc_co_u32_e32 v17, vcc, v28, v17, vcc
	global_load_dwordx4 v[16:19], v[16:17], off
	v_cmp_ge_i32_e32 vcc, v10, v27
	s_or_b64 s[0:1], vcc, s[0:1]
	s_waitcnt vmcnt(3)
	v_fma_f64 v[21:22], v[30:31], v[34:35], v[24:25]
	v_fma_f64 v[24:25], v[32:33], v[34:35], v[46:47]
	s_waitcnt vmcnt(2)
	v_fma_f64 v[46:47], v[42:43], v[34:35], v[50:51]
	v_fma_f64 v[34:35], v[44:45], v[34:35], v[52:53]
	v_fma_f64 v[21:22], -v[32:33], v[36:37], v[21:22]
	v_fma_f64 v[24:25], v[30:31], v[36:37], v[24:25]
	v_fma_f64 v[30:31], -v[44:45], v[36:37], v[46:47]
	v_fma_f64 v[32:33], v[42:43], v[36:37], v[34:35]
	s_waitcnt vmcnt(0)
	v_fma_f64 v[21:22], v[16:17], v[12:13], v[21:22]
	v_fma_f64 v[24:25], v[18:19], v[12:13], v[24:25]
	;; [unrolled: 1-line block ×4, first 2 shown]
	v_fma_f64 v[18:19], -v[18:19], v[14:15], v[21:22]
	v_fma_f64 v[16:17], v[16:17], v[14:15], v[24:25]
	v_fma_f64 v[12:13], -v[40:41], v[14:15], v[30:31]
	v_fma_f64 v[14:15], v[38:39], v[14:15], v[32:33]
	s_andn2_b64 exec, exec, s[0:1]
	s_cbranch_execnz .LBB270_13
; %bb.14:
	s_or_b64 exec, exec, s[0:1]
.LBB270_15:
	s_or_b64 exec, exec, s[2:3]
.LBB270_16:
	v_mov_b32_dpp v10, v18 row_shr:1 row_mask:0xf bank_mask:0xf
	v_mov_b32_dpp v11, v19 row_shr:1 row_mask:0xf bank_mask:0xf
	v_add_f64 v[10:11], v[18:19], v[10:11]
	v_mov_b32_dpp v18, v16 row_shr:1 row_mask:0xf bank_mask:0xf
	v_mov_b32_dpp v19, v17 row_shr:1 row_mask:0xf bank_mask:0xf
	v_mov_b32_dpp v20, v12 row_shr:1 row_mask:0xf bank_mask:0xf
	v_add_f64 v[16:17], v[16:17], v[18:19]
	v_mov_b32_dpp v21, v13 row_shr:1 row_mask:0xf bank_mask:0xf
	v_add_f64 v[12:13], v[12:13], v[20:21]
	v_cmp_eq_u32_e32 vcc, 15, v0
	v_mov_b32_dpp v18, v10 row_shr:2 row_mask:0xf bank_mask:0xf
	v_mov_b32_dpp v19, v11 row_shr:2 row_mask:0xf bank_mask:0xf
	v_add_f64 v[10:11], v[10:11], v[18:19]
	v_mov_b32_dpp v18, v14 row_shr:1 row_mask:0xf bank_mask:0xf
	v_mov_b32_dpp v19, v15 row_shr:1 row_mask:0xf bank_mask:0xf
	v_add_f64 v[14:15], v[14:15], v[18:19]
	;; [unrolled: 3-line block ×4, first 2 shown]
	v_mov_b32_dpp v20, v10 row_shr:4 row_mask:0xf bank_mask:0xe
	v_mov_b32_dpp v12, v14 row_shr:2 row_mask:0xf bank_mask:0xf
	v_mov_b32_dpp v13, v15 row_shr:2 row_mask:0xf bank_mask:0xf
	v_add_f64 v[14:15], v[14:15], v[12:13]
	v_mov_b32_dpp v12, v16 row_shr:4 row_mask:0xf bank_mask:0xe
	v_mov_b32_dpp v13, v17 row_shr:4 row_mask:0xf bank_mask:0xe
	v_add_f64 v[12:13], v[16:17], v[12:13]
	v_mov_b32_dpp v16, v18 row_shr:4 row_mask:0xf bank_mask:0xe
	v_mov_b32_dpp v17, v19 row_shr:4 row_mask:0xf bank_mask:0xe
	;; [unrolled: 1-line block ×3, first 2 shown]
	v_add_f64 v[18:19], v[18:19], v[16:17]
	v_mov_b32_dpp v16, v14 row_shr:4 row_mask:0xf bank_mask:0xe
	v_mov_b32_dpp v17, v15 row_shr:4 row_mask:0xf bank_mask:0xe
	v_add_f64 v[10:11], v[10:11], v[20:21]
	v_add_f64 v[14:15], v[14:15], v[16:17]
	v_mov_b32_dpp v16, v12 row_shr:8 row_mask:0xf bank_mask:0xc
	v_mov_b32_dpp v17, v13 row_shr:8 row_mask:0xf bank_mask:0xc
	;; [unrolled: 1-line block ×8, first 2 shown]
	s_and_b64 exec, exec, vcc
	s_cbranch_execz .LBB270_21
; %bb.17:
	v_cmp_eq_f64_e32 vcc, 0, v[5:6]
	v_cmp_eq_f64_e64 s[0:1], 0, v[7:8]
	v_add_f64 v[10:11], v[10:11], v[24:25]
	v_add_f64 v[16:17], v[12:13], v[16:17]
	;; [unrolled: 1-line block ×4, first 2 shown]
	s_load_dwordx2 s[2:3], s[4:5], 0x48
	s_and_b64 s[0:1], vcc, s[0:1]
	s_and_saveexec_b64 s[4:5], s[0:1]
	s_xor_b64 s[0:1], exec, s[4:5]
	s_cbranch_execz .LBB270_19
; %bb.18:
	v_mul_f64 v[5:6], v[16:17], -v[3:4]
	v_mul_f64 v[7:8], v[1:2], v[16:17]
	v_mul_f64 v[16:17], v[14:15], -v[3:4]
	v_mul_f64 v[14:15], v[1:2], v[14:15]
	v_lshlrev_b32_e32 v9, 1, v9
	s_waitcnt lgkmcnt(0)
	v_mov_b32_e32 v18, s3
	v_fma_f64 v[5:6], v[1:2], v[10:11], v[5:6]
	v_fma_f64 v[7:8], v[3:4], v[10:11], v[7:8]
	;; [unrolled: 1-line block ×4, first 2 shown]
	v_ashrrev_i32_e32 v10, 31, v9
	v_lshlrev_b64 v[9:10], 4, v[9:10]
                                        ; implicit-def: $vgpr16_vgpr17
                                        ; implicit-def: $vgpr12_vgpr13
                                        ; implicit-def: $vgpr14_vgpr15
	v_add_co_u32_e32 v9, vcc, s2, v9
	v_addc_co_u32_e32 v10, vcc, v18, v10, vcc
	global_store_dwordx4 v[9:10], v[5:8], off
	global_store_dwordx4 v[9:10], v[0:3], off offset:16
                                        ; implicit-def: $vgpr9
                                        ; implicit-def: $vgpr10_vgpr11
                                        ; implicit-def: $vgpr7_vgpr8
                                        ; implicit-def: $vgpr3_vgpr4
.LBB270_19:
	s_andn2_saveexec_b64 s[0:1], s[0:1]
	s_cbranch_execz .LBB270_21
; %bb.20:
	v_lshlrev_b32_e32 v18, 1, v9
	v_ashrrev_i32_e32 v19, 31, v18
	v_lshlrev_b64 v[18:19], 4, v[18:19]
	s_waitcnt lgkmcnt(0)
	v_mov_b32_e32 v0, s3
	v_add_co_u32_e32 v26, vcc, s2, v18
	v_addc_co_u32_e32 v27, vcc, v0, v19, vcc
	global_load_dwordx4 v[18:21], v[26:27], off
	global_load_dwordx4 v[22:25], v[26:27], off offset:16
	v_mul_f64 v[28:29], v[16:17], -v[3:4]
	v_mul_f64 v[16:17], v[1:2], v[16:17]
	v_mul_f64 v[30:31], v[14:15], -v[3:4]
	v_mul_f64 v[14:15], v[1:2], v[14:15]
	v_fma_f64 v[28:29], v[1:2], v[10:11], v[28:29]
	v_fma_f64 v[9:10], v[3:4], v[10:11], v[16:17]
	;; [unrolled: 1-line block ×4, first 2 shown]
	s_waitcnt vmcnt(1)
	v_fma_f64 v[11:12], v[5:6], v[18:19], v[28:29]
	v_fma_f64 v[9:10], v[7:8], v[18:19], v[9:10]
	s_waitcnt vmcnt(0)
	v_fma_f64 v[13:14], v[5:6], v[22:23], v[0:1]
	v_fma_f64 v[15:16], v[7:8], v[22:23], v[2:3]
	v_fma_f64 v[0:1], -v[7:8], v[20:21], v[11:12]
	v_fma_f64 v[2:3], v[5:6], v[20:21], v[9:10]
	v_fma_f64 v[7:8], -v[7:8], v[24:25], v[13:14]
	v_fma_f64 v[9:10], v[5:6], v[24:25], v[15:16]
	global_store_dwordx4 v[26:27], v[0:3], off
	global_store_dwordx4 v[26:27], v[7:10], off offset:16
.LBB270_21:
	s_endpgm
	.section	.rodata,"a",@progbits
	.p2align	6, 0x0
	.amdhsa_kernel _ZN9rocsparseL19gebsrmvn_2xn_kernelILj128ELj10ELj16E21rocsparse_complex_numIdEEEvi20rocsparse_direction_NS_24const_host_device_scalarIT2_EEPKiS8_PKS5_SA_S6_PS5_21rocsparse_index_base_b
		.amdhsa_group_segment_fixed_size 0
		.amdhsa_private_segment_fixed_size 0
		.amdhsa_kernarg_size 88
		.amdhsa_user_sgpr_count 6
		.amdhsa_user_sgpr_private_segment_buffer 1
		.amdhsa_user_sgpr_dispatch_ptr 0
		.amdhsa_user_sgpr_queue_ptr 0
		.amdhsa_user_sgpr_kernarg_segment_ptr 1
		.amdhsa_user_sgpr_dispatch_id 0
		.amdhsa_user_sgpr_flat_scratch_init 0
		.amdhsa_user_sgpr_private_segment_size 0
		.amdhsa_uses_dynamic_stack 0
		.amdhsa_system_sgpr_private_segment_wavefront_offset 0
		.amdhsa_system_sgpr_workgroup_id_x 1
		.amdhsa_system_sgpr_workgroup_id_y 0
		.amdhsa_system_sgpr_workgroup_id_z 0
		.amdhsa_system_sgpr_workgroup_info 0
		.amdhsa_system_vgpr_workitem_id 0
		.amdhsa_next_free_vgpr 58
		.amdhsa_next_free_sgpr 20
		.amdhsa_reserve_vcc 1
		.amdhsa_reserve_flat_scratch 0
		.amdhsa_float_round_mode_32 0
		.amdhsa_float_round_mode_16_64 0
		.amdhsa_float_denorm_mode_32 3
		.amdhsa_float_denorm_mode_16_64 3
		.amdhsa_dx10_clamp 1
		.amdhsa_ieee_mode 1
		.amdhsa_fp16_overflow 0
		.amdhsa_exception_fp_ieee_invalid_op 0
		.amdhsa_exception_fp_denorm_src 0
		.amdhsa_exception_fp_ieee_div_zero 0
		.amdhsa_exception_fp_ieee_overflow 0
		.amdhsa_exception_fp_ieee_underflow 0
		.amdhsa_exception_fp_ieee_inexact 0
		.amdhsa_exception_int_div_zero 0
	.end_amdhsa_kernel
	.section	.text._ZN9rocsparseL19gebsrmvn_2xn_kernelILj128ELj10ELj16E21rocsparse_complex_numIdEEEvi20rocsparse_direction_NS_24const_host_device_scalarIT2_EEPKiS8_PKS5_SA_S6_PS5_21rocsparse_index_base_b,"axG",@progbits,_ZN9rocsparseL19gebsrmvn_2xn_kernelILj128ELj10ELj16E21rocsparse_complex_numIdEEEvi20rocsparse_direction_NS_24const_host_device_scalarIT2_EEPKiS8_PKS5_SA_S6_PS5_21rocsparse_index_base_b,comdat
.Lfunc_end270:
	.size	_ZN9rocsparseL19gebsrmvn_2xn_kernelILj128ELj10ELj16E21rocsparse_complex_numIdEEEvi20rocsparse_direction_NS_24const_host_device_scalarIT2_EEPKiS8_PKS5_SA_S6_PS5_21rocsparse_index_base_b, .Lfunc_end270-_ZN9rocsparseL19gebsrmvn_2xn_kernelILj128ELj10ELj16E21rocsparse_complex_numIdEEEvi20rocsparse_direction_NS_24const_host_device_scalarIT2_EEPKiS8_PKS5_SA_S6_PS5_21rocsparse_index_base_b
                                        ; -- End function
	.set _ZN9rocsparseL19gebsrmvn_2xn_kernelILj128ELj10ELj16E21rocsparse_complex_numIdEEEvi20rocsparse_direction_NS_24const_host_device_scalarIT2_EEPKiS8_PKS5_SA_S6_PS5_21rocsparse_index_base_b.num_vgpr, 58
	.set _ZN9rocsparseL19gebsrmvn_2xn_kernelILj128ELj10ELj16E21rocsparse_complex_numIdEEEvi20rocsparse_direction_NS_24const_host_device_scalarIT2_EEPKiS8_PKS5_SA_S6_PS5_21rocsparse_index_base_b.num_agpr, 0
	.set _ZN9rocsparseL19gebsrmvn_2xn_kernelILj128ELj10ELj16E21rocsparse_complex_numIdEEEvi20rocsparse_direction_NS_24const_host_device_scalarIT2_EEPKiS8_PKS5_SA_S6_PS5_21rocsparse_index_base_b.numbered_sgpr, 20
	.set _ZN9rocsparseL19gebsrmvn_2xn_kernelILj128ELj10ELj16E21rocsparse_complex_numIdEEEvi20rocsparse_direction_NS_24const_host_device_scalarIT2_EEPKiS8_PKS5_SA_S6_PS5_21rocsparse_index_base_b.num_named_barrier, 0
	.set _ZN9rocsparseL19gebsrmvn_2xn_kernelILj128ELj10ELj16E21rocsparse_complex_numIdEEEvi20rocsparse_direction_NS_24const_host_device_scalarIT2_EEPKiS8_PKS5_SA_S6_PS5_21rocsparse_index_base_b.private_seg_size, 0
	.set _ZN9rocsparseL19gebsrmvn_2xn_kernelILj128ELj10ELj16E21rocsparse_complex_numIdEEEvi20rocsparse_direction_NS_24const_host_device_scalarIT2_EEPKiS8_PKS5_SA_S6_PS5_21rocsparse_index_base_b.uses_vcc, 1
	.set _ZN9rocsparseL19gebsrmvn_2xn_kernelILj128ELj10ELj16E21rocsparse_complex_numIdEEEvi20rocsparse_direction_NS_24const_host_device_scalarIT2_EEPKiS8_PKS5_SA_S6_PS5_21rocsparse_index_base_b.uses_flat_scratch, 0
	.set _ZN9rocsparseL19gebsrmvn_2xn_kernelILj128ELj10ELj16E21rocsparse_complex_numIdEEEvi20rocsparse_direction_NS_24const_host_device_scalarIT2_EEPKiS8_PKS5_SA_S6_PS5_21rocsparse_index_base_b.has_dyn_sized_stack, 0
	.set _ZN9rocsparseL19gebsrmvn_2xn_kernelILj128ELj10ELj16E21rocsparse_complex_numIdEEEvi20rocsparse_direction_NS_24const_host_device_scalarIT2_EEPKiS8_PKS5_SA_S6_PS5_21rocsparse_index_base_b.has_recursion, 0
	.set _ZN9rocsparseL19gebsrmvn_2xn_kernelILj128ELj10ELj16E21rocsparse_complex_numIdEEEvi20rocsparse_direction_NS_24const_host_device_scalarIT2_EEPKiS8_PKS5_SA_S6_PS5_21rocsparse_index_base_b.has_indirect_call, 0
	.section	.AMDGPU.csdata,"",@progbits
; Kernel info:
; codeLenInByte = 4040
; TotalNumSgprs: 24
; NumVgprs: 58
; ScratchSize: 0
; MemoryBound: 1
; FloatMode: 240
; IeeeMode: 1
; LDSByteSize: 0 bytes/workgroup (compile time only)
; SGPRBlocks: 2
; VGPRBlocks: 14
; NumSGPRsForWavesPerEU: 24
; NumVGPRsForWavesPerEU: 58
; Occupancy: 4
; WaveLimiterHint : 1
; COMPUTE_PGM_RSRC2:SCRATCH_EN: 0
; COMPUTE_PGM_RSRC2:USER_SGPR: 6
; COMPUTE_PGM_RSRC2:TRAP_HANDLER: 0
; COMPUTE_PGM_RSRC2:TGID_X_EN: 1
; COMPUTE_PGM_RSRC2:TGID_Y_EN: 0
; COMPUTE_PGM_RSRC2:TGID_Z_EN: 0
; COMPUTE_PGM_RSRC2:TIDIG_COMP_CNT: 0
	.section	.text._ZN9rocsparseL19gebsrmvn_2xn_kernelILj128ELj10ELj32E21rocsparse_complex_numIdEEEvi20rocsparse_direction_NS_24const_host_device_scalarIT2_EEPKiS8_PKS5_SA_S6_PS5_21rocsparse_index_base_b,"axG",@progbits,_ZN9rocsparseL19gebsrmvn_2xn_kernelILj128ELj10ELj32E21rocsparse_complex_numIdEEEvi20rocsparse_direction_NS_24const_host_device_scalarIT2_EEPKiS8_PKS5_SA_S6_PS5_21rocsparse_index_base_b,comdat
	.globl	_ZN9rocsparseL19gebsrmvn_2xn_kernelILj128ELj10ELj32E21rocsparse_complex_numIdEEEvi20rocsparse_direction_NS_24const_host_device_scalarIT2_EEPKiS8_PKS5_SA_S6_PS5_21rocsparse_index_base_b ; -- Begin function _ZN9rocsparseL19gebsrmvn_2xn_kernelILj128ELj10ELj32E21rocsparse_complex_numIdEEEvi20rocsparse_direction_NS_24const_host_device_scalarIT2_EEPKiS8_PKS5_SA_S6_PS5_21rocsparse_index_base_b
	.p2align	8
	.type	_ZN9rocsparseL19gebsrmvn_2xn_kernelILj128ELj10ELj32E21rocsparse_complex_numIdEEEvi20rocsparse_direction_NS_24const_host_device_scalarIT2_EEPKiS8_PKS5_SA_S6_PS5_21rocsparse_index_base_b,@function
_ZN9rocsparseL19gebsrmvn_2xn_kernelILj128ELj10ELj32E21rocsparse_complex_numIdEEEvi20rocsparse_direction_NS_24const_host_device_scalarIT2_EEPKiS8_PKS5_SA_S6_PS5_21rocsparse_index_base_b: ; @_ZN9rocsparseL19gebsrmvn_2xn_kernelILj128ELj10ELj32E21rocsparse_complex_numIdEEEvi20rocsparse_direction_NS_24const_host_device_scalarIT2_EEPKiS8_PKS5_SA_S6_PS5_21rocsparse_index_base_b
; %bb.0:
	s_load_dwordx2 s[0:1], s[4:5], 0x8
	s_load_dwordx2 s[2:3], s[4:5], 0x38
	;; [unrolled: 1-line block ×3, first 2 shown]
	s_add_u32 s7, s4, 8
	s_addc_u32 s8, s5, 0
	s_add_u32 s9, s4, 56
	s_addc_u32 s10, s5, 0
	s_waitcnt lgkmcnt(0)
	s_bitcmp1_b32 s17, 0
	s_cselect_b32 s1, s8, s1
	s_cselect_b32 s0, s7, s0
	v_mov_b32_e32 v1, s0
	v_mov_b32_e32 v2, s1
	flat_load_dwordx4 v[1:4], v[1:2]
	s_cselect_b32 s0, s10, s3
	s_cselect_b32 s1, s9, s2
	v_mov_b32_e32 v5, s1
	v_mov_b32_e32 v6, s0
	flat_load_dwordx4 v[5:8], v[5:6]
	s_waitcnt vmcnt(0) lgkmcnt(0)
	v_cmp_eq_f64_e32 vcc, 0, v[1:2]
	v_cmp_eq_f64_e64 s[0:1], 0, v[3:4]
	s_and_b64 s[8:9], vcc, s[0:1]
	s_mov_b64 s[0:1], -1
	s_and_saveexec_b64 s[2:3], s[8:9]
	s_cbranch_execz .LBB271_2
; %bb.1:
	v_cmp_neq_f64_e32 vcc, 1.0, v[5:6]
	v_cmp_neq_f64_e64 s[0:1], 0, v[7:8]
	s_or_b64 s[0:1], vcc, s[0:1]
	s_orn2_b64 s[0:1], s[0:1], exec
.LBB271_2:
	s_or_b64 exec, exec, s[2:3]
	s_and_saveexec_b64 s[2:3], s[0:1]
	s_cbranch_execz .LBB271_21
; %bb.3:
	s_load_dwordx2 s[0:1], s[4:5], 0x0
	v_lshrrev_b32_e32 v9, 5, v0
	v_lshl_or_b32 v9, s6, 2, v9
	s_waitcnt lgkmcnt(0)
	v_cmp_gt_i32_e32 vcc, s0, v9
	s_and_b64 exec, exec, vcc
	s_cbranch_execz .LBB271_21
; %bb.4:
	s_load_dwordx8 s[8:15], s[4:5], 0x18
	v_ashrrev_i32_e32 v10, 31, v9
	v_lshlrev_b64 v[10:11], 2, v[9:10]
	v_and_b32_e32 v0, 31, v0
	s_cmp_lg_u32 s1, 0
	s_waitcnt lgkmcnt(0)
	v_mov_b32_e32 v12, s9
	v_add_co_u32_e32 v10, vcc, s8, v10
	v_addc_co_u32_e32 v11, vcc, v12, v11, vcc
	global_load_dwordx2 v[10:11], v[10:11], off
	s_waitcnt vmcnt(0)
	v_subrev_u32_e32 v10, s16, v10
	v_subrev_u32_e32 v27, s16, v11
	v_add_u32_e32 v10, v10, v0
	v_cmp_lt_i32_e64 s[0:1], v10, v27
	s_cbranch_scc0 .LBB271_10
; %bb.5:
	v_mov_b32_e32 v16, 0
	v_mov_b32_e32 v18, 0
	;; [unrolled: 1-line block ×8, first 2 shown]
	s_and_saveexec_b64 s[8:9], s[0:1]
	s_cbranch_execz .LBB271_9
; %bb.6:
	v_mad_u64_u32 v[20:21], s[2:3], v10, 20, 18
	v_mov_b32_e32 v16, 0
	v_mov_b32_e32 v18, 0
	;; [unrolled: 1-line block ×5, first 2 shown]
	s_mov_b64 s[18:19], 0
	v_mov_b32_e32 v11, s11
	v_mov_b32_e32 v23, 0
	;; [unrolled: 1-line block ×8, first 2 shown]
.LBB271_7:                              ; =>This Inner Loop Header: Depth=1
	v_ashrrev_i32_e32 v25, 31, v24
	v_subrev_u32_e32 v22, 18, v20
	v_lshlrev_b64 v[30:31], 2, v[24:25]
	v_lshlrev_b64 v[32:33], 4, v[22:23]
	v_add_co_u32_e32 v36, vcc, s10, v30
	v_add_co_u32_e64 v38, s[2:3], s12, v32
	v_addc_co_u32_e32 v37, vcc, v11, v31, vcc
	v_addc_co_u32_e64 v39, vcc, v28, v33, s[2:3]
	global_load_dword v25, v[36:37], off
	global_load_dwordx4 v[30:33], v[38:39], off
	v_mov_b32_e32 v21, v23
	v_lshlrev_b64 v[34:35], 4, v[20:21]
	v_mov_b32_e32 v26, v23
	v_add_co_u32_e64 v40, s[6:7], s12, v34
	v_addc_co_u32_e64 v41, vcc, v28, v35, s[6:7]
	v_add_u32_e32 v22, -14, v20
	v_lshlrev_b64 v[21:22], 4, v[22:23]
	v_add_u32_e32 v24, 32, v24
	s_waitcnt vmcnt(1)
	v_subrev_u32_e32 v25, s16, v25
	v_mul_lo_u32 v25, v25, 10
	v_lshlrev_b64 v[34:35], 4, v[25:26]
	v_add_co_u32_e32 v42, vcc, s14, v34
	v_addc_co_u32_e32 v43, vcc, v29, v35, vcc
	global_load_dwordx4 v[34:37], v[42:43], off
	v_add_co_u32_e32 v21, vcc, s12, v21
	v_addc_co_u32_e32 v22, vcc, v28, v22, vcc
	s_waitcnt vmcnt(0)
	v_fma_f64 v[18:19], v[30:31], v[34:35], v[18:19]
	v_fma_f64 v[16:17], v[32:33], v[34:35], v[16:17]
	v_fma_f64 v[44:45], -v[32:33], v[36:37], v[18:19]
	v_fma_f64 v[46:47], v[30:31], v[36:37], v[16:17]
	global_load_dwordx4 v[16:19], v[38:39], off offset:16
	s_waitcnt vmcnt(0)
	v_fma_f64 v[12:13], v[16:17], v[34:35], v[12:13]
	v_fma_f64 v[14:15], v[18:19], v[34:35], v[14:15]
	v_fma_f64 v[34:35], -v[18:19], v[36:37], v[12:13]
	v_fma_f64 v[36:37], v[16:17], v[36:37], v[14:15]
	global_load_dwordx4 v[12:15], v[38:39], off offset:48
	global_load_dwordx4 v[16:19], v[38:39], off offset:32
	;; [unrolled: 1-line block ×3, first 2 shown]
	s_waitcnt vmcnt(0)
	v_fma_f64 v[38:39], v[16:17], v[30:31], v[44:45]
	v_fma_f64 v[42:43], v[18:19], v[30:31], v[46:47]
	v_fma_f64 v[34:35], v[12:13], v[30:31], v[34:35]
	v_fma_f64 v[30:31], v[14:15], v[30:31], v[36:37]
	v_fma_f64 v[38:39], -v[18:19], v[32:33], v[38:39]
	v_fma_f64 v[42:43], v[16:17], v[32:33], v[42:43]
	global_load_dwordx4 v[16:19], v[21:22], off offset:16
	v_fma_f64 v[34:35], -v[14:15], v[32:33], v[34:35]
	v_fma_f64 v[36:37], v[12:13], v[32:33], v[30:31]
	global_load_dwordx4 v[12:15], v[21:22], off
	v_add_u32_e32 v22, 2, v25
	v_lshlrev_b64 v[30:31], 4, v[22:23]
	v_add_u32_e32 v22, -12, v20
	v_add_co_u32_e32 v44, vcc, s14, v30
	v_addc_co_u32_e32 v45, vcc, v29, v31, vcc
	global_load_dwordx4 v[30:33], v[44:45], off
	v_lshlrev_b64 v[46:47], 4, v[22:23]
	v_add_u32_e32 v22, -10, v20
	v_lshlrev_b64 v[48:49], 4, v[22:23]
	v_add_u32_e32 v22, 4, v25
	s_waitcnt vmcnt(0)
	v_fma_f64 v[38:39], v[12:13], v[30:31], v[38:39]
	v_fma_f64 v[42:43], v[14:15], v[30:31], v[42:43]
	v_fma_f64 v[38:39], -v[14:15], v[32:33], v[38:39]
	v_fma_f64 v[42:43], v[12:13], v[32:33], v[42:43]
	v_fma_f64 v[12:13], v[16:17], v[30:31], v[34:35]
	;; [unrolled: 1-line block ×3, first 2 shown]
	v_add_co_u32_e32 v34, vcc, s12, v46
	v_addc_co_u32_e32 v35, vcc, v28, v47, vcc
	v_lshlrev_b64 v[36:37], 4, v[22:23]
	v_add_u32_e32 v22, -8, v20
	v_fma_f64 v[30:31], -v[18:19], v[32:33], v[12:13]
	v_fma_f64 v[32:33], v[16:17], v[32:33], v[14:15]
	global_load_dwordx4 v[12:15], v[44:45], off offset:16
	global_load_dwordx4 v[16:19], v[34:35], off
	v_add_co_u32_e32 v44, vcc, s12, v48
	v_addc_co_u32_e32 v45, vcc, v28, v49, vcc
	v_lshlrev_b64 v[46:47], 4, v[22:23]
	v_add_u32_e32 v22, -6, v20
	s_waitcnt vmcnt(0)
	v_fma_f64 v[38:39], v[16:17], v[12:13], v[38:39]
	v_fma_f64 v[42:43], v[18:19], v[12:13], v[42:43]
	v_fma_f64 v[38:39], -v[18:19], v[14:15], v[38:39]
	v_fma_f64 v[42:43], v[16:17], v[14:15], v[42:43]
	global_load_dwordx4 v[16:19], v[34:35], off offset:16
	v_add_co_u32_e32 v34, vcc, s14, v36
	v_addc_co_u32_e32 v35, vcc, v29, v37, vcc
	s_waitcnt vmcnt(0)
	v_fma_f64 v[30:31], v[16:17], v[12:13], v[30:31]
	v_fma_f64 v[12:13], v[18:19], v[12:13], v[32:33]
	v_fma_f64 v[30:31], -v[18:19], v[14:15], v[30:31]
	v_fma_f64 v[32:33], v[16:17], v[14:15], v[12:13]
	global_load_dwordx4 v[12:15], v[44:45], off
	global_load_dwordx4 v[16:19], v[34:35], off
	s_waitcnt vmcnt(0)
	v_fma_f64 v[36:37], v[12:13], v[16:17], v[38:39]
	v_fma_f64 v[38:39], v[14:15], v[16:17], v[42:43]
	v_lshlrev_b64 v[42:43], 4, v[22:23]
	v_add_u32_e32 v22, 6, v25
	v_lshlrev_b64 v[48:49], 4, v[22:23]
	v_add_u32_e32 v22, -4, v20
	v_fma_f64 v[36:37], -v[14:15], v[18:19], v[36:37]
	v_fma_f64 v[38:39], v[12:13], v[18:19], v[38:39]
	global_load_dwordx4 v[12:15], v[44:45], off offset:16
	v_add_co_u32_e32 v44, vcc, s12, v46
	v_addc_co_u32_e32 v45, vcc, v28, v47, vcc
	v_lshlrev_b64 v[46:47], 4, v[22:23]
	v_add_u32_e32 v22, -2, v20
	v_add_u32_e32 v20, 0x280, v20
	s_waitcnt vmcnt(0)
	v_fma_f64 v[30:31], v[12:13], v[16:17], v[30:31]
	v_fma_f64 v[16:17], v[14:15], v[16:17], v[32:33]
	v_fma_f64 v[30:31], -v[14:15], v[18:19], v[30:31]
	v_fma_f64 v[32:33], v[12:13], v[18:19], v[16:17]
	global_load_dwordx4 v[12:15], v[34:35], off offset:16
	global_load_dwordx4 v[16:19], v[44:45], off
	s_waitcnt vmcnt(0)
	v_fma_f64 v[34:35], v[16:17], v[12:13], v[36:37]
	v_fma_f64 v[36:37], v[18:19], v[12:13], v[38:39]
	v_add_co_u32_e32 v38, vcc, s12, v42
	v_addc_co_u32_e32 v39, vcc, v28, v43, vcc
	v_add_co_u32_e32 v42, vcc, s14, v48
	v_fma_f64 v[34:35], -v[18:19], v[14:15], v[34:35]
	v_fma_f64 v[36:37], v[16:17], v[14:15], v[36:37]
	global_load_dwordx4 v[16:19], v[44:45], off offset:16
	v_addc_co_u32_e32 v43, vcc, v29, v49, vcc
	v_lshlrev_b64 v[44:45], 4, v[22:23]
	v_add_u32_e32 v22, 8, v25
	v_add_co_u32_e32 v21, vcc, s12, v46
	v_lshlrev_b64 v[48:49], 4, v[22:23]
	v_addc_co_u32_e32 v22, vcc, v28, v47, vcc
	s_waitcnt vmcnt(0)
	v_fma_f64 v[30:31], v[16:17], v[12:13], v[30:31]
	v_fma_f64 v[12:13], v[18:19], v[12:13], v[32:33]
	v_fma_f64 v[30:31], -v[18:19], v[14:15], v[30:31]
	v_fma_f64 v[32:33], v[16:17], v[14:15], v[12:13]
	global_load_dwordx4 v[12:15], v[38:39], off
	global_load_dwordx4 v[16:19], v[42:43], off
	s_waitcnt vmcnt(0)
	v_fma_f64 v[25:26], v[12:13], v[16:17], v[34:35]
	v_fma_f64 v[34:35], v[14:15], v[16:17], v[36:37]
	v_fma_f64 v[25:26], -v[14:15], v[18:19], v[25:26]
	v_fma_f64 v[34:35], v[12:13], v[18:19], v[34:35]
	global_load_dwordx4 v[12:15], v[38:39], off offset:16
	s_waitcnt vmcnt(0)
	v_fma_f64 v[30:31], v[12:13], v[16:17], v[30:31]
	v_fma_f64 v[16:17], v[14:15], v[16:17], v[32:33]
	v_fma_f64 v[36:37], -v[14:15], v[18:19], v[30:31]
	v_fma_f64 v[38:39], v[12:13], v[18:19], v[16:17]
	global_load_dwordx4 v[12:15], v[42:43], off offset:16
	global_load_dwordx4 v[16:19], v[21:22], off
	global_load_dwordx4 v[30:33], v[21:22], off offset:16
	v_add_co_u32_e32 v42, vcc, s12, v44
	v_addc_co_u32_e32 v43, vcc, v28, v45, vcc
	v_add_co_u32_e32 v44, vcc, s14, v48
	v_addc_co_u32_e32 v45, vcc, v29, v49, vcc
	v_cmp_ge_i32_e32 vcc, v24, v27
	s_or_b64 s[18:19], vcc, s[18:19]
	s_waitcnt vmcnt(1)
	v_fma_f64 v[21:22], v[16:17], v[12:13], v[25:26]
	v_fma_f64 v[25:26], v[18:19], v[12:13], v[34:35]
	v_fma_f64 v[21:22], -v[18:19], v[14:15], v[21:22]
	v_fma_f64 v[25:26], v[16:17], v[14:15], v[25:26]
	s_waitcnt vmcnt(0)
	v_fma_f64 v[16:17], v[30:31], v[12:13], v[36:37]
	v_fma_f64 v[12:13], v[32:33], v[12:13], v[38:39]
	v_fma_f64 v[38:39], -v[32:33], v[14:15], v[16:17]
	v_fma_f64 v[46:47], v[30:31], v[14:15], v[12:13]
	global_load_dwordx4 v[12:15], v[42:43], off offset:16
	global_load_dwordx4 v[16:19], v[42:43], off
	global_load_dwordx4 v[30:33], v[44:45], off
	s_waitcnt vmcnt(0)
	v_fma_f64 v[21:22], v[16:17], v[30:31], v[21:22]
	v_fma_f64 v[25:26], v[18:19], v[30:31], v[25:26]
	;; [unrolled: 1-line block ×4, first 2 shown]
	v_fma_f64 v[21:22], -v[18:19], v[32:33], v[21:22]
	v_fma_f64 v[25:26], v[16:17], v[32:33], v[25:26]
	global_load_dwordx4 v[16:19], v[40:41], off
	global_load_dwordx4 v[34:37], v[40:41], off offset:16
	v_fma_f64 v[38:39], -v[14:15], v[32:33], v[38:39]
	v_fma_f64 v[30:31], v[12:13], v[32:33], v[30:31]
	global_load_dwordx4 v[12:15], v[44:45], off offset:16
	s_waitcnt vmcnt(0)
	v_fma_f64 v[21:22], v[16:17], v[12:13], v[21:22]
	v_fma_f64 v[25:26], v[18:19], v[12:13], v[25:26]
	;; [unrolled: 1-line block ×4, first 2 shown]
	v_fma_f64 v[18:19], -v[18:19], v[14:15], v[21:22]
	v_fma_f64 v[16:17], v[16:17], v[14:15], v[25:26]
	v_fma_f64 v[12:13], -v[36:37], v[14:15], v[32:33]
	v_fma_f64 v[14:15], v[34:35], v[14:15], v[30:31]
	s_andn2_b64 exec, exec, s[18:19]
	s_cbranch_execnz .LBB271_7
; %bb.8:
	s_or_b64 exec, exec, s[18:19]
.LBB271_9:
	s_or_b64 exec, exec, s[8:9]
	s_cbranch_execz .LBB271_11
	s_branch .LBB271_16
.LBB271_10:
                                        ; implicit-def: $vgpr16_vgpr17
                                        ; implicit-def: $vgpr18_vgpr19
                                        ; implicit-def: $vgpr12_vgpr13
                                        ; implicit-def: $vgpr14_vgpr15
.LBB271_11:
	v_mov_b32_e32 v16, 0
	v_mov_b32_e32 v18, 0
	;; [unrolled: 1-line block ×8, first 2 shown]
	s_and_saveexec_b64 s[2:3], s[0:1]
	s_cbranch_execz .LBB271_15
; %bb.12:
	v_mad_u64_u32 v[20:21], s[0:1], v10, 20, 19
	v_mov_b32_e32 v16, 0
	v_mov_b32_e32 v18, 0
	;; [unrolled: 1-line block ×5, first 2 shown]
	s_mov_b64 s[0:1], 0
	v_mov_b32_e32 v26, s11
	v_mov_b32_e32 v23, 0
	v_mov_b32_e32 v28, s13
	v_mov_b32_e32 v19, 0
	v_mov_b32_e32 v13, 0
	v_mov_b32_e32 v15, 0
	v_mov_b32_e32 v29, s15
.LBB271_13:                             ; =>This Inner Loop Header: Depth=1
	v_ashrrev_i32_e32 v11, 31, v10
	v_lshlrev_b64 v[32:33], 2, v[10:11]
	v_subrev_u32_e32 v22, 19, v20
	v_lshlrev_b64 v[34:35], 4, v[22:23]
	v_add_co_u32_e32 v38, vcc, s10, v32
	v_add_u32_e32 v30, -9, v20
	v_mov_b32_e32 v31, v23
	v_addc_co_u32_e32 v39, vcc, v26, v33, vcc
	v_lshlrev_b64 v[30:31], 4, v[30:31]
	v_add_co_u32_e32 v46, vcc, s12, v34
	v_mov_b32_e32 v21, v23
	v_addc_co_u32_e32 v47, vcc, v28, v35, vcc
	v_lshlrev_b64 v[36:37], 4, v[20:21]
	v_add_co_u32_e32 v48, vcc, s12, v30
	v_addc_co_u32_e32 v49, vcc, v28, v31, vcc
	v_add_co_u32_e32 v50, vcc, s12, v36
	v_addc_co_u32_e32 v51, vcc, v28, v37, vcc
	global_load_dword v11, v[38:39], off
	global_load_dwordx4 v[30:33], v[46:47], off
	global_load_dwordx4 v[34:37], v[46:47], off offset:16
	v_mov_b32_e32 v25, v23
	v_add_u32_e32 v22, -8, v20
	v_lshlrev_b64 v[21:22], 4, v[22:23]
	v_add_u32_e32 v10, 32, v10
	s_waitcnt vmcnt(2)
	v_subrev_u32_e32 v11, s16, v11
	v_mul_lo_u32 v24, v11, 10
	v_lshlrev_b64 v[38:39], 4, v[24:25]
	v_add_co_u32_e32 v52, vcc, s14, v38
	v_addc_co_u32_e32 v53, vcc, v29, v39, vcc
	global_load_dwordx4 v[38:41], v[52:53], off
	global_load_dwordx4 v[42:45], v[52:53], off offset:16
	v_add_co_u32_e32 v21, vcc, s12, v21
	v_addc_co_u32_e32 v22, vcc, v28, v22, vcc
	s_waitcnt vmcnt(1)
	v_fma_f64 v[18:19], v[30:31], v[38:39], v[18:19]
	v_fma_f64 v[16:17], v[32:33], v[38:39], v[16:17]
	v_fma_f64 v[52:53], -v[32:33], v[40:41], v[18:19]
	v_fma_f64 v[54:55], v[30:31], v[40:41], v[16:17]
	global_load_dwordx4 v[16:19], v[48:49], off
	global_load_dwordx4 v[30:33], v[21:22], off
	v_add_u32_e32 v22, 2, v24
	s_waitcnt vmcnt(1)
	v_fma_f64 v[11:12], v[16:17], v[38:39], v[12:13]
	v_fma_f64 v[13:14], v[18:19], v[38:39], v[14:15]
	v_fma_f64 v[48:49], -v[18:19], v[40:41], v[11:12]
	v_fma_f64 v[56:57], v[16:17], v[40:41], v[13:14]
	global_load_dwordx4 v[11:14], v[46:47], off offset:32
	global_load_dwordx4 v[15:18], v[46:47], off offset:48
	global_load_dwordx4 v[38:41], v[50:51], off
	v_fma_f64 v[50:51], v[36:37], v[42:43], v[54:55]
	v_fma_f64 v[46:47], v[34:35], v[42:43], v[52:53]
	s_waitcnt vmcnt(3)
	v_fma_f64 v[48:49], v[30:31], v[42:43], v[48:49]
	v_fma_f64 v[42:43], v[32:33], v[42:43], v[56:57]
	;; [unrolled: 1-line block ×3, first 2 shown]
	v_lshlrev_b64 v[34:35], 4, v[22:23]
	v_fma_f64 v[46:47], -v[36:37], v[44:45], v[46:47]
	v_add_co_u32_e32 v34, vcc, s14, v34
	v_addc_co_u32_e32 v35, vcc, v29, v35, vcc
	v_fma_f64 v[48:49], -v[32:33], v[44:45], v[48:49]
	v_fma_f64 v[52:53], v[30:31], v[44:45], v[42:43]
	global_load_dwordx4 v[30:33], v[34:35], off
	v_add_u32_e32 v22, -7, v20
	v_lshlrev_b64 v[36:37], 4, v[22:23]
	v_add_u32_e32 v22, -6, v20
	v_add_co_u32_e32 v44, vcc, s12, v36
	v_addc_co_u32_e32 v45, vcc, v28, v37, vcc
	global_load_dwordx4 v[34:37], v[34:35], off offset:16
	v_lshlrev_b64 v[42:43], 4, v[22:23]
	v_add_u32_e32 v22, -15, v20
	v_add_co_u32_e32 v42, vcc, s12, v42
	v_addc_co_u32_e32 v43, vcc, v28, v43, vcc
	s_waitcnt vmcnt(1)
	v_fma_f64 v[46:47], v[11:12], v[30:31], v[46:47]
	v_fma_f64 v[50:51], v[13:14], v[30:31], v[50:51]
	v_fma_f64 v[46:47], -v[13:14], v[32:33], v[46:47]
	v_fma_f64 v[50:51], v[11:12], v[32:33], v[50:51]
	global_load_dwordx4 v[11:14], v[44:45], off
	s_waitcnt vmcnt(1)
	v_fma_f64 v[46:47], v[15:16], v[34:35], v[46:47]
	global_load_dwordx4 v[42:45], v[42:43], off
	v_fma_f64 v[50:51], v[17:18], v[34:35], v[50:51]
	v_fma_f64 v[46:47], -v[17:18], v[36:37], v[46:47]
	v_fma_f64 v[50:51], v[15:16], v[36:37], v[50:51]
	s_waitcnt vmcnt(1)
	v_fma_f64 v[48:49], v[11:12], v[30:31], v[48:49]
	v_fma_f64 v[30:31], v[13:14], v[30:31], v[52:53]
	v_fma_f64 v[48:49], -v[13:14], v[32:33], v[48:49]
	v_fma_f64 v[30:31], v[11:12], v[32:33], v[30:31]
	v_lshlrev_b64 v[11:12], 4, v[22:23]
	v_add_u32_e32 v22, 4, v24
	v_lshlrev_b64 v[13:14], 4, v[22:23]
	v_add_co_u32_e32 v11, vcc, s12, v11
	v_addc_co_u32_e32 v12, vcc, v28, v12, vcc
	s_waitcnt vmcnt(0)
	v_fma_f64 v[15:16], v[42:43], v[34:35], v[48:49]
	v_fma_f64 v[17:18], v[44:45], v[34:35], v[30:31]
	v_add_co_u32_e32 v52, vcc, s14, v13
	v_addc_co_u32_e32 v53, vcc, v29, v14, vcc
	global_load_dwordx4 v[11:14], v[11:12], off
	v_add_u32_e32 v22, -5, v20
	v_fma_f64 v[44:45], -v[44:45], v[36:37], v[15:16]
	v_fma_f64 v[42:43], v[42:43], v[36:37], v[17:18]
	global_load_dwordx4 v[15:18], v[52:53], off
	v_lshlrev_b64 v[32:33], 4, v[22:23]
	v_add_u32_e32 v22, -14, v20
	v_add_co_u32_e32 v34, vcc, s12, v32
	v_addc_co_u32_e32 v35, vcc, v28, v33, vcc
	global_load_dwordx4 v[34:37], v[34:35], off
	v_lshlrev_b64 v[54:55], 4, v[22:23]
	global_load_dwordx4 v[30:33], v[52:53], off offset:16
	v_add_co_u32_e32 v52, vcc, s12, v54
	v_addc_co_u32_e32 v53, vcc, v28, v55, vcc
	v_add_u32_e32 v22, -4, v20
	v_lshlrev_b64 v[48:49], 4, v[22:23]
	v_add_u32_e32 v22, -13, v20
	v_add_co_u32_e32 v48, vcc, s12, v48
	v_addc_co_u32_e32 v49, vcc, v28, v49, vcc
	v_lshlrev_b64 v[54:55], 4, v[22:23]
	v_add_u32_e32 v22, 6, v24
	s_waitcnt vmcnt(2)
	v_fma_f64 v[46:47], v[11:12], v[15:16], v[46:47]
	v_fma_f64 v[50:51], v[13:14], v[15:16], v[50:51]
	s_waitcnt vmcnt(1)
	v_fma_f64 v[44:45], v[34:35], v[15:16], v[44:45]
	v_fma_f64 v[46:47], -v[13:14], v[17:18], v[46:47]
	v_fma_f64 v[50:51], v[11:12], v[17:18], v[50:51]
	global_load_dwordx4 v[11:14], v[52:53], off
	v_fma_f64 v[15:16], v[36:37], v[15:16], v[42:43]
	v_fma_f64 v[42:43], -v[36:37], v[17:18], v[44:45]
	v_add_co_u32_e32 v36, vcc, s12, v54
	v_addc_co_u32_e32 v37, vcc, v28, v55, vcc
	v_fma_f64 v[44:45], v[34:35], v[17:18], v[15:16]
	global_load_dwordx4 v[15:18], v[48:49], off
	v_lshlrev_b64 v[34:35], 4, v[22:23]
	v_add_u32_e32 v22, -3, v20
	v_add_co_u32_e32 v52, vcc, s14, v34
	v_addc_co_u32_e32 v53, vcc, v29, v35, vcc
	global_load_dwordx4 v[34:37], v[36:37], off
	v_lshlrev_b64 v[48:49], 4, v[22:23]
	v_add_u32_e32 v22, -12, v20
	v_lshlrev_b64 v[54:55], 4, v[22:23]
	v_add_u32_e32 v22, -2, v20
	s_waitcnt vmcnt(2)
	v_fma_f64 v[46:47], v[11:12], v[30:31], v[46:47]
	v_fma_f64 v[50:51], v[13:14], v[30:31], v[50:51]
	v_fma_f64 v[46:47], -v[13:14], v[32:33], v[46:47]
	v_fma_f64 v[50:51], v[11:12], v[32:33], v[50:51]
	s_waitcnt vmcnt(1)
	v_fma_f64 v[11:12], v[15:16], v[30:31], v[42:43]
	v_fma_f64 v[13:14], v[17:18], v[30:31], v[44:45]
	v_add_co_u32_e32 v30, vcc, s12, v48
	v_addc_co_u32_e32 v31, vcc, v28, v49, vcc
	v_lshlrev_b64 v[48:49], 4, v[22:23]
	v_add_u32_e32 v22, -11, v20
	v_fma_f64 v[42:43], -v[17:18], v[32:33], v[11:12]
	v_fma_f64 v[44:45], v[15:16], v[32:33], v[13:14]
	global_load_dwordx4 v[11:14], v[52:53], off
	global_load_dwordx4 v[15:18], v[52:53], off offset:16
	v_add_co_u32_e32 v52, vcc, s12, v54
	global_load_dwordx4 v[30:33], v[30:31], off
	v_addc_co_u32_e32 v53, vcc, v28, v55, vcc
	v_lshlrev_b64 v[54:55], 4, v[22:23]
	v_add_u32_e32 v22, 8, v24
	v_add_co_u32_e32 v48, vcc, s12, v48
	v_addc_co_u32_e32 v49, vcc, v28, v49, vcc
	s_waitcnt vmcnt(2)
	v_fma_f64 v[24:25], v[34:35], v[11:12], v[46:47]
	v_fma_f64 v[46:47], v[36:37], v[11:12], v[50:51]
	v_lshlrev_b64 v[50:51], 4, v[22:23]
	v_add_u32_e32 v22, -1, v20
	s_waitcnt vmcnt(0)
	v_fma_f64 v[42:43], v[30:31], v[11:12], v[42:43]
	v_fma_f64 v[11:12], v[32:33], v[11:12], v[44:45]
	v_fma_f64 v[24:25], -v[36:37], v[13:14], v[24:25]
	v_fma_f64 v[46:47], v[34:35], v[13:14], v[46:47]
	global_load_dwordx4 v[34:37], v[52:53], off
	v_fma_f64 v[52:53], -v[32:33], v[13:14], v[42:43]
	v_fma_f64 v[56:57], v[30:31], v[13:14], v[11:12]
	global_load_dwordx4 v[11:14], v[48:49], off
	v_add_co_u32_e32 v30, vcc, s12, v54
	v_addc_co_u32_e32 v31, vcc, v28, v55, vcc
	v_lshlrev_b64 v[42:43], 4, v[22:23]
	v_add_co_u32_e32 v48, vcc, s14, v50
	v_addc_co_u32_e32 v49, vcc, v29, v51, vcc
	v_add_co_u32_e32 v42, vcc, s12, v42
	v_addc_co_u32_e32 v43, vcc, v28, v43, vcc
	global_load_dwordx4 v[30:33], v[30:31], off
	v_add_u32_e32 v22, -10, v20
	v_add_u32_e32 v20, 0x280, v20
	s_waitcnt vmcnt(2)
	v_fma_f64 v[24:25], v[34:35], v[15:16], v[24:25]
	v_fma_f64 v[44:45], v[36:37], v[15:16], v[46:47]
	s_waitcnt vmcnt(1)
	v_fma_f64 v[50:51], v[11:12], v[15:16], v[52:53]
	v_fma_f64 v[15:16], v[13:14], v[15:16], v[56:57]
	v_fma_f64 v[24:25], -v[36:37], v[17:18], v[24:25]
	v_fma_f64 v[46:47], v[34:35], v[17:18], v[44:45]
	global_load_dwordx4 v[34:37], v[48:49], off
	v_fma_f64 v[50:51], -v[13:14], v[17:18], v[50:51]
	global_load_dwordx4 v[42:45], v[42:43], off
	v_fma_f64 v[52:53], v[11:12], v[17:18], v[15:16]
	v_lshlrev_b64 v[16:17], 4, v[22:23]
	global_load_dwordx4 v[12:15], v[48:49], off offset:16
	v_add_co_u32_e32 v16, vcc, s12, v16
	v_addc_co_u32_e32 v17, vcc, v28, v17, vcc
	global_load_dwordx4 v[16:19], v[16:17], off
	v_cmp_ge_i32_e32 vcc, v10, v27
	s_or_b64 s[0:1], vcc, s[0:1]
	s_waitcnt vmcnt(3)
	v_fma_f64 v[21:22], v[30:31], v[34:35], v[24:25]
	v_fma_f64 v[24:25], v[32:33], v[34:35], v[46:47]
	s_waitcnt vmcnt(2)
	v_fma_f64 v[46:47], v[42:43], v[34:35], v[50:51]
	v_fma_f64 v[34:35], v[44:45], v[34:35], v[52:53]
	v_fma_f64 v[21:22], -v[32:33], v[36:37], v[21:22]
	v_fma_f64 v[24:25], v[30:31], v[36:37], v[24:25]
	v_fma_f64 v[30:31], -v[44:45], v[36:37], v[46:47]
	v_fma_f64 v[32:33], v[42:43], v[36:37], v[34:35]
	s_waitcnt vmcnt(0)
	v_fma_f64 v[21:22], v[16:17], v[12:13], v[21:22]
	v_fma_f64 v[24:25], v[18:19], v[12:13], v[24:25]
	;; [unrolled: 1-line block ×4, first 2 shown]
	v_fma_f64 v[18:19], -v[18:19], v[14:15], v[21:22]
	v_fma_f64 v[16:17], v[16:17], v[14:15], v[24:25]
	v_fma_f64 v[12:13], -v[40:41], v[14:15], v[30:31]
	v_fma_f64 v[14:15], v[38:39], v[14:15], v[32:33]
	s_andn2_b64 exec, exec, s[0:1]
	s_cbranch_execnz .LBB271_13
; %bb.14:
	s_or_b64 exec, exec, s[0:1]
.LBB271_15:
	s_or_b64 exec, exec, s[2:3]
.LBB271_16:
	v_mov_b32_dpp v10, v18 row_shr:1 row_mask:0xf bank_mask:0xf
	v_mov_b32_dpp v11, v19 row_shr:1 row_mask:0xf bank_mask:0xf
	v_add_f64 v[10:11], v[18:19], v[10:11]
	v_mov_b32_dpp v18, v16 row_shr:1 row_mask:0xf bank_mask:0xf
	v_mov_b32_dpp v19, v17 row_shr:1 row_mask:0xf bank_mask:0xf
	v_add_f64 v[16:17], v[16:17], v[18:19]
	;; [unrolled: 3-line block ×3, first 2 shown]
	v_cmp_eq_u32_e32 vcc, 31, v0
	v_mov_b32_dpp v18, v10 row_shr:2 row_mask:0xf bank_mask:0xf
	v_mov_b32_dpp v19, v11 row_shr:2 row_mask:0xf bank_mask:0xf
	v_add_f64 v[10:11], v[10:11], v[18:19]
	v_mov_b32_dpp v18, v14 row_shr:1 row_mask:0xf bank_mask:0xf
	v_mov_b32_dpp v19, v15 row_shr:1 row_mask:0xf bank_mask:0xf
	v_add_f64 v[14:15], v[14:15], v[18:19]
	;; [unrolled: 3-line block ×4, first 2 shown]
	v_mov_b32_dpp v20, v12 row_shr:2 row_mask:0xf bank_mask:0xf
	v_mov_b32_dpp v21, v13 row_shr:2 row_mask:0xf bank_mask:0xf
	v_mov_b32_dpp v18, v14 row_shr:2 row_mask:0xf bank_mask:0xf
	v_add_f64 v[12:13], v[12:13], v[20:21]
	v_mov_b32_dpp v19, v15 row_shr:2 row_mask:0xf bank_mask:0xf
	v_add_f64 v[14:15], v[14:15], v[18:19]
	v_mov_b32_dpp v20, v16 row_shr:4 row_mask:0xf bank_mask:0xe
	v_mov_b32_dpp v21, v17 row_shr:4 row_mask:0xf bank_mask:0xe
	v_add_f64 v[16:17], v[16:17], v[20:21]
	v_mov_b32_dpp v18, v10 row_shr:8 row_mask:0xf bank_mask:0xc
	v_mov_b32_dpp v19, v11 row_shr:8 row_mask:0xf bank_mask:0xc
	;; [unrolled: 1-line block ×4, first 2 shown]
	v_add_f64 v[20:21], v[12:13], v[20:21]
	v_mov_b32_dpp v12, v14 row_shr:4 row_mask:0xf bank_mask:0xe
	v_mov_b32_dpp v13, v15 row_shr:4 row_mask:0xf bank_mask:0xe
	v_add_f64 v[14:15], v[14:15], v[12:13]
	v_mov_b32_dpp v12, v16 row_shr:8 row_mask:0xf bank_mask:0xc
	v_mov_b32_dpp v13, v17 row_shr:8 row_mask:0xf bank_mask:0xc
	v_add_f64 v[12:13], v[16:17], v[12:13]
	v_add_f64 v[10:11], v[10:11], v[18:19]
	v_mov_b32_dpp v16, v20 row_shr:8 row_mask:0xf bank_mask:0xc
	v_mov_b32_dpp v17, v21 row_shr:8 row_mask:0xf bank_mask:0xc
	v_add_f64 v[18:19], v[20:21], v[16:17]
	v_mov_b32_dpp v16, v14 row_shr:8 row_mask:0xf bank_mask:0xc
	v_mov_b32_dpp v17, v15 row_shr:8 row_mask:0xf bank_mask:0xc
	v_add_f64 v[14:15], v[14:15], v[16:17]
	v_mov_b32_dpp v16, v12 row_bcast:15 row_mask:0xa bank_mask:0xf
	v_mov_b32_dpp v24, v10 row_bcast:15 row_mask:0xa bank_mask:0xf
	;; [unrolled: 1-line block ×8, first 2 shown]
	s_and_b64 exec, exec, vcc
	s_cbranch_execz .LBB271_21
; %bb.17:
	v_cmp_eq_f64_e32 vcc, 0, v[5:6]
	v_cmp_eq_f64_e64 s[0:1], 0, v[7:8]
	v_add_f64 v[10:11], v[10:11], v[24:25]
	v_add_f64 v[16:17], v[12:13], v[16:17]
	;; [unrolled: 1-line block ×4, first 2 shown]
	s_load_dwordx2 s[2:3], s[4:5], 0x48
	s_and_b64 s[0:1], vcc, s[0:1]
	s_and_saveexec_b64 s[4:5], s[0:1]
	s_xor_b64 s[0:1], exec, s[4:5]
	s_cbranch_execz .LBB271_19
; %bb.18:
	v_mul_f64 v[5:6], v[16:17], -v[3:4]
	v_mul_f64 v[7:8], v[1:2], v[16:17]
	v_mul_f64 v[16:17], v[14:15], -v[3:4]
	v_mul_f64 v[14:15], v[1:2], v[14:15]
	v_lshlrev_b32_e32 v9, 1, v9
	s_waitcnt lgkmcnt(0)
	v_mov_b32_e32 v18, s3
	v_fma_f64 v[5:6], v[1:2], v[10:11], v[5:6]
	v_fma_f64 v[7:8], v[3:4], v[10:11], v[7:8]
	;; [unrolled: 1-line block ×4, first 2 shown]
	v_ashrrev_i32_e32 v10, 31, v9
	v_lshlrev_b64 v[9:10], 4, v[9:10]
                                        ; implicit-def: $vgpr16_vgpr17
                                        ; implicit-def: $vgpr12_vgpr13
                                        ; implicit-def: $vgpr14_vgpr15
	v_add_co_u32_e32 v9, vcc, s2, v9
	v_addc_co_u32_e32 v10, vcc, v18, v10, vcc
	global_store_dwordx4 v[9:10], v[5:8], off
	global_store_dwordx4 v[9:10], v[0:3], off offset:16
                                        ; implicit-def: $vgpr9
                                        ; implicit-def: $vgpr10_vgpr11
                                        ; implicit-def: $vgpr7_vgpr8
                                        ; implicit-def: $vgpr3_vgpr4
.LBB271_19:
	s_andn2_saveexec_b64 s[0:1], s[0:1]
	s_cbranch_execz .LBB271_21
; %bb.20:
	v_lshlrev_b32_e32 v18, 1, v9
	v_ashrrev_i32_e32 v19, 31, v18
	v_lshlrev_b64 v[18:19], 4, v[18:19]
	s_waitcnt lgkmcnt(0)
	v_mov_b32_e32 v0, s3
	v_add_co_u32_e32 v26, vcc, s2, v18
	v_addc_co_u32_e32 v27, vcc, v0, v19, vcc
	global_load_dwordx4 v[18:21], v[26:27], off
	global_load_dwordx4 v[22:25], v[26:27], off offset:16
	v_mul_f64 v[28:29], v[16:17], -v[3:4]
	v_mul_f64 v[16:17], v[1:2], v[16:17]
	v_mul_f64 v[30:31], v[14:15], -v[3:4]
	v_mul_f64 v[14:15], v[1:2], v[14:15]
	v_fma_f64 v[28:29], v[1:2], v[10:11], v[28:29]
	v_fma_f64 v[9:10], v[3:4], v[10:11], v[16:17]
	;; [unrolled: 1-line block ×4, first 2 shown]
	s_waitcnt vmcnt(1)
	v_fma_f64 v[11:12], v[5:6], v[18:19], v[28:29]
	v_fma_f64 v[9:10], v[7:8], v[18:19], v[9:10]
	s_waitcnt vmcnt(0)
	v_fma_f64 v[13:14], v[5:6], v[22:23], v[0:1]
	v_fma_f64 v[15:16], v[7:8], v[22:23], v[2:3]
	v_fma_f64 v[0:1], -v[7:8], v[20:21], v[11:12]
	v_fma_f64 v[2:3], v[5:6], v[20:21], v[9:10]
	v_fma_f64 v[7:8], -v[7:8], v[24:25], v[13:14]
	v_fma_f64 v[9:10], v[5:6], v[24:25], v[15:16]
	global_store_dwordx4 v[26:27], v[0:3], off
	global_store_dwordx4 v[26:27], v[7:10], off offset:16
.LBB271_21:
	s_endpgm
	.section	.rodata,"a",@progbits
	.p2align	6, 0x0
	.amdhsa_kernel _ZN9rocsparseL19gebsrmvn_2xn_kernelILj128ELj10ELj32E21rocsparse_complex_numIdEEEvi20rocsparse_direction_NS_24const_host_device_scalarIT2_EEPKiS8_PKS5_SA_S6_PS5_21rocsparse_index_base_b
		.amdhsa_group_segment_fixed_size 0
		.amdhsa_private_segment_fixed_size 0
		.amdhsa_kernarg_size 88
		.amdhsa_user_sgpr_count 6
		.amdhsa_user_sgpr_private_segment_buffer 1
		.amdhsa_user_sgpr_dispatch_ptr 0
		.amdhsa_user_sgpr_queue_ptr 0
		.amdhsa_user_sgpr_kernarg_segment_ptr 1
		.amdhsa_user_sgpr_dispatch_id 0
		.amdhsa_user_sgpr_flat_scratch_init 0
		.amdhsa_user_sgpr_private_segment_size 0
		.amdhsa_uses_dynamic_stack 0
		.amdhsa_system_sgpr_private_segment_wavefront_offset 0
		.amdhsa_system_sgpr_workgroup_id_x 1
		.amdhsa_system_sgpr_workgroup_id_y 0
		.amdhsa_system_sgpr_workgroup_id_z 0
		.amdhsa_system_sgpr_workgroup_info 0
		.amdhsa_system_vgpr_workitem_id 0
		.amdhsa_next_free_vgpr 58
		.amdhsa_next_free_sgpr 20
		.amdhsa_reserve_vcc 1
		.amdhsa_reserve_flat_scratch 0
		.amdhsa_float_round_mode_32 0
		.amdhsa_float_round_mode_16_64 0
		.amdhsa_float_denorm_mode_32 3
		.amdhsa_float_denorm_mode_16_64 3
		.amdhsa_dx10_clamp 1
		.amdhsa_ieee_mode 1
		.amdhsa_fp16_overflow 0
		.amdhsa_exception_fp_ieee_invalid_op 0
		.amdhsa_exception_fp_denorm_src 0
		.amdhsa_exception_fp_ieee_div_zero 0
		.amdhsa_exception_fp_ieee_overflow 0
		.amdhsa_exception_fp_ieee_underflow 0
		.amdhsa_exception_fp_ieee_inexact 0
		.amdhsa_exception_int_div_zero 0
	.end_amdhsa_kernel
	.section	.text._ZN9rocsparseL19gebsrmvn_2xn_kernelILj128ELj10ELj32E21rocsparse_complex_numIdEEEvi20rocsparse_direction_NS_24const_host_device_scalarIT2_EEPKiS8_PKS5_SA_S6_PS5_21rocsparse_index_base_b,"axG",@progbits,_ZN9rocsparseL19gebsrmvn_2xn_kernelILj128ELj10ELj32E21rocsparse_complex_numIdEEEvi20rocsparse_direction_NS_24const_host_device_scalarIT2_EEPKiS8_PKS5_SA_S6_PS5_21rocsparse_index_base_b,comdat
.Lfunc_end271:
	.size	_ZN9rocsparseL19gebsrmvn_2xn_kernelILj128ELj10ELj32E21rocsparse_complex_numIdEEEvi20rocsparse_direction_NS_24const_host_device_scalarIT2_EEPKiS8_PKS5_SA_S6_PS5_21rocsparse_index_base_b, .Lfunc_end271-_ZN9rocsparseL19gebsrmvn_2xn_kernelILj128ELj10ELj32E21rocsparse_complex_numIdEEEvi20rocsparse_direction_NS_24const_host_device_scalarIT2_EEPKiS8_PKS5_SA_S6_PS5_21rocsparse_index_base_b
                                        ; -- End function
	.set _ZN9rocsparseL19gebsrmvn_2xn_kernelILj128ELj10ELj32E21rocsparse_complex_numIdEEEvi20rocsparse_direction_NS_24const_host_device_scalarIT2_EEPKiS8_PKS5_SA_S6_PS5_21rocsparse_index_base_b.num_vgpr, 58
	.set _ZN9rocsparseL19gebsrmvn_2xn_kernelILj128ELj10ELj32E21rocsparse_complex_numIdEEEvi20rocsparse_direction_NS_24const_host_device_scalarIT2_EEPKiS8_PKS5_SA_S6_PS5_21rocsparse_index_base_b.num_agpr, 0
	.set _ZN9rocsparseL19gebsrmvn_2xn_kernelILj128ELj10ELj32E21rocsparse_complex_numIdEEEvi20rocsparse_direction_NS_24const_host_device_scalarIT2_EEPKiS8_PKS5_SA_S6_PS5_21rocsparse_index_base_b.numbered_sgpr, 20
	.set _ZN9rocsparseL19gebsrmvn_2xn_kernelILj128ELj10ELj32E21rocsparse_complex_numIdEEEvi20rocsparse_direction_NS_24const_host_device_scalarIT2_EEPKiS8_PKS5_SA_S6_PS5_21rocsparse_index_base_b.num_named_barrier, 0
	.set _ZN9rocsparseL19gebsrmvn_2xn_kernelILj128ELj10ELj32E21rocsparse_complex_numIdEEEvi20rocsparse_direction_NS_24const_host_device_scalarIT2_EEPKiS8_PKS5_SA_S6_PS5_21rocsparse_index_base_b.private_seg_size, 0
	.set _ZN9rocsparseL19gebsrmvn_2xn_kernelILj128ELj10ELj32E21rocsparse_complex_numIdEEEvi20rocsparse_direction_NS_24const_host_device_scalarIT2_EEPKiS8_PKS5_SA_S6_PS5_21rocsparse_index_base_b.uses_vcc, 1
	.set _ZN9rocsparseL19gebsrmvn_2xn_kernelILj128ELj10ELj32E21rocsparse_complex_numIdEEEvi20rocsparse_direction_NS_24const_host_device_scalarIT2_EEPKiS8_PKS5_SA_S6_PS5_21rocsparse_index_base_b.uses_flat_scratch, 0
	.set _ZN9rocsparseL19gebsrmvn_2xn_kernelILj128ELj10ELj32E21rocsparse_complex_numIdEEEvi20rocsparse_direction_NS_24const_host_device_scalarIT2_EEPKiS8_PKS5_SA_S6_PS5_21rocsparse_index_base_b.has_dyn_sized_stack, 0
	.set _ZN9rocsparseL19gebsrmvn_2xn_kernelILj128ELj10ELj32E21rocsparse_complex_numIdEEEvi20rocsparse_direction_NS_24const_host_device_scalarIT2_EEPKiS8_PKS5_SA_S6_PS5_21rocsparse_index_base_b.has_recursion, 0
	.set _ZN9rocsparseL19gebsrmvn_2xn_kernelILj128ELj10ELj32E21rocsparse_complex_numIdEEEvi20rocsparse_direction_NS_24const_host_device_scalarIT2_EEPKiS8_PKS5_SA_S6_PS5_21rocsparse_index_base_b.has_indirect_call, 0
	.section	.AMDGPU.csdata,"",@progbits
; Kernel info:
; codeLenInByte = 4136
; TotalNumSgprs: 24
; NumVgprs: 58
; ScratchSize: 0
; MemoryBound: 1
; FloatMode: 240
; IeeeMode: 1
; LDSByteSize: 0 bytes/workgroup (compile time only)
; SGPRBlocks: 2
; VGPRBlocks: 14
; NumSGPRsForWavesPerEU: 24
; NumVGPRsForWavesPerEU: 58
; Occupancy: 4
; WaveLimiterHint : 1
; COMPUTE_PGM_RSRC2:SCRATCH_EN: 0
; COMPUTE_PGM_RSRC2:USER_SGPR: 6
; COMPUTE_PGM_RSRC2:TRAP_HANDLER: 0
; COMPUTE_PGM_RSRC2:TGID_X_EN: 1
; COMPUTE_PGM_RSRC2:TGID_Y_EN: 0
; COMPUTE_PGM_RSRC2:TGID_Z_EN: 0
; COMPUTE_PGM_RSRC2:TIDIG_COMP_CNT: 0
	.section	.text._ZN9rocsparseL19gebsrmvn_2xn_kernelILj128ELj10ELj64E21rocsparse_complex_numIdEEEvi20rocsparse_direction_NS_24const_host_device_scalarIT2_EEPKiS8_PKS5_SA_S6_PS5_21rocsparse_index_base_b,"axG",@progbits,_ZN9rocsparseL19gebsrmvn_2xn_kernelILj128ELj10ELj64E21rocsparse_complex_numIdEEEvi20rocsparse_direction_NS_24const_host_device_scalarIT2_EEPKiS8_PKS5_SA_S6_PS5_21rocsparse_index_base_b,comdat
	.globl	_ZN9rocsparseL19gebsrmvn_2xn_kernelILj128ELj10ELj64E21rocsparse_complex_numIdEEEvi20rocsparse_direction_NS_24const_host_device_scalarIT2_EEPKiS8_PKS5_SA_S6_PS5_21rocsparse_index_base_b ; -- Begin function _ZN9rocsparseL19gebsrmvn_2xn_kernelILj128ELj10ELj64E21rocsparse_complex_numIdEEEvi20rocsparse_direction_NS_24const_host_device_scalarIT2_EEPKiS8_PKS5_SA_S6_PS5_21rocsparse_index_base_b
	.p2align	8
	.type	_ZN9rocsparseL19gebsrmvn_2xn_kernelILj128ELj10ELj64E21rocsparse_complex_numIdEEEvi20rocsparse_direction_NS_24const_host_device_scalarIT2_EEPKiS8_PKS5_SA_S6_PS5_21rocsparse_index_base_b,@function
_ZN9rocsparseL19gebsrmvn_2xn_kernelILj128ELj10ELj64E21rocsparse_complex_numIdEEEvi20rocsparse_direction_NS_24const_host_device_scalarIT2_EEPKiS8_PKS5_SA_S6_PS5_21rocsparse_index_base_b: ; @_ZN9rocsparseL19gebsrmvn_2xn_kernelILj128ELj10ELj64E21rocsparse_complex_numIdEEEvi20rocsparse_direction_NS_24const_host_device_scalarIT2_EEPKiS8_PKS5_SA_S6_PS5_21rocsparse_index_base_b
; %bb.0:
	s_load_dwordx2 s[0:1], s[4:5], 0x8
	s_load_dwordx2 s[2:3], s[4:5], 0x38
	;; [unrolled: 1-line block ×3, first 2 shown]
	s_add_u32 s7, s4, 8
	s_addc_u32 s8, s5, 0
	s_add_u32 s9, s4, 56
	s_addc_u32 s10, s5, 0
	s_waitcnt lgkmcnt(0)
	s_bitcmp1_b32 s17, 0
	s_cselect_b32 s1, s8, s1
	s_cselect_b32 s0, s7, s0
	v_mov_b32_e32 v1, s0
	v_mov_b32_e32 v2, s1
	flat_load_dwordx4 v[1:4], v[1:2]
	s_cselect_b32 s0, s10, s3
	s_cselect_b32 s1, s9, s2
	v_mov_b32_e32 v5, s1
	v_mov_b32_e32 v6, s0
	flat_load_dwordx4 v[5:8], v[5:6]
	s_waitcnt vmcnt(0) lgkmcnt(0)
	v_cmp_eq_f64_e32 vcc, 0, v[1:2]
	v_cmp_eq_f64_e64 s[0:1], 0, v[3:4]
	s_and_b64 s[8:9], vcc, s[0:1]
	s_mov_b64 s[0:1], -1
	s_and_saveexec_b64 s[2:3], s[8:9]
	s_cbranch_execz .LBB272_2
; %bb.1:
	v_cmp_neq_f64_e32 vcc, 1.0, v[5:6]
	v_cmp_neq_f64_e64 s[0:1], 0, v[7:8]
	s_or_b64 s[0:1], vcc, s[0:1]
	s_orn2_b64 s[0:1], s[0:1], exec
.LBB272_2:
	s_or_b64 exec, exec, s[2:3]
	s_and_saveexec_b64 s[2:3], s[0:1]
	s_cbranch_execz .LBB272_21
; %bb.3:
	s_load_dwordx2 s[0:1], s[4:5], 0x0
	v_lshrrev_b32_e32 v9, 6, v0
	v_lshl_or_b32 v9, s6, 1, v9
	s_waitcnt lgkmcnt(0)
	v_cmp_gt_i32_e32 vcc, s0, v9
	s_and_b64 exec, exec, vcc
	s_cbranch_execz .LBB272_21
; %bb.4:
	s_load_dwordx8 s[8:15], s[4:5], 0x18
	v_ashrrev_i32_e32 v10, 31, v9
	v_lshlrev_b64 v[10:11], 2, v[9:10]
	v_and_b32_e32 v0, 63, v0
	s_cmp_lg_u32 s1, 0
	s_waitcnt lgkmcnt(0)
	v_mov_b32_e32 v12, s9
	v_add_co_u32_e32 v10, vcc, s8, v10
	v_addc_co_u32_e32 v11, vcc, v12, v11, vcc
	global_load_dwordx2 v[10:11], v[10:11], off
	s_waitcnt vmcnt(0)
	v_subrev_u32_e32 v10, s16, v10
	v_subrev_u32_e32 v27, s16, v11
	v_add_u32_e32 v10, v10, v0
	v_cmp_lt_i32_e64 s[0:1], v10, v27
	s_cbranch_scc0 .LBB272_10
; %bb.5:
	v_mov_b32_e32 v16, 0
	v_mov_b32_e32 v18, 0
	;; [unrolled: 1-line block ×8, first 2 shown]
	s_and_saveexec_b64 s[8:9], s[0:1]
	s_cbranch_execz .LBB272_9
; %bb.6:
	v_mad_u64_u32 v[20:21], s[2:3], v10, 20, 18
	v_mov_b32_e32 v16, 0
	v_mov_b32_e32 v18, 0
	;; [unrolled: 1-line block ×5, first 2 shown]
	s_mov_b64 s[18:19], 0
	v_mov_b32_e32 v11, s11
	v_mov_b32_e32 v23, 0
	v_mov_b32_e32 v28, s13
	v_mov_b32_e32 v29, s15
	v_mov_b32_e32 v19, 0
	v_mov_b32_e32 v13, 0
	v_mov_b32_e32 v15, 0
	v_mov_b32_e32 v24, v10
.LBB272_7:                              ; =>This Inner Loop Header: Depth=1
	v_ashrrev_i32_e32 v25, 31, v24
	v_subrev_u32_e32 v22, 18, v20
	v_lshlrev_b64 v[30:31], 2, v[24:25]
	v_lshlrev_b64 v[32:33], 4, v[22:23]
	v_add_co_u32_e32 v36, vcc, s10, v30
	v_add_co_u32_e64 v38, s[2:3], s12, v32
	v_addc_co_u32_e32 v37, vcc, v11, v31, vcc
	v_addc_co_u32_e64 v39, vcc, v28, v33, s[2:3]
	global_load_dword v25, v[36:37], off
	global_load_dwordx4 v[30:33], v[38:39], off
	v_mov_b32_e32 v21, v23
	v_lshlrev_b64 v[34:35], 4, v[20:21]
	v_mov_b32_e32 v26, v23
	v_add_co_u32_e64 v40, s[6:7], s12, v34
	v_addc_co_u32_e64 v41, vcc, v28, v35, s[6:7]
	v_add_u32_e32 v22, -14, v20
	v_lshlrev_b64 v[21:22], 4, v[22:23]
	v_add_u32_e32 v24, 64, v24
	s_waitcnt vmcnt(1)
	v_subrev_u32_e32 v25, s16, v25
	v_mul_lo_u32 v25, v25, 10
	v_lshlrev_b64 v[34:35], 4, v[25:26]
	v_add_co_u32_e32 v42, vcc, s14, v34
	v_addc_co_u32_e32 v43, vcc, v29, v35, vcc
	global_load_dwordx4 v[34:37], v[42:43], off
	v_add_co_u32_e32 v21, vcc, s12, v21
	v_addc_co_u32_e32 v22, vcc, v28, v22, vcc
	s_waitcnt vmcnt(0)
	v_fma_f64 v[18:19], v[30:31], v[34:35], v[18:19]
	v_fma_f64 v[16:17], v[32:33], v[34:35], v[16:17]
	v_fma_f64 v[44:45], -v[32:33], v[36:37], v[18:19]
	v_fma_f64 v[46:47], v[30:31], v[36:37], v[16:17]
	global_load_dwordx4 v[16:19], v[38:39], off offset:16
	s_waitcnt vmcnt(0)
	v_fma_f64 v[12:13], v[16:17], v[34:35], v[12:13]
	v_fma_f64 v[14:15], v[18:19], v[34:35], v[14:15]
	v_fma_f64 v[34:35], -v[18:19], v[36:37], v[12:13]
	v_fma_f64 v[36:37], v[16:17], v[36:37], v[14:15]
	global_load_dwordx4 v[12:15], v[38:39], off offset:48
	global_load_dwordx4 v[16:19], v[38:39], off offset:32
	;; [unrolled: 1-line block ×3, first 2 shown]
	s_waitcnt vmcnt(0)
	v_fma_f64 v[38:39], v[16:17], v[30:31], v[44:45]
	v_fma_f64 v[42:43], v[18:19], v[30:31], v[46:47]
	;; [unrolled: 1-line block ×4, first 2 shown]
	v_fma_f64 v[38:39], -v[18:19], v[32:33], v[38:39]
	v_fma_f64 v[42:43], v[16:17], v[32:33], v[42:43]
	global_load_dwordx4 v[16:19], v[21:22], off offset:16
	v_fma_f64 v[34:35], -v[14:15], v[32:33], v[34:35]
	v_fma_f64 v[36:37], v[12:13], v[32:33], v[30:31]
	global_load_dwordx4 v[12:15], v[21:22], off
	v_add_u32_e32 v22, 2, v25
	v_lshlrev_b64 v[30:31], 4, v[22:23]
	v_add_u32_e32 v22, -12, v20
	v_add_co_u32_e32 v44, vcc, s14, v30
	v_addc_co_u32_e32 v45, vcc, v29, v31, vcc
	global_load_dwordx4 v[30:33], v[44:45], off
	v_lshlrev_b64 v[46:47], 4, v[22:23]
	v_add_u32_e32 v22, -10, v20
	v_lshlrev_b64 v[48:49], 4, v[22:23]
	v_add_u32_e32 v22, 4, v25
	s_waitcnt vmcnt(0)
	v_fma_f64 v[38:39], v[12:13], v[30:31], v[38:39]
	v_fma_f64 v[42:43], v[14:15], v[30:31], v[42:43]
	v_fma_f64 v[38:39], -v[14:15], v[32:33], v[38:39]
	v_fma_f64 v[42:43], v[12:13], v[32:33], v[42:43]
	v_fma_f64 v[12:13], v[16:17], v[30:31], v[34:35]
	;; [unrolled: 1-line block ×3, first 2 shown]
	v_add_co_u32_e32 v34, vcc, s12, v46
	v_addc_co_u32_e32 v35, vcc, v28, v47, vcc
	v_lshlrev_b64 v[36:37], 4, v[22:23]
	v_add_u32_e32 v22, -8, v20
	v_fma_f64 v[30:31], -v[18:19], v[32:33], v[12:13]
	v_fma_f64 v[32:33], v[16:17], v[32:33], v[14:15]
	global_load_dwordx4 v[12:15], v[44:45], off offset:16
	global_load_dwordx4 v[16:19], v[34:35], off
	v_add_co_u32_e32 v44, vcc, s12, v48
	v_addc_co_u32_e32 v45, vcc, v28, v49, vcc
	v_lshlrev_b64 v[46:47], 4, v[22:23]
	v_add_u32_e32 v22, -6, v20
	s_waitcnt vmcnt(0)
	v_fma_f64 v[38:39], v[16:17], v[12:13], v[38:39]
	v_fma_f64 v[42:43], v[18:19], v[12:13], v[42:43]
	v_fma_f64 v[38:39], -v[18:19], v[14:15], v[38:39]
	v_fma_f64 v[42:43], v[16:17], v[14:15], v[42:43]
	global_load_dwordx4 v[16:19], v[34:35], off offset:16
	v_add_co_u32_e32 v34, vcc, s14, v36
	v_addc_co_u32_e32 v35, vcc, v29, v37, vcc
	s_waitcnt vmcnt(0)
	v_fma_f64 v[30:31], v[16:17], v[12:13], v[30:31]
	v_fma_f64 v[12:13], v[18:19], v[12:13], v[32:33]
	v_fma_f64 v[30:31], -v[18:19], v[14:15], v[30:31]
	v_fma_f64 v[32:33], v[16:17], v[14:15], v[12:13]
	global_load_dwordx4 v[12:15], v[44:45], off
	global_load_dwordx4 v[16:19], v[34:35], off
	s_waitcnt vmcnt(0)
	v_fma_f64 v[36:37], v[12:13], v[16:17], v[38:39]
	v_fma_f64 v[38:39], v[14:15], v[16:17], v[42:43]
	v_lshlrev_b64 v[42:43], 4, v[22:23]
	v_add_u32_e32 v22, 6, v25
	v_lshlrev_b64 v[48:49], 4, v[22:23]
	v_add_u32_e32 v22, -4, v20
	v_fma_f64 v[36:37], -v[14:15], v[18:19], v[36:37]
	v_fma_f64 v[38:39], v[12:13], v[18:19], v[38:39]
	global_load_dwordx4 v[12:15], v[44:45], off offset:16
	v_add_co_u32_e32 v44, vcc, s12, v46
	v_addc_co_u32_e32 v45, vcc, v28, v47, vcc
	v_lshlrev_b64 v[46:47], 4, v[22:23]
	v_add_u32_e32 v22, -2, v20
	v_add_u32_e32 v20, 0x500, v20
	s_waitcnt vmcnt(0)
	v_fma_f64 v[30:31], v[12:13], v[16:17], v[30:31]
	v_fma_f64 v[16:17], v[14:15], v[16:17], v[32:33]
	v_fma_f64 v[30:31], -v[14:15], v[18:19], v[30:31]
	v_fma_f64 v[32:33], v[12:13], v[18:19], v[16:17]
	global_load_dwordx4 v[12:15], v[34:35], off offset:16
	global_load_dwordx4 v[16:19], v[44:45], off
	s_waitcnt vmcnt(0)
	v_fma_f64 v[34:35], v[16:17], v[12:13], v[36:37]
	v_fma_f64 v[36:37], v[18:19], v[12:13], v[38:39]
	v_add_co_u32_e32 v38, vcc, s12, v42
	v_addc_co_u32_e32 v39, vcc, v28, v43, vcc
	v_add_co_u32_e32 v42, vcc, s14, v48
	v_fma_f64 v[34:35], -v[18:19], v[14:15], v[34:35]
	v_fma_f64 v[36:37], v[16:17], v[14:15], v[36:37]
	global_load_dwordx4 v[16:19], v[44:45], off offset:16
	v_addc_co_u32_e32 v43, vcc, v29, v49, vcc
	v_lshlrev_b64 v[44:45], 4, v[22:23]
	v_add_u32_e32 v22, 8, v25
	v_add_co_u32_e32 v21, vcc, s12, v46
	v_lshlrev_b64 v[48:49], 4, v[22:23]
	v_addc_co_u32_e32 v22, vcc, v28, v47, vcc
	s_waitcnt vmcnt(0)
	v_fma_f64 v[30:31], v[16:17], v[12:13], v[30:31]
	v_fma_f64 v[12:13], v[18:19], v[12:13], v[32:33]
	v_fma_f64 v[30:31], -v[18:19], v[14:15], v[30:31]
	v_fma_f64 v[32:33], v[16:17], v[14:15], v[12:13]
	global_load_dwordx4 v[12:15], v[38:39], off
	global_load_dwordx4 v[16:19], v[42:43], off
	s_waitcnt vmcnt(0)
	v_fma_f64 v[25:26], v[12:13], v[16:17], v[34:35]
	v_fma_f64 v[34:35], v[14:15], v[16:17], v[36:37]
	v_fma_f64 v[25:26], -v[14:15], v[18:19], v[25:26]
	v_fma_f64 v[34:35], v[12:13], v[18:19], v[34:35]
	global_load_dwordx4 v[12:15], v[38:39], off offset:16
	s_waitcnt vmcnt(0)
	v_fma_f64 v[30:31], v[12:13], v[16:17], v[30:31]
	v_fma_f64 v[16:17], v[14:15], v[16:17], v[32:33]
	v_fma_f64 v[36:37], -v[14:15], v[18:19], v[30:31]
	v_fma_f64 v[38:39], v[12:13], v[18:19], v[16:17]
	global_load_dwordx4 v[12:15], v[42:43], off offset:16
	global_load_dwordx4 v[16:19], v[21:22], off
	global_load_dwordx4 v[30:33], v[21:22], off offset:16
	v_add_co_u32_e32 v42, vcc, s12, v44
	v_addc_co_u32_e32 v43, vcc, v28, v45, vcc
	v_add_co_u32_e32 v44, vcc, s14, v48
	v_addc_co_u32_e32 v45, vcc, v29, v49, vcc
	v_cmp_ge_i32_e32 vcc, v24, v27
	s_or_b64 s[18:19], vcc, s[18:19]
	s_waitcnt vmcnt(1)
	v_fma_f64 v[21:22], v[16:17], v[12:13], v[25:26]
	v_fma_f64 v[25:26], v[18:19], v[12:13], v[34:35]
	v_fma_f64 v[21:22], -v[18:19], v[14:15], v[21:22]
	v_fma_f64 v[25:26], v[16:17], v[14:15], v[25:26]
	s_waitcnt vmcnt(0)
	v_fma_f64 v[16:17], v[30:31], v[12:13], v[36:37]
	v_fma_f64 v[12:13], v[32:33], v[12:13], v[38:39]
	v_fma_f64 v[38:39], -v[32:33], v[14:15], v[16:17]
	v_fma_f64 v[46:47], v[30:31], v[14:15], v[12:13]
	global_load_dwordx4 v[12:15], v[42:43], off offset:16
	global_load_dwordx4 v[16:19], v[42:43], off
	global_load_dwordx4 v[30:33], v[44:45], off
	s_waitcnt vmcnt(0)
	v_fma_f64 v[21:22], v[16:17], v[30:31], v[21:22]
	v_fma_f64 v[25:26], v[18:19], v[30:31], v[25:26]
	;; [unrolled: 1-line block ×4, first 2 shown]
	v_fma_f64 v[21:22], -v[18:19], v[32:33], v[21:22]
	v_fma_f64 v[25:26], v[16:17], v[32:33], v[25:26]
	global_load_dwordx4 v[16:19], v[40:41], off
	global_load_dwordx4 v[34:37], v[40:41], off offset:16
	v_fma_f64 v[38:39], -v[14:15], v[32:33], v[38:39]
	v_fma_f64 v[30:31], v[12:13], v[32:33], v[30:31]
	global_load_dwordx4 v[12:15], v[44:45], off offset:16
	s_waitcnt vmcnt(0)
	v_fma_f64 v[21:22], v[16:17], v[12:13], v[21:22]
	v_fma_f64 v[25:26], v[18:19], v[12:13], v[25:26]
	;; [unrolled: 1-line block ×4, first 2 shown]
	v_fma_f64 v[18:19], -v[18:19], v[14:15], v[21:22]
	v_fma_f64 v[16:17], v[16:17], v[14:15], v[25:26]
	v_fma_f64 v[12:13], -v[36:37], v[14:15], v[32:33]
	v_fma_f64 v[14:15], v[34:35], v[14:15], v[30:31]
	s_andn2_b64 exec, exec, s[18:19]
	s_cbranch_execnz .LBB272_7
; %bb.8:
	s_or_b64 exec, exec, s[18:19]
.LBB272_9:
	s_or_b64 exec, exec, s[8:9]
	s_cbranch_execz .LBB272_11
	s_branch .LBB272_16
.LBB272_10:
                                        ; implicit-def: $vgpr16_vgpr17
                                        ; implicit-def: $vgpr18_vgpr19
                                        ; implicit-def: $vgpr12_vgpr13
                                        ; implicit-def: $vgpr14_vgpr15
.LBB272_11:
	v_mov_b32_e32 v16, 0
	v_mov_b32_e32 v18, 0
	;; [unrolled: 1-line block ×8, first 2 shown]
	s_and_saveexec_b64 s[2:3], s[0:1]
	s_cbranch_execz .LBB272_15
; %bb.12:
	v_mad_u64_u32 v[20:21], s[0:1], v10, 20, 19
	v_mov_b32_e32 v16, 0
	v_mov_b32_e32 v18, 0
	;; [unrolled: 1-line block ×5, first 2 shown]
	s_mov_b64 s[0:1], 0
	v_mov_b32_e32 v26, s11
	v_mov_b32_e32 v23, 0
	;; [unrolled: 1-line block ×7, first 2 shown]
.LBB272_13:                             ; =>This Inner Loop Header: Depth=1
	v_ashrrev_i32_e32 v11, 31, v10
	v_lshlrev_b64 v[32:33], 2, v[10:11]
	v_subrev_u32_e32 v22, 19, v20
	v_lshlrev_b64 v[34:35], 4, v[22:23]
	v_add_co_u32_e32 v38, vcc, s10, v32
	v_add_u32_e32 v30, -9, v20
	v_mov_b32_e32 v31, v23
	v_addc_co_u32_e32 v39, vcc, v26, v33, vcc
	v_lshlrev_b64 v[30:31], 4, v[30:31]
	v_add_co_u32_e32 v46, vcc, s12, v34
	v_mov_b32_e32 v21, v23
	v_addc_co_u32_e32 v47, vcc, v28, v35, vcc
	v_lshlrev_b64 v[36:37], 4, v[20:21]
	v_add_co_u32_e32 v48, vcc, s12, v30
	v_addc_co_u32_e32 v49, vcc, v28, v31, vcc
	v_add_co_u32_e32 v50, vcc, s12, v36
	v_addc_co_u32_e32 v51, vcc, v28, v37, vcc
	global_load_dword v11, v[38:39], off
	global_load_dwordx4 v[30:33], v[46:47], off
	global_load_dwordx4 v[34:37], v[46:47], off offset:16
	v_mov_b32_e32 v25, v23
	v_add_u32_e32 v22, -8, v20
	v_lshlrev_b64 v[21:22], 4, v[22:23]
	v_add_u32_e32 v10, 64, v10
	s_waitcnt vmcnt(2)
	v_subrev_u32_e32 v11, s16, v11
	v_mul_lo_u32 v24, v11, 10
	v_lshlrev_b64 v[38:39], 4, v[24:25]
	v_add_co_u32_e32 v52, vcc, s14, v38
	v_addc_co_u32_e32 v53, vcc, v29, v39, vcc
	global_load_dwordx4 v[38:41], v[52:53], off
	global_load_dwordx4 v[42:45], v[52:53], off offset:16
	v_add_co_u32_e32 v21, vcc, s12, v21
	v_addc_co_u32_e32 v22, vcc, v28, v22, vcc
	s_waitcnt vmcnt(1)
	v_fma_f64 v[18:19], v[30:31], v[38:39], v[18:19]
	v_fma_f64 v[16:17], v[32:33], v[38:39], v[16:17]
	v_fma_f64 v[52:53], -v[32:33], v[40:41], v[18:19]
	v_fma_f64 v[54:55], v[30:31], v[40:41], v[16:17]
	global_load_dwordx4 v[16:19], v[48:49], off
	global_load_dwordx4 v[30:33], v[21:22], off
	v_add_u32_e32 v22, 2, v24
	s_waitcnt vmcnt(1)
	v_fma_f64 v[11:12], v[16:17], v[38:39], v[12:13]
	v_fma_f64 v[13:14], v[18:19], v[38:39], v[14:15]
	v_fma_f64 v[48:49], -v[18:19], v[40:41], v[11:12]
	v_fma_f64 v[56:57], v[16:17], v[40:41], v[13:14]
	global_load_dwordx4 v[11:14], v[46:47], off offset:32
	global_load_dwordx4 v[15:18], v[46:47], off offset:48
	global_load_dwordx4 v[38:41], v[50:51], off
	v_fma_f64 v[50:51], v[36:37], v[42:43], v[54:55]
	v_fma_f64 v[46:47], v[34:35], v[42:43], v[52:53]
	s_waitcnt vmcnt(3)
	v_fma_f64 v[48:49], v[30:31], v[42:43], v[48:49]
	v_fma_f64 v[42:43], v[32:33], v[42:43], v[56:57]
	;; [unrolled: 1-line block ×3, first 2 shown]
	v_lshlrev_b64 v[34:35], 4, v[22:23]
	v_fma_f64 v[46:47], -v[36:37], v[44:45], v[46:47]
	v_add_co_u32_e32 v34, vcc, s14, v34
	v_addc_co_u32_e32 v35, vcc, v29, v35, vcc
	v_fma_f64 v[48:49], -v[32:33], v[44:45], v[48:49]
	v_fma_f64 v[52:53], v[30:31], v[44:45], v[42:43]
	global_load_dwordx4 v[30:33], v[34:35], off
	v_add_u32_e32 v22, -7, v20
	v_lshlrev_b64 v[36:37], 4, v[22:23]
	v_add_u32_e32 v22, -6, v20
	v_add_co_u32_e32 v44, vcc, s12, v36
	v_addc_co_u32_e32 v45, vcc, v28, v37, vcc
	global_load_dwordx4 v[34:37], v[34:35], off offset:16
	v_lshlrev_b64 v[42:43], 4, v[22:23]
	v_add_u32_e32 v22, -15, v20
	v_add_co_u32_e32 v42, vcc, s12, v42
	v_addc_co_u32_e32 v43, vcc, v28, v43, vcc
	s_waitcnt vmcnt(1)
	v_fma_f64 v[46:47], v[11:12], v[30:31], v[46:47]
	v_fma_f64 v[50:51], v[13:14], v[30:31], v[50:51]
	v_fma_f64 v[46:47], -v[13:14], v[32:33], v[46:47]
	v_fma_f64 v[50:51], v[11:12], v[32:33], v[50:51]
	global_load_dwordx4 v[11:14], v[44:45], off
	s_waitcnt vmcnt(1)
	v_fma_f64 v[46:47], v[15:16], v[34:35], v[46:47]
	global_load_dwordx4 v[42:45], v[42:43], off
	v_fma_f64 v[50:51], v[17:18], v[34:35], v[50:51]
	v_fma_f64 v[46:47], -v[17:18], v[36:37], v[46:47]
	v_fma_f64 v[50:51], v[15:16], v[36:37], v[50:51]
	s_waitcnt vmcnt(1)
	v_fma_f64 v[48:49], v[11:12], v[30:31], v[48:49]
	v_fma_f64 v[30:31], v[13:14], v[30:31], v[52:53]
	v_fma_f64 v[48:49], -v[13:14], v[32:33], v[48:49]
	v_fma_f64 v[30:31], v[11:12], v[32:33], v[30:31]
	v_lshlrev_b64 v[11:12], 4, v[22:23]
	v_add_u32_e32 v22, 4, v24
	v_lshlrev_b64 v[13:14], 4, v[22:23]
	v_add_co_u32_e32 v11, vcc, s12, v11
	v_addc_co_u32_e32 v12, vcc, v28, v12, vcc
	s_waitcnt vmcnt(0)
	v_fma_f64 v[15:16], v[42:43], v[34:35], v[48:49]
	v_fma_f64 v[17:18], v[44:45], v[34:35], v[30:31]
	v_add_co_u32_e32 v52, vcc, s14, v13
	v_addc_co_u32_e32 v53, vcc, v29, v14, vcc
	global_load_dwordx4 v[11:14], v[11:12], off
	v_add_u32_e32 v22, -5, v20
	v_fma_f64 v[44:45], -v[44:45], v[36:37], v[15:16]
	v_fma_f64 v[42:43], v[42:43], v[36:37], v[17:18]
	global_load_dwordx4 v[15:18], v[52:53], off
	v_lshlrev_b64 v[32:33], 4, v[22:23]
	v_add_u32_e32 v22, -14, v20
	v_add_co_u32_e32 v34, vcc, s12, v32
	v_addc_co_u32_e32 v35, vcc, v28, v33, vcc
	global_load_dwordx4 v[34:37], v[34:35], off
	v_lshlrev_b64 v[54:55], 4, v[22:23]
	global_load_dwordx4 v[30:33], v[52:53], off offset:16
	v_add_co_u32_e32 v52, vcc, s12, v54
	v_addc_co_u32_e32 v53, vcc, v28, v55, vcc
	v_add_u32_e32 v22, -4, v20
	v_lshlrev_b64 v[48:49], 4, v[22:23]
	v_add_u32_e32 v22, -13, v20
	v_add_co_u32_e32 v48, vcc, s12, v48
	v_addc_co_u32_e32 v49, vcc, v28, v49, vcc
	v_lshlrev_b64 v[54:55], 4, v[22:23]
	v_add_u32_e32 v22, 6, v24
	s_waitcnt vmcnt(2)
	v_fma_f64 v[46:47], v[11:12], v[15:16], v[46:47]
	v_fma_f64 v[50:51], v[13:14], v[15:16], v[50:51]
	s_waitcnt vmcnt(1)
	v_fma_f64 v[44:45], v[34:35], v[15:16], v[44:45]
	v_fma_f64 v[46:47], -v[13:14], v[17:18], v[46:47]
	v_fma_f64 v[50:51], v[11:12], v[17:18], v[50:51]
	global_load_dwordx4 v[11:14], v[52:53], off
	v_fma_f64 v[15:16], v[36:37], v[15:16], v[42:43]
	v_fma_f64 v[42:43], -v[36:37], v[17:18], v[44:45]
	v_add_co_u32_e32 v36, vcc, s12, v54
	v_addc_co_u32_e32 v37, vcc, v28, v55, vcc
	v_fma_f64 v[44:45], v[34:35], v[17:18], v[15:16]
	global_load_dwordx4 v[15:18], v[48:49], off
	v_lshlrev_b64 v[34:35], 4, v[22:23]
	v_add_u32_e32 v22, -3, v20
	v_add_co_u32_e32 v52, vcc, s14, v34
	v_addc_co_u32_e32 v53, vcc, v29, v35, vcc
	global_load_dwordx4 v[34:37], v[36:37], off
	v_lshlrev_b64 v[48:49], 4, v[22:23]
	v_add_u32_e32 v22, -12, v20
	v_lshlrev_b64 v[54:55], 4, v[22:23]
	v_add_u32_e32 v22, -2, v20
	s_waitcnt vmcnt(2)
	v_fma_f64 v[46:47], v[11:12], v[30:31], v[46:47]
	v_fma_f64 v[50:51], v[13:14], v[30:31], v[50:51]
	v_fma_f64 v[46:47], -v[13:14], v[32:33], v[46:47]
	v_fma_f64 v[50:51], v[11:12], v[32:33], v[50:51]
	s_waitcnt vmcnt(1)
	v_fma_f64 v[11:12], v[15:16], v[30:31], v[42:43]
	v_fma_f64 v[13:14], v[17:18], v[30:31], v[44:45]
	v_add_co_u32_e32 v30, vcc, s12, v48
	v_addc_co_u32_e32 v31, vcc, v28, v49, vcc
	v_lshlrev_b64 v[48:49], 4, v[22:23]
	v_add_u32_e32 v22, -11, v20
	v_fma_f64 v[42:43], -v[17:18], v[32:33], v[11:12]
	v_fma_f64 v[44:45], v[15:16], v[32:33], v[13:14]
	global_load_dwordx4 v[11:14], v[52:53], off
	global_load_dwordx4 v[15:18], v[52:53], off offset:16
	v_add_co_u32_e32 v52, vcc, s12, v54
	global_load_dwordx4 v[30:33], v[30:31], off
	v_addc_co_u32_e32 v53, vcc, v28, v55, vcc
	v_lshlrev_b64 v[54:55], 4, v[22:23]
	v_add_u32_e32 v22, 8, v24
	v_add_co_u32_e32 v48, vcc, s12, v48
	v_addc_co_u32_e32 v49, vcc, v28, v49, vcc
	s_waitcnt vmcnt(2)
	v_fma_f64 v[24:25], v[34:35], v[11:12], v[46:47]
	v_fma_f64 v[46:47], v[36:37], v[11:12], v[50:51]
	v_lshlrev_b64 v[50:51], 4, v[22:23]
	v_add_u32_e32 v22, -1, v20
	s_waitcnt vmcnt(0)
	v_fma_f64 v[42:43], v[30:31], v[11:12], v[42:43]
	v_fma_f64 v[11:12], v[32:33], v[11:12], v[44:45]
	v_fma_f64 v[24:25], -v[36:37], v[13:14], v[24:25]
	v_fma_f64 v[46:47], v[34:35], v[13:14], v[46:47]
	global_load_dwordx4 v[34:37], v[52:53], off
	v_fma_f64 v[52:53], -v[32:33], v[13:14], v[42:43]
	v_fma_f64 v[56:57], v[30:31], v[13:14], v[11:12]
	global_load_dwordx4 v[11:14], v[48:49], off
	v_add_co_u32_e32 v30, vcc, s12, v54
	v_addc_co_u32_e32 v31, vcc, v28, v55, vcc
	v_lshlrev_b64 v[42:43], 4, v[22:23]
	v_add_co_u32_e32 v48, vcc, s14, v50
	v_addc_co_u32_e32 v49, vcc, v29, v51, vcc
	v_add_co_u32_e32 v42, vcc, s12, v42
	v_addc_co_u32_e32 v43, vcc, v28, v43, vcc
	global_load_dwordx4 v[30:33], v[30:31], off
	v_add_u32_e32 v22, -10, v20
	v_add_u32_e32 v20, 0x500, v20
	s_waitcnt vmcnt(2)
	v_fma_f64 v[24:25], v[34:35], v[15:16], v[24:25]
	v_fma_f64 v[44:45], v[36:37], v[15:16], v[46:47]
	s_waitcnt vmcnt(1)
	v_fma_f64 v[50:51], v[11:12], v[15:16], v[52:53]
	v_fma_f64 v[15:16], v[13:14], v[15:16], v[56:57]
	v_fma_f64 v[24:25], -v[36:37], v[17:18], v[24:25]
	v_fma_f64 v[46:47], v[34:35], v[17:18], v[44:45]
	global_load_dwordx4 v[34:37], v[48:49], off
	v_fma_f64 v[50:51], -v[13:14], v[17:18], v[50:51]
	global_load_dwordx4 v[42:45], v[42:43], off
	v_fma_f64 v[52:53], v[11:12], v[17:18], v[15:16]
	v_lshlrev_b64 v[16:17], 4, v[22:23]
	global_load_dwordx4 v[12:15], v[48:49], off offset:16
	v_add_co_u32_e32 v16, vcc, s12, v16
	v_addc_co_u32_e32 v17, vcc, v28, v17, vcc
	global_load_dwordx4 v[16:19], v[16:17], off
	v_cmp_ge_i32_e32 vcc, v10, v27
	s_or_b64 s[0:1], vcc, s[0:1]
	s_waitcnt vmcnt(3)
	v_fma_f64 v[21:22], v[30:31], v[34:35], v[24:25]
	v_fma_f64 v[24:25], v[32:33], v[34:35], v[46:47]
	s_waitcnt vmcnt(2)
	v_fma_f64 v[46:47], v[42:43], v[34:35], v[50:51]
	v_fma_f64 v[34:35], v[44:45], v[34:35], v[52:53]
	v_fma_f64 v[21:22], -v[32:33], v[36:37], v[21:22]
	v_fma_f64 v[24:25], v[30:31], v[36:37], v[24:25]
	v_fma_f64 v[30:31], -v[44:45], v[36:37], v[46:47]
	v_fma_f64 v[32:33], v[42:43], v[36:37], v[34:35]
	s_waitcnt vmcnt(0)
	v_fma_f64 v[21:22], v[16:17], v[12:13], v[21:22]
	v_fma_f64 v[24:25], v[18:19], v[12:13], v[24:25]
	;; [unrolled: 1-line block ×4, first 2 shown]
	v_fma_f64 v[18:19], -v[18:19], v[14:15], v[21:22]
	v_fma_f64 v[16:17], v[16:17], v[14:15], v[24:25]
	v_fma_f64 v[12:13], -v[40:41], v[14:15], v[30:31]
	v_fma_f64 v[14:15], v[38:39], v[14:15], v[32:33]
	s_andn2_b64 exec, exec, s[0:1]
	s_cbranch_execnz .LBB272_13
; %bb.14:
	s_or_b64 exec, exec, s[0:1]
.LBB272_15:
	s_or_b64 exec, exec, s[2:3]
.LBB272_16:
	v_mov_b32_dpp v10, v18 row_shr:1 row_mask:0xf bank_mask:0xf
	v_mov_b32_dpp v11, v19 row_shr:1 row_mask:0xf bank_mask:0xf
	v_add_f64 v[10:11], v[18:19], v[10:11]
	v_mov_b32_dpp v18, v16 row_shr:1 row_mask:0xf bank_mask:0xf
	v_mov_b32_dpp v19, v17 row_shr:1 row_mask:0xf bank_mask:0xf
	v_add_f64 v[16:17], v[16:17], v[18:19]
	;; [unrolled: 3-line block ×3, first 2 shown]
	v_cmp_eq_u32_e32 vcc, 63, v0
	v_mov_b32_dpp v18, v10 row_shr:2 row_mask:0xf bank_mask:0xf
	v_mov_b32_dpp v19, v11 row_shr:2 row_mask:0xf bank_mask:0xf
	v_add_f64 v[10:11], v[10:11], v[18:19]
	v_mov_b32_dpp v18, v12 row_shr:1 row_mask:0xf bank_mask:0xf
	v_mov_b32_dpp v19, v13 row_shr:1 row_mask:0xf bank_mask:0xf
	v_add_f64 v[12:13], v[12:13], v[18:19]
	v_mov_b32_dpp v18, v16 row_shr:2 row_mask:0xf bank_mask:0xf
	v_mov_b32_dpp v19, v10 row_shr:4 row_mask:0xf bank_mask:0xe
	v_mov_b32_dpp v20, v11 row_shr:4 row_mask:0xf bank_mask:0xe
	v_add_f64 v[10:11], v[10:11], v[19:20]
	v_mov_b32_dpp v19, v17 row_shr:2 row_mask:0xf bank_mask:0xf
	;; [unrolled: 4-line block ×3, first 2 shown]
	v_add_f64 v[12:13], v[12:13], v[20:21]
	v_mov_b32_dpp v19, v15 row_shr:2 row_mask:0xf bank_mask:0xf
	v_add_f64 v[14:15], v[14:15], v[18:19]
	v_mov_b32_dpp v20, v10 row_shr:8 row_mask:0xf bank_mask:0xc
	v_mov_b32_dpp v21, v11 row_shr:8 row_mask:0xf bank_mask:0xc
	v_add_f64 v[10:11], v[10:11], v[20:21]
	v_mov_b32_dpp v18, v16 row_shr:4 row_mask:0xf bank_mask:0xe
	v_mov_b32_dpp v19, v17 row_shr:4 row_mask:0xf bank_mask:0xe
	v_mov_b32_dpp v20, v12 row_shr:4 row_mask:0xf bank_mask:0xe
	v_add_f64 v[16:17], v[16:17], v[18:19]
	v_mov_b32_dpp v21, v13 row_shr:4 row_mask:0xf bank_mask:0xe
	v_add_f64 v[12:13], v[12:13], v[20:21]
	v_mov_b32_dpp v19, v14 row_shr:4 row_mask:0xf bank_mask:0xe
	v_mov_b32_dpp v20, v15 row_shr:4 row_mask:0xf bank_mask:0xe
	v_add_f64 v[14:15], v[14:15], v[19:20]
	v_mov_b32_dpp v18, v10 row_bcast:15 row_mask:0xa bank_mask:0xf
	v_mov_b32_dpp v19, v11 row_bcast:15 row_mask:0xa bank_mask:0xf
	v_mov_b32_dpp v20, v16 row_shr:8 row_mask:0xf bank_mask:0xc
	v_mov_b32_dpp v21, v17 row_shr:8 row_mask:0xf bank_mask:0xc
	v_add_f64 v[16:17], v[16:17], v[20:21]
	v_mov_b32_dpp v20, v12 row_shr:8 row_mask:0xf bank_mask:0xc
	v_mov_b32_dpp v21, v13 row_shr:8 row_mask:0xf bank_mask:0xc
	v_add_f64 v[20:21], v[12:13], v[20:21]
	;; [unrolled: 3-line block ×3, first 2 shown]
	v_add_f64 v[10:11], v[10:11], v[18:19]
	v_mov_b32_dpp v12, v16 row_bcast:15 row_mask:0xa bank_mask:0xf
	v_mov_b32_dpp v13, v17 row_bcast:15 row_mask:0xa bank_mask:0xf
	v_add_f64 v[12:13], v[16:17], v[12:13]
	v_mov_b32_dpp v16, v20 row_bcast:15 row_mask:0xa bank_mask:0xf
	v_mov_b32_dpp v17, v21 row_bcast:15 row_mask:0xa bank_mask:0xf
	v_add_f64 v[18:19], v[20:21], v[16:17]
	v_mov_b32_dpp v16, v14 row_bcast:15 row_mask:0xa bank_mask:0xf
	v_mov_b32_dpp v17, v15 row_bcast:15 row_mask:0xa bank_mask:0xf
	v_add_f64 v[14:15], v[14:15], v[16:17]
	v_mov_b32_dpp v24, v10 row_bcast:31 row_mask:0xc bank_mask:0xf
	v_mov_b32_dpp v25, v11 row_bcast:31 row_mask:0xc bank_mask:0xf
	v_mov_b32_dpp v16, v12 row_bcast:31 row_mask:0xc bank_mask:0xf
	v_mov_b32_dpp v17, v13 row_bcast:31 row_mask:0xc bank_mask:0xf
	;; [unrolled: 1-line block ×6, first 2 shown]
	s_and_b64 exec, exec, vcc
	s_cbranch_execz .LBB272_21
; %bb.17:
	v_cmp_eq_f64_e32 vcc, 0, v[5:6]
	v_cmp_eq_f64_e64 s[0:1], 0, v[7:8]
	v_add_f64 v[10:11], v[10:11], v[24:25]
	v_add_f64 v[16:17], v[12:13], v[16:17]
	;; [unrolled: 1-line block ×4, first 2 shown]
	s_load_dwordx2 s[2:3], s[4:5], 0x48
	s_and_b64 s[0:1], vcc, s[0:1]
	s_and_saveexec_b64 s[4:5], s[0:1]
	s_xor_b64 s[0:1], exec, s[4:5]
	s_cbranch_execz .LBB272_19
; %bb.18:
	v_mul_f64 v[5:6], v[16:17], -v[3:4]
	v_mul_f64 v[7:8], v[1:2], v[16:17]
	v_mul_f64 v[16:17], v[14:15], -v[3:4]
	v_mul_f64 v[14:15], v[1:2], v[14:15]
	v_lshlrev_b32_e32 v9, 1, v9
	s_waitcnt lgkmcnt(0)
	v_mov_b32_e32 v18, s3
	v_fma_f64 v[5:6], v[1:2], v[10:11], v[5:6]
	v_fma_f64 v[7:8], v[3:4], v[10:11], v[7:8]
	;; [unrolled: 1-line block ×4, first 2 shown]
	v_ashrrev_i32_e32 v10, 31, v9
	v_lshlrev_b64 v[9:10], 4, v[9:10]
                                        ; implicit-def: $vgpr16_vgpr17
                                        ; implicit-def: $vgpr12_vgpr13
                                        ; implicit-def: $vgpr14_vgpr15
	v_add_co_u32_e32 v9, vcc, s2, v9
	v_addc_co_u32_e32 v10, vcc, v18, v10, vcc
	global_store_dwordx4 v[9:10], v[5:8], off
	global_store_dwordx4 v[9:10], v[0:3], off offset:16
                                        ; implicit-def: $vgpr9
                                        ; implicit-def: $vgpr10_vgpr11
                                        ; implicit-def: $vgpr7_vgpr8
                                        ; implicit-def: $vgpr3_vgpr4
.LBB272_19:
	s_andn2_saveexec_b64 s[0:1], s[0:1]
	s_cbranch_execz .LBB272_21
; %bb.20:
	v_lshlrev_b32_e32 v18, 1, v9
	v_ashrrev_i32_e32 v19, 31, v18
	v_lshlrev_b64 v[18:19], 4, v[18:19]
	s_waitcnt lgkmcnt(0)
	v_mov_b32_e32 v0, s3
	v_add_co_u32_e32 v26, vcc, s2, v18
	v_addc_co_u32_e32 v27, vcc, v0, v19, vcc
	global_load_dwordx4 v[18:21], v[26:27], off
	global_load_dwordx4 v[22:25], v[26:27], off offset:16
	v_mul_f64 v[28:29], v[16:17], -v[3:4]
	v_mul_f64 v[16:17], v[1:2], v[16:17]
	v_mul_f64 v[30:31], v[14:15], -v[3:4]
	v_mul_f64 v[14:15], v[1:2], v[14:15]
	v_fma_f64 v[28:29], v[1:2], v[10:11], v[28:29]
	v_fma_f64 v[9:10], v[3:4], v[10:11], v[16:17]
	;; [unrolled: 1-line block ×4, first 2 shown]
	s_waitcnt vmcnt(1)
	v_fma_f64 v[11:12], v[5:6], v[18:19], v[28:29]
	v_fma_f64 v[9:10], v[7:8], v[18:19], v[9:10]
	s_waitcnt vmcnt(0)
	v_fma_f64 v[13:14], v[5:6], v[22:23], v[0:1]
	v_fma_f64 v[15:16], v[7:8], v[22:23], v[2:3]
	v_fma_f64 v[0:1], -v[7:8], v[20:21], v[11:12]
	v_fma_f64 v[2:3], v[5:6], v[20:21], v[9:10]
	v_fma_f64 v[7:8], -v[7:8], v[24:25], v[13:14]
	v_fma_f64 v[9:10], v[5:6], v[24:25], v[15:16]
	global_store_dwordx4 v[26:27], v[0:3], off
	global_store_dwordx4 v[26:27], v[7:10], off offset:16
.LBB272_21:
	s_endpgm
	.section	.rodata,"a",@progbits
	.p2align	6, 0x0
	.amdhsa_kernel _ZN9rocsparseL19gebsrmvn_2xn_kernelILj128ELj10ELj64E21rocsparse_complex_numIdEEEvi20rocsparse_direction_NS_24const_host_device_scalarIT2_EEPKiS8_PKS5_SA_S6_PS5_21rocsparse_index_base_b
		.amdhsa_group_segment_fixed_size 0
		.amdhsa_private_segment_fixed_size 0
		.amdhsa_kernarg_size 88
		.amdhsa_user_sgpr_count 6
		.amdhsa_user_sgpr_private_segment_buffer 1
		.amdhsa_user_sgpr_dispatch_ptr 0
		.amdhsa_user_sgpr_queue_ptr 0
		.amdhsa_user_sgpr_kernarg_segment_ptr 1
		.amdhsa_user_sgpr_dispatch_id 0
		.amdhsa_user_sgpr_flat_scratch_init 0
		.amdhsa_user_sgpr_private_segment_size 0
		.amdhsa_uses_dynamic_stack 0
		.amdhsa_system_sgpr_private_segment_wavefront_offset 0
		.amdhsa_system_sgpr_workgroup_id_x 1
		.amdhsa_system_sgpr_workgroup_id_y 0
		.amdhsa_system_sgpr_workgroup_id_z 0
		.amdhsa_system_sgpr_workgroup_info 0
		.amdhsa_system_vgpr_workitem_id 0
		.amdhsa_next_free_vgpr 58
		.amdhsa_next_free_sgpr 20
		.amdhsa_reserve_vcc 1
		.amdhsa_reserve_flat_scratch 0
		.amdhsa_float_round_mode_32 0
		.amdhsa_float_round_mode_16_64 0
		.amdhsa_float_denorm_mode_32 3
		.amdhsa_float_denorm_mode_16_64 3
		.amdhsa_dx10_clamp 1
		.amdhsa_ieee_mode 1
		.amdhsa_fp16_overflow 0
		.amdhsa_exception_fp_ieee_invalid_op 0
		.amdhsa_exception_fp_denorm_src 0
		.amdhsa_exception_fp_ieee_div_zero 0
		.amdhsa_exception_fp_ieee_overflow 0
		.amdhsa_exception_fp_ieee_underflow 0
		.amdhsa_exception_fp_ieee_inexact 0
		.amdhsa_exception_int_div_zero 0
	.end_amdhsa_kernel
	.section	.text._ZN9rocsparseL19gebsrmvn_2xn_kernelILj128ELj10ELj64E21rocsparse_complex_numIdEEEvi20rocsparse_direction_NS_24const_host_device_scalarIT2_EEPKiS8_PKS5_SA_S6_PS5_21rocsparse_index_base_b,"axG",@progbits,_ZN9rocsparseL19gebsrmvn_2xn_kernelILj128ELj10ELj64E21rocsparse_complex_numIdEEEvi20rocsparse_direction_NS_24const_host_device_scalarIT2_EEPKiS8_PKS5_SA_S6_PS5_21rocsparse_index_base_b,comdat
.Lfunc_end272:
	.size	_ZN9rocsparseL19gebsrmvn_2xn_kernelILj128ELj10ELj64E21rocsparse_complex_numIdEEEvi20rocsparse_direction_NS_24const_host_device_scalarIT2_EEPKiS8_PKS5_SA_S6_PS5_21rocsparse_index_base_b, .Lfunc_end272-_ZN9rocsparseL19gebsrmvn_2xn_kernelILj128ELj10ELj64E21rocsparse_complex_numIdEEEvi20rocsparse_direction_NS_24const_host_device_scalarIT2_EEPKiS8_PKS5_SA_S6_PS5_21rocsparse_index_base_b
                                        ; -- End function
	.set _ZN9rocsparseL19gebsrmvn_2xn_kernelILj128ELj10ELj64E21rocsparse_complex_numIdEEEvi20rocsparse_direction_NS_24const_host_device_scalarIT2_EEPKiS8_PKS5_SA_S6_PS5_21rocsparse_index_base_b.num_vgpr, 58
	.set _ZN9rocsparseL19gebsrmvn_2xn_kernelILj128ELj10ELj64E21rocsparse_complex_numIdEEEvi20rocsparse_direction_NS_24const_host_device_scalarIT2_EEPKiS8_PKS5_SA_S6_PS5_21rocsparse_index_base_b.num_agpr, 0
	.set _ZN9rocsparseL19gebsrmvn_2xn_kernelILj128ELj10ELj64E21rocsparse_complex_numIdEEEvi20rocsparse_direction_NS_24const_host_device_scalarIT2_EEPKiS8_PKS5_SA_S6_PS5_21rocsparse_index_base_b.numbered_sgpr, 20
	.set _ZN9rocsparseL19gebsrmvn_2xn_kernelILj128ELj10ELj64E21rocsparse_complex_numIdEEEvi20rocsparse_direction_NS_24const_host_device_scalarIT2_EEPKiS8_PKS5_SA_S6_PS5_21rocsparse_index_base_b.num_named_barrier, 0
	.set _ZN9rocsparseL19gebsrmvn_2xn_kernelILj128ELj10ELj64E21rocsparse_complex_numIdEEEvi20rocsparse_direction_NS_24const_host_device_scalarIT2_EEPKiS8_PKS5_SA_S6_PS5_21rocsparse_index_base_b.private_seg_size, 0
	.set _ZN9rocsparseL19gebsrmvn_2xn_kernelILj128ELj10ELj64E21rocsparse_complex_numIdEEEvi20rocsparse_direction_NS_24const_host_device_scalarIT2_EEPKiS8_PKS5_SA_S6_PS5_21rocsparse_index_base_b.uses_vcc, 1
	.set _ZN9rocsparseL19gebsrmvn_2xn_kernelILj128ELj10ELj64E21rocsparse_complex_numIdEEEvi20rocsparse_direction_NS_24const_host_device_scalarIT2_EEPKiS8_PKS5_SA_S6_PS5_21rocsparse_index_base_b.uses_flat_scratch, 0
	.set _ZN9rocsparseL19gebsrmvn_2xn_kernelILj128ELj10ELj64E21rocsparse_complex_numIdEEEvi20rocsparse_direction_NS_24const_host_device_scalarIT2_EEPKiS8_PKS5_SA_S6_PS5_21rocsparse_index_base_b.has_dyn_sized_stack, 0
	.set _ZN9rocsparseL19gebsrmvn_2xn_kernelILj128ELj10ELj64E21rocsparse_complex_numIdEEEvi20rocsparse_direction_NS_24const_host_device_scalarIT2_EEPKiS8_PKS5_SA_S6_PS5_21rocsparse_index_base_b.has_recursion, 0
	.set _ZN9rocsparseL19gebsrmvn_2xn_kernelILj128ELj10ELj64E21rocsparse_complex_numIdEEEvi20rocsparse_direction_NS_24const_host_device_scalarIT2_EEPKiS8_PKS5_SA_S6_PS5_21rocsparse_index_base_b.has_indirect_call, 0
	.section	.AMDGPU.csdata,"",@progbits
; Kernel info:
; codeLenInByte = 4232
; TotalNumSgprs: 24
; NumVgprs: 58
; ScratchSize: 0
; MemoryBound: 1
; FloatMode: 240
; IeeeMode: 1
; LDSByteSize: 0 bytes/workgroup (compile time only)
; SGPRBlocks: 2
; VGPRBlocks: 14
; NumSGPRsForWavesPerEU: 24
; NumVGPRsForWavesPerEU: 58
; Occupancy: 4
; WaveLimiterHint : 1
; COMPUTE_PGM_RSRC2:SCRATCH_EN: 0
; COMPUTE_PGM_RSRC2:USER_SGPR: 6
; COMPUTE_PGM_RSRC2:TRAP_HANDLER: 0
; COMPUTE_PGM_RSRC2:TGID_X_EN: 1
; COMPUTE_PGM_RSRC2:TGID_Y_EN: 0
; COMPUTE_PGM_RSRC2:TGID_Z_EN: 0
; COMPUTE_PGM_RSRC2:TIDIG_COMP_CNT: 0
	.section	.text._ZN9rocsparseL19gebsrmvn_2xn_kernelILj128ELj11ELj4E21rocsparse_complex_numIdEEEvi20rocsparse_direction_NS_24const_host_device_scalarIT2_EEPKiS8_PKS5_SA_S6_PS5_21rocsparse_index_base_b,"axG",@progbits,_ZN9rocsparseL19gebsrmvn_2xn_kernelILj128ELj11ELj4E21rocsparse_complex_numIdEEEvi20rocsparse_direction_NS_24const_host_device_scalarIT2_EEPKiS8_PKS5_SA_S6_PS5_21rocsparse_index_base_b,comdat
	.globl	_ZN9rocsparseL19gebsrmvn_2xn_kernelILj128ELj11ELj4E21rocsparse_complex_numIdEEEvi20rocsparse_direction_NS_24const_host_device_scalarIT2_EEPKiS8_PKS5_SA_S6_PS5_21rocsparse_index_base_b ; -- Begin function _ZN9rocsparseL19gebsrmvn_2xn_kernelILj128ELj11ELj4E21rocsparse_complex_numIdEEEvi20rocsparse_direction_NS_24const_host_device_scalarIT2_EEPKiS8_PKS5_SA_S6_PS5_21rocsparse_index_base_b
	.p2align	8
	.type	_ZN9rocsparseL19gebsrmvn_2xn_kernelILj128ELj11ELj4E21rocsparse_complex_numIdEEEvi20rocsparse_direction_NS_24const_host_device_scalarIT2_EEPKiS8_PKS5_SA_S6_PS5_21rocsparse_index_base_b,@function
_ZN9rocsparseL19gebsrmvn_2xn_kernelILj128ELj11ELj4E21rocsparse_complex_numIdEEEvi20rocsparse_direction_NS_24const_host_device_scalarIT2_EEPKiS8_PKS5_SA_S6_PS5_21rocsparse_index_base_b: ; @_ZN9rocsparseL19gebsrmvn_2xn_kernelILj128ELj11ELj4E21rocsparse_complex_numIdEEEvi20rocsparse_direction_NS_24const_host_device_scalarIT2_EEPKiS8_PKS5_SA_S6_PS5_21rocsparse_index_base_b
; %bb.0:
	s_load_dwordx2 s[0:1], s[4:5], 0x8
	s_load_dwordx2 s[8:9], s[4:5], 0x38
	;; [unrolled: 1-line block ×3, first 2 shown]
	s_add_u32 s7, s4, 8
	s_addc_u32 s10, s5, 0
	s_add_u32 s11, s4, 56
	s_addc_u32 s12, s5, 0
	s_waitcnt lgkmcnt(0)
	s_bitcmp1_b32 s3, 0
	s_cselect_b32 s1, s10, s1
	s_cselect_b32 s0, s7, s0
	v_mov_b32_e32 v1, s0
	v_mov_b32_e32 v2, s1
	flat_load_dwordx4 v[1:4], v[1:2]
	s_cselect_b32 s0, s12, s9
	s_cselect_b32 s1, s11, s8
	v_mov_b32_e32 v5, s1
	v_mov_b32_e32 v6, s0
	flat_load_dwordx4 v[5:8], v[5:6]
	s_waitcnt vmcnt(0) lgkmcnt(0)
	v_cmp_eq_f64_e32 vcc, 0, v[1:2]
	v_cmp_eq_f64_e64 s[0:1], 0, v[3:4]
	s_and_b64 s[10:11], vcc, s[0:1]
	s_mov_b64 s[0:1], -1
	s_and_saveexec_b64 s[8:9], s[10:11]
	s_cbranch_execz .LBB273_2
; %bb.1:
	v_cmp_neq_f64_e32 vcc, 1.0, v[5:6]
	v_cmp_neq_f64_e64 s[0:1], 0, v[7:8]
	s_or_b64 s[0:1], vcc, s[0:1]
	s_orn2_b64 s[0:1], s[0:1], exec
.LBB273_2:
	s_or_b64 exec, exec, s[8:9]
	s_and_saveexec_b64 s[8:9], s[0:1]
	s_cbranch_execz .LBB273_29
; %bb.3:
	s_load_dwordx2 s[0:1], s[4:5], 0x0
	v_lshrrev_b32_e32 v9, 2, v0
	v_lshl_or_b32 v9, s6, 5, v9
	s_waitcnt lgkmcnt(0)
	v_cmp_gt_i32_e32 vcc, s0, v9
	s_and_b64 exec, exec, vcc
	s_cbranch_execz .LBB273_29
; %bb.4:
	s_load_dwordx8 s[8:15], s[4:5], 0x18
	v_ashrrev_i32_e32 v10, 31, v9
	v_lshlrev_b64 v[10:11], 2, v[9:10]
	v_and_b32_e32 v0, 3, v0
	s_cmp_lg_u32 s1, 0
	s_waitcnt lgkmcnt(0)
	v_mov_b32_e32 v12, s9
	v_add_co_u32_e32 v10, vcc, s8, v10
	v_addc_co_u32_e32 v11, vcc, v12, v11, vcc
	global_load_dwordx2 v[11:12], v[10:11], off
	s_waitcnt vmcnt(0)
	v_subrev_u32_e32 v10, s2, v11
	v_subrev_u32_e32 v33, s2, v12
	v_add_u32_e32 v10, v10, v0
	v_cmp_lt_i32_e64 s[0:1], v10, v33
	s_cbranch_scc0 .LBB273_12
; %bb.5:
	v_mov_b32_e32 v12, 0
	v_mov_b32_e32 v20, 0
	;; [unrolled: 1-line block ×8, first 2 shown]
	s_and_saveexec_b64 s[6:7], s[0:1]
	s_cbranch_execz .LBB273_14
; %bb.6:
	v_mul_lo_u32 v14, v11, 22
	v_mul_lo_u32 v34, v10, 22
	s_mul_i32 s3, s2, 22
	v_mov_b32_e32 v12, 0
	v_mad_u32_u24 v14, v0, 22, v14
	v_subrev_u32_e32 v35, s3, v14
	v_mov_b32_e32 v20, 0
	v_mov_b32_e32 v16, 0
	;; [unrolled: 1-line block ×4, first 2 shown]
	s_mov_b64 s[8:9], 0
	v_mov_b32_e32 v36, s11
	v_mov_b32_e32 v19, 0
	;; [unrolled: 1-line block ×8, first 2 shown]
	s_branch .LBB273_8
.LBB273_7:                              ;   in Loop: Header=BB273_8 Depth=1
	v_add_u32_e32 v22, 4, v22
	v_cmp_ge_i32_e32 vcc, v22, v33
	v_add_u32_e32 v34, 0x58, v34
	s_or_b64 s[8:9], vcc, s[8:9]
	v_add_u32_e32 v35, 0x58, v35
	s_andn2_b64 exec, exec, s[8:9]
	s_cbranch_execz .LBB273_13
.LBB273_8:                              ; =>This Loop Header: Depth=1
                                        ;     Child Loop BB273_10 Depth 2
	v_ashrrev_i32_e32 v23, 31, v22
	v_lshlrev_b64 v[23:24], 2, v[22:23]
	v_mov_b32_e32 v30, v13
	v_add_co_u32_e32 v23, vcc, s10, v23
	v_addc_co_u32_e32 v24, vcc, v36, v24, vcc
	global_load_dword v18, v[23:24], off
	v_mov_b32_e32 v32, v21
	v_mov_b32_e32 v26, v17
	;; [unrolled: 1-line block ×3, first 2 shown]
	s_mov_b32 s3, 0
	v_mov_b32_e32 v29, v12
	v_mov_b32_e32 v31, v20
	;; [unrolled: 1-line block ×4, first 2 shown]
	s_waitcnt vmcnt(0)
	v_subrev_u32_e32 v18, s2, v18
	v_mul_lo_u32 v23, v18, 11
	s_branch .LBB273_10
.LBB273_9:                              ;   in Loop: Header=BB273_8 Depth=1
                                        ; implicit-def: $vgpr27_vgpr28
                                        ; implicit-def: $vgpr25_vgpr26
                                        ; implicit-def: $vgpr31_vgpr32
                                        ; implicit-def: $vgpr29_vgpr30
                                        ; implicit-def: $sgpr3
                                        ; implicit-def: $vgpr23
	s_branch .LBB273_7
.LBB273_10:                             ;   Parent Loop BB273_8 Depth=1
                                        ; =>  This Inner Loop Header: Depth=2
	v_add_u32_e32 v18, s3, v35
	v_lshlrev_b64 v[12:13], 4, v[18:19]
	v_mov_b32_e32 v24, v19
	v_add_co_u32_e32 v16, vcc, s12, v12
	v_addc_co_u32_e32 v17, vcc, v37, v13, vcc
	v_lshlrev_b64 v[12:13], 4, v[23:24]
	v_add_u32_e32 v24, s3, v34
	v_add_co_u32_e32 v20, vcc, s14, v12
	v_addc_co_u32_e32 v21, vcc, v38, v13, vcc
	global_load_dwordx4 v[12:15], v[20:21], off
	global_load_dwordx4 v[39:42], v[16:17], off
	global_load_dwordx4 v[43:46], v[16:17], off offset:16
	v_add_u32_e32 v18, 2, v24
	v_lshlrev_b64 v[20:21], 4, v[18:19]
	v_add_u32_e32 v18, 1, v23
	v_lshlrev_b64 v[47:48], 4, v[18:19]
	v_add_co_u32_e32 v16, vcc, s12, v20
	v_addc_co_u32_e32 v17, vcc, v37, v21, vcc
	v_add_co_u32_e32 v20, vcc, s14, v47
	v_addc_co_u32_e32 v21, vcc, v38, v48, vcc
	v_add_u32_e32 v18, 4, v24
	s_cmp_eq_u32 s3, 16
	s_waitcnt vmcnt(1)
	v_fma_f64 v[49:50], v[39:40], v[12:13], v[31:32]
	v_fma_f64 v[51:52], v[41:42], v[12:13], v[29:30]
	global_load_dwordx4 v[29:32], v[16:17], off
	v_fma_f64 v[47:48], -v[41:42], v[14:15], v[49:50]
	v_fma_f64 v[49:50], v[39:40], v[14:15], v[51:52]
	global_load_dwordx4 v[39:42], v[20:21], off
	s_waitcnt vmcnt(2)
	v_fma_f64 v[20:21], v[43:44], v[12:13], v[25:26]
	v_fma_f64 v[12:13], v[45:46], v[12:13], v[27:28]
	v_lshlrev_b64 v[25:26], 4, v[18:19]
	v_add_u32_e32 v18, 2, v23
	v_lshlrev_b64 v[27:28], 4, v[18:19]
	v_fma_f64 v[20:21], -v[45:46], v[14:15], v[20:21]
	v_fma_f64 v[51:52], v[43:44], v[14:15], v[12:13]
	global_load_dwordx4 v[12:15], v[16:17], off offset:16
	v_add_co_u32_e32 v16, vcc, s12, v25
	v_addc_co_u32_e32 v17, vcc, v37, v26, vcc
	s_waitcnt vmcnt(1)
	v_fma_f64 v[43:44], v[29:30], v[39:40], v[47:48]
	v_fma_f64 v[45:46], v[31:32], v[39:40], v[49:50]
	v_add_co_u32_e32 v47, vcc, s14, v27
	v_addc_co_u32_e32 v48, vcc, v38, v28, vcc
	global_load_dwordx4 v[25:28], v[16:17], off
	v_fma_f64 v[49:50], -v[31:32], v[41:42], v[43:44]
	v_fma_f64 v[53:54], v[29:30], v[41:42], v[45:46]
	global_load_dwordx4 v[29:32], v[47:48], off
	global_load_dwordx4 v[43:46], v[16:17], off offset:16
	s_waitcnt vmcnt(3)
	v_fma_f64 v[16:17], v[12:13], v[39:40], v[20:21]
	v_fma_f64 v[20:21], v[14:15], v[39:40], v[51:52]
	v_fma_f64 v[14:15], -v[14:15], v[41:42], v[16:17]
	v_fma_f64 v[12:13], v[12:13], v[41:42], v[20:21]
	s_waitcnt vmcnt(1)
	v_fma_f64 v[16:17], v[25:26], v[29:30], v[49:50]
	v_fma_f64 v[39:40], v[27:28], v[29:30], v[53:54]
	s_waitcnt vmcnt(0)
	v_fma_f64 v[14:15], v[43:44], v[29:30], v[14:15]
	v_fma_f64 v[29:30], v[45:46], v[29:30], v[12:13]
	v_fma_f64 v[20:21], -v[27:28], v[31:32], v[16:17]
	v_fma_f64 v[12:13], v[25:26], v[31:32], v[39:40]
	v_fma_f64 v[16:17], -v[45:46], v[31:32], v[14:15]
	v_fma_f64 v[14:15], v[43:44], v[31:32], v[29:30]
	s_cbranch_scc1 .LBB273_9
; %bb.11:                               ;   in Loop: Header=BB273_10 Depth=2
	v_add_u32_e32 v18, 6, v24
	v_lshlrev_b64 v[24:25], 4, v[18:19]
	v_mov_b32_e32 v18, s13
	v_add_co_u32_e32 v43, vcc, s12, v24
	v_addc_co_u32_e32 v44, vcc, v18, v25, vcc
	v_add_u32_e32 v18, 3, v23
	v_lshlrev_b64 v[24:25], 4, v[18:19]
	v_mov_b32_e32 v18, s15
	v_add_co_u32_e32 v45, vcc, s14, v24
	v_addc_co_u32_e32 v46, vcc, v18, v25, vcc
	global_load_dwordx4 v[25:28], v[45:46], off
	global_load_dwordx4 v[29:32], v[43:44], off
	global_load_dwordx4 v[39:42], v[43:44], off offset:16
	s_add_i32 s3, s3, 8
	v_add_u32_e32 v23, 4, v23
	s_waitcnt vmcnt(1)
	v_fma_f64 v[43:44], v[29:30], v[25:26], v[20:21]
	v_fma_f64 v[45:46], v[31:32], v[25:26], v[12:13]
	s_waitcnt vmcnt(0)
	v_fma_f64 v[47:48], v[39:40], v[25:26], v[16:17]
	v_fma_f64 v[49:50], v[41:42], v[25:26], v[14:15]
	v_fma_f64 v[31:32], -v[31:32], v[27:28], v[43:44]
	v_fma_f64 v[29:30], v[29:30], v[27:28], v[45:46]
	v_fma_f64 v[25:26], -v[41:42], v[27:28], v[47:48]
	v_fma_f64 v[27:28], v[39:40], v[27:28], v[49:50]
	s_cbranch_execnz .LBB273_10
	s_branch .LBB273_7
.LBB273_12:
                                        ; implicit-def: $vgpr12_vgpr13
                                        ; implicit-def: $vgpr20_vgpr21
                                        ; implicit-def: $vgpr16_vgpr17
                                        ; implicit-def: $vgpr14_vgpr15
	s_branch .LBB273_15
.LBB273_13:
	s_or_b64 exec, exec, s[8:9]
.LBB273_14:
	s_or_b64 exec, exec, s[6:7]
	s_cbranch_execnz .LBB273_24
.LBB273_15:
	v_mov_b32_e32 v12, 0
	v_mov_b32_e32 v20, 0
	;; [unrolled: 1-line block ×8, first 2 shown]
	s_and_saveexec_b64 s[6:7], s[0:1]
	s_cbranch_execz .LBB273_23
; %bb.16:
	v_mul_lo_u32 v11, v11, 22
	v_mul_lo_u32 v30, v10, 22
	s_mul_i32 s0, s2, 22
	v_mov_b32_e32 v12, 0
	v_mad_u32_u24 v11, v0, 22, v11
	v_mov_b32_e32 v20, 0
	v_mov_b32_e32 v16, 0
	;; [unrolled: 1-line block ×4, first 2 shown]
	v_subrev_u32_e32 v31, s0, v11
	s_mov_b64 s[0:1], 0
	v_mov_b32_e32 v32, s11
	v_mov_b32_e32 v19, 0
	;; [unrolled: 1-line block ×7, first 2 shown]
	s_branch .LBB273_18
.LBB273_17:                             ;   in Loop: Header=BB273_18 Depth=1
	v_add_u32_e32 v10, 4, v10
	v_cmp_ge_i32_e32 vcc, v10, v33
	v_add_u32_e32 v30, 0x58, v30
	s_or_b64 s[0:1], vcc, s[0:1]
	v_add_u32_e32 v31, 0x58, v31
	s_andn2_b64 exec, exec, s[0:1]
	s_cbranch_execz .LBB273_22
.LBB273_18:                             ; =>This Loop Header: Depth=1
                                        ;     Child Loop BB273_20 Depth 2
	v_ashrrev_i32_e32 v11, 31, v10
	v_lshlrev_b64 v[22:23], 2, v[10:11]
	v_mov_b32_e32 v27, v13
	v_add_co_u32_e32 v22, vcc, s10, v22
	v_addc_co_u32_e32 v23, vcc, v32, v23, vcc
	global_load_dword v11, v[22:23], off
	v_mov_b32_e32 v29, v21
	v_mov_b32_e32 v23, v17
	;; [unrolled: 1-line block ×3, first 2 shown]
	s_mov_b32 s3, 0
	v_mov_b32_e32 v26, v12
	v_mov_b32_e32 v28, v20
	;; [unrolled: 1-line block ×4, first 2 shown]
	s_waitcnt vmcnt(0)
	v_subrev_u32_e32 v11, s2, v11
	v_mul_lo_u32 v11, v11, 11
	s_branch .LBB273_20
.LBB273_19:                             ;   in Loop: Header=BB273_20 Depth=2
	s_andn2_b64 vcc, exec, s[8:9]
	s_cbranch_vccz .LBB273_17
.LBB273_20:                             ;   Parent Loop BB273_18 Depth=1
                                        ; =>  This Inner Loop Header: Depth=2
	v_add_u32_e32 v18, s3, v31
	v_lshlrev_b64 v[12:13], 4, v[18:19]
	v_add_u32_e32 v18, s3, v11
	v_add_co_u32_e32 v16, vcc, s12, v12
	v_lshlrev_b64 v[20:21], 4, v[18:19]
	v_addc_co_u32_e32 v17, vcc, v34, v13, vcc
	v_add_co_u32_e32 v20, vcc, s14, v20
	v_addc_co_u32_e32 v21, vcc, v35, v21, vcc
	global_load_dwordx4 v[12:15], v[16:17], off
	global_load_dwordx4 v[37:40], v[20:21], off
	v_add_u32_e32 v36, s3, v30
	v_mov_b32_e32 v21, v19
	v_add_u32_e32 v20, 11, v36
	v_lshlrev_b64 v[20:21], 4, v[20:21]
	s_cmp_eq_u32 s3, 8
	v_add_co_u32_e32 v20, vcc, s12, v20
	v_addc_co_u32_e32 v21, vcc, v34, v21, vcc
	global_load_dwordx4 v[41:44], v[20:21], off
	s_mov_b64 s[8:9], -1
	s_waitcnt vmcnt(1)
	v_fma_f64 v[20:21], v[12:13], v[37:38], v[28:29]
	v_fma_f64 v[45:46], v[14:15], v[37:38], v[26:27]
	global_load_dwordx4 v[26:29], v[16:17], off offset:16
	v_fma_f64 v[16:17], -v[14:15], v[39:40], v[20:21]
	v_fma_f64 v[45:46], v[12:13], v[39:40], v[45:46]
	v_mov_b32_e32 v13, v19
	v_add_u32_e32 v12, 1, v18
	s_waitcnt vmcnt(1)
	v_fma_f64 v[20:21], v[41:42], v[37:38], v[22:23]
	v_lshlrev_b64 v[12:13], 4, v[12:13]
	v_fma_f64 v[22:23], v[43:44], v[37:38], v[24:25]
	v_add_co_u32_e32 v12, vcc, s14, v12
	v_addc_co_u32_e32 v13, vcc, v35, v13, vcc
	global_load_dwordx4 v[12:15], v[12:13], off
	v_fma_f64 v[24:25], -v[43:44], v[39:40], v[20:21]
	v_mov_b32_e32 v21, v19
	v_add_u32_e32 v20, 12, v36
	v_lshlrev_b64 v[20:21], 4, v[20:21]
	v_fma_f64 v[37:38], v[41:42], v[39:40], v[22:23]
	v_add_co_u32_e32 v41, vcc, s12, v20
	v_addc_co_u32_e32 v42, vcc, v34, v21, vcc
	global_load_dwordx4 v[20:23], v[41:42], off
	v_mov_b32_e32 v44, v19
	v_add_u32_e32 v43, 2, v36
	s_waitcnt vmcnt(1)
	v_fma_f64 v[16:17], v[26:27], v[12:13], v[16:17]
	v_fma_f64 v[39:40], v[28:29], v[12:13], v[45:46]
	v_fma_f64 v[16:17], -v[28:29], v[14:15], v[16:17]
	v_fma_f64 v[28:29], v[26:27], v[14:15], v[39:40]
	v_lshlrev_b64 v[39:40], 4, v[43:44]
	s_waitcnt vmcnt(0)
	v_fma_f64 v[43:44], v[20:21], v[12:13], v[24:25]
	v_fma_f64 v[12:13], v[22:23], v[12:13], v[37:38]
	v_mov_b32_e32 v27, v19
	v_add_u32_e32 v26, 2, v18
	v_lshlrev_b64 v[26:27], 4, v[26:27]
	v_add_co_u32_e32 v24, vcc, s12, v39
	v_addc_co_u32_e32 v25, vcc, v34, v40, vcc
	v_add_co_u32_e32 v45, vcc, s14, v26
	v_addc_co_u32_e32 v46, vcc, v35, v27, vcc
	global_load_dwordx4 v[24:27], v[24:25], off
	v_fma_f64 v[22:23], -v[22:23], v[14:15], v[43:44]
	v_fma_f64 v[20:21], v[20:21], v[14:15], v[12:13]
	global_load_dwordx4 v[12:15], v[45:46], off
	global_load_dwordx4 v[37:40], v[41:42], off offset:16
	s_waitcnt vmcnt(1)
	v_fma_f64 v[16:17], v[24:25], v[12:13], v[16:17]
	v_fma_f64 v[28:29], v[26:27], v[12:13], v[28:29]
	s_waitcnt vmcnt(0)
	v_fma_f64 v[22:23], v[37:38], v[12:13], v[22:23]
	v_fma_f64 v[41:42], v[39:40], v[12:13], v[20:21]
	v_fma_f64 v[20:21], -v[26:27], v[14:15], v[16:17]
	v_fma_f64 v[12:13], v[24:25], v[14:15], v[28:29]
	v_fma_f64 v[16:17], -v[39:40], v[14:15], v[22:23]
	v_fma_f64 v[14:15], v[37:38], v[14:15], v[41:42]
                                        ; implicit-def: $vgpr24_vgpr25
                                        ; implicit-def: $vgpr22_vgpr23
                                        ; implicit-def: $vgpr28_vgpr29
                                        ; implicit-def: $vgpr26_vgpr27
	s_cbranch_scc1 .LBB273_19
; %bb.21:                               ;   in Loop: Header=BB273_20 Depth=2
	v_add_u32_e32 v22, 3, v36
	v_mov_b32_e32 v23, v19
	v_lshlrev_b64 v[22:23], 4, v[22:23]
	v_add_u32_e32 v18, 3, v18
	v_mov_b32_e32 v28, s13
	v_add_co_u32_e32 v22, vcc, s12, v22
	v_lshlrev_b64 v[26:27], 4, v[18:19]
	v_addc_co_u32_e32 v23, vcc, v28, v23, vcc
	v_mov_b32_e32 v18, s15
	v_add_co_u32_e32 v26, vcc, s14, v26
	v_addc_co_u32_e32 v27, vcc, v18, v27, vcc
	v_add_u32_e32 v18, 14, v36
	global_load_dwordx4 v[37:40], v[26:27], off
	v_lshlrev_b64 v[26:27], 4, v[18:19]
	global_load_dwordx4 v[22:25], v[22:23], off
	v_add_co_u32_e32 v26, vcc, s12, v26
	v_addc_co_u32_e32 v27, vcc, v28, v27, vcc
	global_load_dwordx4 v[41:44], v[26:27], off
	s_add_i32 s3, s3, 4
	s_mov_b64 s[8:9], 0
	s_waitcnt vmcnt(1)
	v_fma_f64 v[26:27], v[22:23], v[37:38], v[20:21]
	v_fma_f64 v[45:46], v[24:25], v[37:38], v[12:13]
	s_waitcnt vmcnt(0)
	v_fma_f64 v[47:48], v[41:42], v[37:38], v[16:17]
	v_fma_f64 v[36:37], v[43:44], v[37:38], v[14:15]
	v_fma_f64 v[28:29], -v[24:25], v[39:40], v[26:27]
	v_fma_f64 v[26:27], v[22:23], v[39:40], v[45:46]
	v_fma_f64 v[22:23], -v[43:44], v[39:40], v[47:48]
	v_fma_f64 v[24:25], v[41:42], v[39:40], v[36:37]
	s_branch .LBB273_19
.LBB273_22:
	s_or_b64 exec, exec, s[0:1]
.LBB273_23:
	s_or_b64 exec, exec, s[6:7]
.LBB273_24:
	v_mov_b32_dpp v18, v12 row_shr:1 row_mask:0xf bank_mask:0xf
	v_mov_b32_dpp v19, v13 row_shr:1 row_mask:0xf bank_mask:0xf
	v_add_f64 v[12:13], v[12:13], v[18:19]
	v_mov_b32_dpp v18, v16 row_shr:1 row_mask:0xf bank_mask:0xf
	v_mov_b32_dpp v19, v17 row_shr:1 row_mask:0xf bank_mask:0xf
	v_mov_b32_dpp v10, v20 row_shr:1 row_mask:0xf bank_mask:0xf
	v_mov_b32_dpp v11, v21 row_shr:1 row_mask:0xf bank_mask:0xf
	v_add_f64 v[18:19], v[16:17], v[18:19]
	v_mov_b32_dpp v16, v14 row_shr:1 row_mask:0xf bank_mask:0xf
	v_mov_b32_dpp v17, v15 row_shr:1 row_mask:0xf bank_mask:0xf
	v_add_f64 v[10:11], v[20:21], v[10:11]
	v_add_f64 v[14:15], v[14:15], v[16:17]
	v_mov_b32_dpp v16, v12 row_shr:2 row_mask:0xf bank_mask:0xf
	v_mov_b32_dpp v17, v13 row_shr:2 row_mask:0xf bank_mask:0xf
	v_cmp_eq_u32_e32 vcc, 3, v0
	v_mov_b32_dpp v22, v18 row_shr:2 row_mask:0xf bank_mask:0xf
	v_mov_b32_dpp v23, v19 row_shr:2 row_mask:0xf bank_mask:0xf
	;; [unrolled: 1-line block ×6, first 2 shown]
	s_and_b64 exec, exec, vcc
	s_cbranch_execz .LBB273_29
; %bb.25:
	v_cmp_eq_f64_e32 vcc, 0, v[5:6]
	v_cmp_eq_f64_e64 s[0:1], 0, v[7:8]
	v_add_f64 v[10:11], v[10:11], v[24:25]
	v_add_f64 v[16:17], v[12:13], v[16:17]
	;; [unrolled: 1-line block ×4, first 2 shown]
	s_load_dwordx2 s[2:3], s[4:5], 0x48
	s_and_b64 s[0:1], vcc, s[0:1]
	s_and_saveexec_b64 s[4:5], s[0:1]
	s_xor_b64 s[0:1], exec, s[4:5]
	s_cbranch_execz .LBB273_27
; %bb.26:
	v_mul_f64 v[5:6], v[16:17], -v[3:4]
	v_mul_f64 v[7:8], v[1:2], v[16:17]
	v_mul_f64 v[16:17], v[14:15], -v[3:4]
	v_mul_f64 v[14:15], v[1:2], v[14:15]
	v_lshlrev_b32_e32 v9, 1, v9
	s_waitcnt lgkmcnt(0)
	v_mov_b32_e32 v18, s3
	v_fma_f64 v[5:6], v[1:2], v[10:11], v[5:6]
	v_fma_f64 v[7:8], v[3:4], v[10:11], v[7:8]
	;; [unrolled: 1-line block ×4, first 2 shown]
	v_ashrrev_i32_e32 v10, 31, v9
	v_lshlrev_b64 v[9:10], 4, v[9:10]
                                        ; implicit-def: $vgpr16_vgpr17
                                        ; implicit-def: $vgpr12_vgpr13
                                        ; implicit-def: $vgpr14_vgpr15
	v_add_co_u32_e32 v9, vcc, s2, v9
	v_addc_co_u32_e32 v10, vcc, v18, v10, vcc
	global_store_dwordx4 v[9:10], v[5:8], off
	global_store_dwordx4 v[9:10], v[0:3], off offset:16
                                        ; implicit-def: $vgpr9
                                        ; implicit-def: $vgpr10_vgpr11
                                        ; implicit-def: $vgpr7_vgpr8
                                        ; implicit-def: $vgpr3_vgpr4
.LBB273_27:
	s_andn2_saveexec_b64 s[0:1], s[0:1]
	s_cbranch_execz .LBB273_29
; %bb.28:
	v_lshlrev_b32_e32 v18, 1, v9
	v_ashrrev_i32_e32 v19, 31, v18
	v_lshlrev_b64 v[18:19], 4, v[18:19]
	s_waitcnt lgkmcnt(0)
	v_mov_b32_e32 v0, s3
	v_add_co_u32_e32 v26, vcc, s2, v18
	v_addc_co_u32_e32 v27, vcc, v0, v19, vcc
	global_load_dwordx4 v[18:21], v[26:27], off
	global_load_dwordx4 v[22:25], v[26:27], off offset:16
	v_mul_f64 v[28:29], v[16:17], -v[3:4]
	v_mul_f64 v[16:17], v[1:2], v[16:17]
	v_mul_f64 v[30:31], v[14:15], -v[3:4]
	v_mul_f64 v[14:15], v[1:2], v[14:15]
	v_fma_f64 v[28:29], v[1:2], v[10:11], v[28:29]
	v_fma_f64 v[9:10], v[3:4], v[10:11], v[16:17]
	;; [unrolled: 1-line block ×4, first 2 shown]
	s_waitcnt vmcnt(1)
	v_fma_f64 v[11:12], v[5:6], v[18:19], v[28:29]
	v_fma_f64 v[9:10], v[7:8], v[18:19], v[9:10]
	s_waitcnt vmcnt(0)
	v_fma_f64 v[13:14], v[5:6], v[22:23], v[0:1]
	v_fma_f64 v[15:16], v[7:8], v[22:23], v[2:3]
	v_fma_f64 v[0:1], -v[7:8], v[20:21], v[11:12]
	v_fma_f64 v[2:3], v[5:6], v[20:21], v[9:10]
	v_fma_f64 v[7:8], -v[7:8], v[24:25], v[13:14]
	v_fma_f64 v[9:10], v[5:6], v[24:25], v[15:16]
	global_store_dwordx4 v[26:27], v[0:3], off
	global_store_dwordx4 v[26:27], v[7:10], off offset:16
.LBB273_29:
	s_endpgm
	.section	.rodata,"a",@progbits
	.p2align	6, 0x0
	.amdhsa_kernel _ZN9rocsparseL19gebsrmvn_2xn_kernelILj128ELj11ELj4E21rocsparse_complex_numIdEEEvi20rocsparse_direction_NS_24const_host_device_scalarIT2_EEPKiS8_PKS5_SA_S6_PS5_21rocsparse_index_base_b
		.amdhsa_group_segment_fixed_size 0
		.amdhsa_private_segment_fixed_size 0
		.amdhsa_kernarg_size 88
		.amdhsa_user_sgpr_count 6
		.amdhsa_user_sgpr_private_segment_buffer 1
		.amdhsa_user_sgpr_dispatch_ptr 0
		.amdhsa_user_sgpr_queue_ptr 0
		.amdhsa_user_sgpr_kernarg_segment_ptr 1
		.amdhsa_user_sgpr_dispatch_id 0
		.amdhsa_user_sgpr_flat_scratch_init 0
		.amdhsa_user_sgpr_private_segment_size 0
		.amdhsa_uses_dynamic_stack 0
		.amdhsa_system_sgpr_private_segment_wavefront_offset 0
		.amdhsa_system_sgpr_workgroup_id_x 1
		.amdhsa_system_sgpr_workgroup_id_y 0
		.amdhsa_system_sgpr_workgroup_id_z 0
		.amdhsa_system_sgpr_workgroup_info 0
		.amdhsa_system_vgpr_workitem_id 0
		.amdhsa_next_free_vgpr 55
		.amdhsa_next_free_sgpr 16
		.amdhsa_reserve_vcc 1
		.amdhsa_reserve_flat_scratch 0
		.amdhsa_float_round_mode_32 0
		.amdhsa_float_round_mode_16_64 0
		.amdhsa_float_denorm_mode_32 3
		.amdhsa_float_denorm_mode_16_64 3
		.amdhsa_dx10_clamp 1
		.amdhsa_ieee_mode 1
		.amdhsa_fp16_overflow 0
		.amdhsa_exception_fp_ieee_invalid_op 0
		.amdhsa_exception_fp_denorm_src 0
		.amdhsa_exception_fp_ieee_div_zero 0
		.amdhsa_exception_fp_ieee_overflow 0
		.amdhsa_exception_fp_ieee_underflow 0
		.amdhsa_exception_fp_ieee_inexact 0
		.amdhsa_exception_int_div_zero 0
	.end_amdhsa_kernel
	.section	.text._ZN9rocsparseL19gebsrmvn_2xn_kernelILj128ELj11ELj4E21rocsparse_complex_numIdEEEvi20rocsparse_direction_NS_24const_host_device_scalarIT2_EEPKiS8_PKS5_SA_S6_PS5_21rocsparse_index_base_b,"axG",@progbits,_ZN9rocsparseL19gebsrmvn_2xn_kernelILj128ELj11ELj4E21rocsparse_complex_numIdEEEvi20rocsparse_direction_NS_24const_host_device_scalarIT2_EEPKiS8_PKS5_SA_S6_PS5_21rocsparse_index_base_b,comdat
.Lfunc_end273:
	.size	_ZN9rocsparseL19gebsrmvn_2xn_kernelILj128ELj11ELj4E21rocsparse_complex_numIdEEEvi20rocsparse_direction_NS_24const_host_device_scalarIT2_EEPKiS8_PKS5_SA_S6_PS5_21rocsparse_index_base_b, .Lfunc_end273-_ZN9rocsparseL19gebsrmvn_2xn_kernelILj128ELj11ELj4E21rocsparse_complex_numIdEEEvi20rocsparse_direction_NS_24const_host_device_scalarIT2_EEPKiS8_PKS5_SA_S6_PS5_21rocsparse_index_base_b
                                        ; -- End function
	.set _ZN9rocsparseL19gebsrmvn_2xn_kernelILj128ELj11ELj4E21rocsparse_complex_numIdEEEvi20rocsparse_direction_NS_24const_host_device_scalarIT2_EEPKiS8_PKS5_SA_S6_PS5_21rocsparse_index_base_b.num_vgpr, 55
	.set _ZN9rocsparseL19gebsrmvn_2xn_kernelILj128ELj11ELj4E21rocsparse_complex_numIdEEEvi20rocsparse_direction_NS_24const_host_device_scalarIT2_EEPKiS8_PKS5_SA_S6_PS5_21rocsparse_index_base_b.num_agpr, 0
	.set _ZN9rocsparseL19gebsrmvn_2xn_kernelILj128ELj11ELj4E21rocsparse_complex_numIdEEEvi20rocsparse_direction_NS_24const_host_device_scalarIT2_EEPKiS8_PKS5_SA_S6_PS5_21rocsparse_index_base_b.numbered_sgpr, 16
	.set _ZN9rocsparseL19gebsrmvn_2xn_kernelILj128ELj11ELj4E21rocsparse_complex_numIdEEEvi20rocsparse_direction_NS_24const_host_device_scalarIT2_EEPKiS8_PKS5_SA_S6_PS5_21rocsparse_index_base_b.num_named_barrier, 0
	.set _ZN9rocsparseL19gebsrmvn_2xn_kernelILj128ELj11ELj4E21rocsparse_complex_numIdEEEvi20rocsparse_direction_NS_24const_host_device_scalarIT2_EEPKiS8_PKS5_SA_S6_PS5_21rocsparse_index_base_b.private_seg_size, 0
	.set _ZN9rocsparseL19gebsrmvn_2xn_kernelILj128ELj11ELj4E21rocsparse_complex_numIdEEEvi20rocsparse_direction_NS_24const_host_device_scalarIT2_EEPKiS8_PKS5_SA_S6_PS5_21rocsparse_index_base_b.uses_vcc, 1
	.set _ZN9rocsparseL19gebsrmvn_2xn_kernelILj128ELj11ELj4E21rocsparse_complex_numIdEEEvi20rocsparse_direction_NS_24const_host_device_scalarIT2_EEPKiS8_PKS5_SA_S6_PS5_21rocsparse_index_base_b.uses_flat_scratch, 0
	.set _ZN9rocsparseL19gebsrmvn_2xn_kernelILj128ELj11ELj4E21rocsparse_complex_numIdEEEvi20rocsparse_direction_NS_24const_host_device_scalarIT2_EEPKiS8_PKS5_SA_S6_PS5_21rocsparse_index_base_b.has_dyn_sized_stack, 0
	.set _ZN9rocsparseL19gebsrmvn_2xn_kernelILj128ELj11ELj4E21rocsparse_complex_numIdEEEvi20rocsparse_direction_NS_24const_host_device_scalarIT2_EEPKiS8_PKS5_SA_S6_PS5_21rocsparse_index_base_b.has_recursion, 0
	.set _ZN9rocsparseL19gebsrmvn_2xn_kernelILj128ELj11ELj4E21rocsparse_complex_numIdEEEvi20rocsparse_direction_NS_24const_host_device_scalarIT2_EEPKiS8_PKS5_SA_S6_PS5_21rocsparse_index_base_b.has_indirect_call, 0
	.section	.AMDGPU.csdata,"",@progbits
; Kernel info:
; codeLenInByte = 2600
; TotalNumSgprs: 20
; NumVgprs: 55
; ScratchSize: 0
; MemoryBound: 0
; FloatMode: 240
; IeeeMode: 1
; LDSByteSize: 0 bytes/workgroup (compile time only)
; SGPRBlocks: 2
; VGPRBlocks: 13
; NumSGPRsForWavesPerEU: 20
; NumVGPRsForWavesPerEU: 55
; Occupancy: 4
; WaveLimiterHint : 1
; COMPUTE_PGM_RSRC2:SCRATCH_EN: 0
; COMPUTE_PGM_RSRC2:USER_SGPR: 6
; COMPUTE_PGM_RSRC2:TRAP_HANDLER: 0
; COMPUTE_PGM_RSRC2:TGID_X_EN: 1
; COMPUTE_PGM_RSRC2:TGID_Y_EN: 0
; COMPUTE_PGM_RSRC2:TGID_Z_EN: 0
; COMPUTE_PGM_RSRC2:TIDIG_COMP_CNT: 0
	.section	.text._ZN9rocsparseL19gebsrmvn_2xn_kernelILj128ELj11ELj8E21rocsparse_complex_numIdEEEvi20rocsparse_direction_NS_24const_host_device_scalarIT2_EEPKiS8_PKS5_SA_S6_PS5_21rocsparse_index_base_b,"axG",@progbits,_ZN9rocsparseL19gebsrmvn_2xn_kernelILj128ELj11ELj8E21rocsparse_complex_numIdEEEvi20rocsparse_direction_NS_24const_host_device_scalarIT2_EEPKiS8_PKS5_SA_S6_PS5_21rocsparse_index_base_b,comdat
	.globl	_ZN9rocsparseL19gebsrmvn_2xn_kernelILj128ELj11ELj8E21rocsparse_complex_numIdEEEvi20rocsparse_direction_NS_24const_host_device_scalarIT2_EEPKiS8_PKS5_SA_S6_PS5_21rocsparse_index_base_b ; -- Begin function _ZN9rocsparseL19gebsrmvn_2xn_kernelILj128ELj11ELj8E21rocsparse_complex_numIdEEEvi20rocsparse_direction_NS_24const_host_device_scalarIT2_EEPKiS8_PKS5_SA_S6_PS5_21rocsparse_index_base_b
	.p2align	8
	.type	_ZN9rocsparseL19gebsrmvn_2xn_kernelILj128ELj11ELj8E21rocsparse_complex_numIdEEEvi20rocsparse_direction_NS_24const_host_device_scalarIT2_EEPKiS8_PKS5_SA_S6_PS5_21rocsparse_index_base_b,@function
_ZN9rocsparseL19gebsrmvn_2xn_kernelILj128ELj11ELj8E21rocsparse_complex_numIdEEEvi20rocsparse_direction_NS_24const_host_device_scalarIT2_EEPKiS8_PKS5_SA_S6_PS5_21rocsparse_index_base_b: ; @_ZN9rocsparseL19gebsrmvn_2xn_kernelILj128ELj11ELj8E21rocsparse_complex_numIdEEEvi20rocsparse_direction_NS_24const_host_device_scalarIT2_EEPKiS8_PKS5_SA_S6_PS5_21rocsparse_index_base_b
; %bb.0:
	s_load_dwordx2 s[0:1], s[4:5], 0x8
	s_load_dwordx2 s[8:9], s[4:5], 0x38
	;; [unrolled: 1-line block ×3, first 2 shown]
	s_add_u32 s7, s4, 8
	s_addc_u32 s10, s5, 0
	s_add_u32 s11, s4, 56
	s_addc_u32 s12, s5, 0
	s_waitcnt lgkmcnt(0)
	s_bitcmp1_b32 s3, 0
	s_cselect_b32 s1, s10, s1
	s_cselect_b32 s0, s7, s0
	v_mov_b32_e32 v1, s0
	v_mov_b32_e32 v2, s1
	flat_load_dwordx4 v[1:4], v[1:2]
	s_cselect_b32 s0, s12, s9
	s_cselect_b32 s1, s11, s8
	v_mov_b32_e32 v5, s1
	v_mov_b32_e32 v6, s0
	flat_load_dwordx4 v[5:8], v[5:6]
	s_waitcnt vmcnt(0) lgkmcnt(0)
	v_cmp_eq_f64_e32 vcc, 0, v[1:2]
	v_cmp_eq_f64_e64 s[0:1], 0, v[3:4]
	s_and_b64 s[10:11], vcc, s[0:1]
	s_mov_b64 s[0:1], -1
	s_and_saveexec_b64 s[8:9], s[10:11]
	s_cbranch_execz .LBB274_2
; %bb.1:
	v_cmp_neq_f64_e32 vcc, 1.0, v[5:6]
	v_cmp_neq_f64_e64 s[0:1], 0, v[7:8]
	s_or_b64 s[0:1], vcc, s[0:1]
	s_orn2_b64 s[0:1], s[0:1], exec
.LBB274_2:
	s_or_b64 exec, exec, s[8:9]
	s_and_saveexec_b64 s[8:9], s[0:1]
	s_cbranch_execz .LBB274_29
; %bb.3:
	s_load_dwordx2 s[0:1], s[4:5], 0x0
	v_lshrrev_b32_e32 v9, 3, v0
	v_lshl_or_b32 v9, s6, 4, v9
	s_waitcnt lgkmcnt(0)
	v_cmp_gt_i32_e32 vcc, s0, v9
	s_and_b64 exec, exec, vcc
	s_cbranch_execz .LBB274_29
; %bb.4:
	s_load_dwordx8 s[8:15], s[4:5], 0x18
	v_ashrrev_i32_e32 v10, 31, v9
	v_lshlrev_b64 v[10:11], 2, v[9:10]
	v_and_b32_e32 v0, 7, v0
	s_cmp_lg_u32 s1, 0
	s_waitcnt lgkmcnt(0)
	v_mov_b32_e32 v12, s9
	v_add_co_u32_e32 v10, vcc, s8, v10
	v_addc_co_u32_e32 v11, vcc, v12, v11, vcc
	global_load_dwordx2 v[11:12], v[10:11], off
	s_waitcnt vmcnt(0)
	v_subrev_u32_e32 v10, s2, v11
	v_subrev_u32_e32 v33, s2, v12
	v_add_u32_e32 v10, v10, v0
	v_cmp_lt_i32_e64 s[0:1], v10, v33
	s_cbranch_scc0 .LBB274_12
; %bb.5:
	v_mov_b32_e32 v12, 0
	v_mov_b32_e32 v20, 0
	;; [unrolled: 1-line block ×8, first 2 shown]
	s_and_saveexec_b64 s[6:7], s[0:1]
	s_cbranch_execz .LBB274_14
; %bb.6:
	v_mul_lo_u32 v14, v11, 22
	v_mul_lo_u32 v34, v10, 22
	s_mul_i32 s3, s2, 22
	v_mov_b32_e32 v12, 0
	v_mad_u32_u24 v14, v0, 22, v14
	v_subrev_u32_e32 v35, s3, v14
	v_mov_b32_e32 v20, 0
	v_mov_b32_e32 v16, 0
	;; [unrolled: 1-line block ×4, first 2 shown]
	s_mov_b64 s[8:9], 0
	v_mov_b32_e32 v36, s11
	v_mov_b32_e32 v19, 0
	;; [unrolled: 1-line block ×8, first 2 shown]
	s_branch .LBB274_8
.LBB274_7:                              ;   in Loop: Header=BB274_8 Depth=1
	v_add_u32_e32 v22, 8, v22
	v_cmp_ge_i32_e32 vcc, v22, v33
	v_add_u32_e32 v34, 0xb0, v34
	s_or_b64 s[8:9], vcc, s[8:9]
	v_add_u32_e32 v35, 0xb0, v35
	s_andn2_b64 exec, exec, s[8:9]
	s_cbranch_execz .LBB274_13
.LBB274_8:                              ; =>This Loop Header: Depth=1
                                        ;     Child Loop BB274_10 Depth 2
	v_ashrrev_i32_e32 v23, 31, v22
	v_lshlrev_b64 v[23:24], 2, v[22:23]
	v_mov_b32_e32 v30, v13
	v_add_co_u32_e32 v23, vcc, s10, v23
	v_addc_co_u32_e32 v24, vcc, v36, v24, vcc
	global_load_dword v18, v[23:24], off
	v_mov_b32_e32 v32, v21
	v_mov_b32_e32 v26, v17
	;; [unrolled: 1-line block ×3, first 2 shown]
	s_mov_b32 s3, 0
	v_mov_b32_e32 v29, v12
	v_mov_b32_e32 v31, v20
	;; [unrolled: 1-line block ×4, first 2 shown]
	s_waitcnt vmcnt(0)
	v_subrev_u32_e32 v18, s2, v18
	v_mul_lo_u32 v23, v18, 11
	s_branch .LBB274_10
.LBB274_9:                              ;   in Loop: Header=BB274_8 Depth=1
                                        ; implicit-def: $vgpr27_vgpr28
                                        ; implicit-def: $vgpr25_vgpr26
                                        ; implicit-def: $vgpr31_vgpr32
                                        ; implicit-def: $vgpr29_vgpr30
                                        ; implicit-def: $sgpr3
                                        ; implicit-def: $vgpr23
	s_branch .LBB274_7
.LBB274_10:                             ;   Parent Loop BB274_8 Depth=1
                                        ; =>  This Inner Loop Header: Depth=2
	v_add_u32_e32 v18, s3, v35
	v_lshlrev_b64 v[12:13], 4, v[18:19]
	v_mov_b32_e32 v24, v19
	v_add_co_u32_e32 v16, vcc, s12, v12
	v_addc_co_u32_e32 v17, vcc, v37, v13, vcc
	v_lshlrev_b64 v[12:13], 4, v[23:24]
	v_add_u32_e32 v24, s3, v34
	v_add_co_u32_e32 v20, vcc, s14, v12
	v_addc_co_u32_e32 v21, vcc, v38, v13, vcc
	global_load_dwordx4 v[12:15], v[20:21], off
	global_load_dwordx4 v[39:42], v[16:17], off
	global_load_dwordx4 v[43:46], v[16:17], off offset:16
	v_add_u32_e32 v18, 2, v24
	v_lshlrev_b64 v[20:21], 4, v[18:19]
	v_add_u32_e32 v18, 1, v23
	v_lshlrev_b64 v[47:48], 4, v[18:19]
	v_add_co_u32_e32 v16, vcc, s12, v20
	v_addc_co_u32_e32 v17, vcc, v37, v21, vcc
	v_add_co_u32_e32 v20, vcc, s14, v47
	v_addc_co_u32_e32 v21, vcc, v38, v48, vcc
	v_add_u32_e32 v18, 4, v24
	s_cmp_eq_u32 s3, 16
	s_waitcnt vmcnt(1)
	v_fma_f64 v[49:50], v[39:40], v[12:13], v[31:32]
	v_fma_f64 v[51:52], v[41:42], v[12:13], v[29:30]
	global_load_dwordx4 v[29:32], v[16:17], off
	v_fma_f64 v[47:48], -v[41:42], v[14:15], v[49:50]
	v_fma_f64 v[49:50], v[39:40], v[14:15], v[51:52]
	global_load_dwordx4 v[39:42], v[20:21], off
	s_waitcnt vmcnt(2)
	v_fma_f64 v[20:21], v[43:44], v[12:13], v[25:26]
	v_fma_f64 v[12:13], v[45:46], v[12:13], v[27:28]
	v_lshlrev_b64 v[25:26], 4, v[18:19]
	v_add_u32_e32 v18, 2, v23
	v_lshlrev_b64 v[27:28], 4, v[18:19]
	v_fma_f64 v[20:21], -v[45:46], v[14:15], v[20:21]
	v_fma_f64 v[51:52], v[43:44], v[14:15], v[12:13]
	global_load_dwordx4 v[12:15], v[16:17], off offset:16
	v_add_co_u32_e32 v16, vcc, s12, v25
	v_addc_co_u32_e32 v17, vcc, v37, v26, vcc
	s_waitcnt vmcnt(1)
	v_fma_f64 v[43:44], v[29:30], v[39:40], v[47:48]
	v_fma_f64 v[45:46], v[31:32], v[39:40], v[49:50]
	v_add_co_u32_e32 v47, vcc, s14, v27
	v_addc_co_u32_e32 v48, vcc, v38, v28, vcc
	global_load_dwordx4 v[25:28], v[16:17], off
	v_fma_f64 v[49:50], -v[31:32], v[41:42], v[43:44]
	v_fma_f64 v[53:54], v[29:30], v[41:42], v[45:46]
	global_load_dwordx4 v[29:32], v[47:48], off
	global_load_dwordx4 v[43:46], v[16:17], off offset:16
	s_waitcnt vmcnt(3)
	v_fma_f64 v[16:17], v[12:13], v[39:40], v[20:21]
	v_fma_f64 v[20:21], v[14:15], v[39:40], v[51:52]
	v_fma_f64 v[14:15], -v[14:15], v[41:42], v[16:17]
	v_fma_f64 v[12:13], v[12:13], v[41:42], v[20:21]
	s_waitcnt vmcnt(1)
	v_fma_f64 v[16:17], v[25:26], v[29:30], v[49:50]
	v_fma_f64 v[39:40], v[27:28], v[29:30], v[53:54]
	s_waitcnt vmcnt(0)
	v_fma_f64 v[14:15], v[43:44], v[29:30], v[14:15]
	v_fma_f64 v[29:30], v[45:46], v[29:30], v[12:13]
	v_fma_f64 v[20:21], -v[27:28], v[31:32], v[16:17]
	v_fma_f64 v[12:13], v[25:26], v[31:32], v[39:40]
	v_fma_f64 v[16:17], -v[45:46], v[31:32], v[14:15]
	v_fma_f64 v[14:15], v[43:44], v[31:32], v[29:30]
	s_cbranch_scc1 .LBB274_9
; %bb.11:                               ;   in Loop: Header=BB274_10 Depth=2
	v_add_u32_e32 v18, 6, v24
	v_lshlrev_b64 v[24:25], 4, v[18:19]
	v_mov_b32_e32 v18, s13
	v_add_co_u32_e32 v43, vcc, s12, v24
	v_addc_co_u32_e32 v44, vcc, v18, v25, vcc
	v_add_u32_e32 v18, 3, v23
	v_lshlrev_b64 v[24:25], 4, v[18:19]
	v_mov_b32_e32 v18, s15
	v_add_co_u32_e32 v45, vcc, s14, v24
	v_addc_co_u32_e32 v46, vcc, v18, v25, vcc
	global_load_dwordx4 v[25:28], v[45:46], off
	global_load_dwordx4 v[29:32], v[43:44], off
	global_load_dwordx4 v[39:42], v[43:44], off offset:16
	s_add_i32 s3, s3, 8
	v_add_u32_e32 v23, 4, v23
	s_waitcnt vmcnt(1)
	v_fma_f64 v[43:44], v[29:30], v[25:26], v[20:21]
	v_fma_f64 v[45:46], v[31:32], v[25:26], v[12:13]
	s_waitcnt vmcnt(0)
	v_fma_f64 v[47:48], v[39:40], v[25:26], v[16:17]
	v_fma_f64 v[49:50], v[41:42], v[25:26], v[14:15]
	v_fma_f64 v[31:32], -v[31:32], v[27:28], v[43:44]
	v_fma_f64 v[29:30], v[29:30], v[27:28], v[45:46]
	v_fma_f64 v[25:26], -v[41:42], v[27:28], v[47:48]
	v_fma_f64 v[27:28], v[39:40], v[27:28], v[49:50]
	s_cbranch_execnz .LBB274_10
	s_branch .LBB274_7
.LBB274_12:
                                        ; implicit-def: $vgpr12_vgpr13
                                        ; implicit-def: $vgpr20_vgpr21
                                        ; implicit-def: $vgpr16_vgpr17
                                        ; implicit-def: $vgpr14_vgpr15
	s_branch .LBB274_15
.LBB274_13:
	s_or_b64 exec, exec, s[8:9]
.LBB274_14:
	s_or_b64 exec, exec, s[6:7]
	s_cbranch_execnz .LBB274_24
.LBB274_15:
	v_mov_b32_e32 v12, 0
	v_mov_b32_e32 v20, 0
	;; [unrolled: 1-line block ×8, first 2 shown]
	s_and_saveexec_b64 s[6:7], s[0:1]
	s_cbranch_execz .LBB274_23
; %bb.16:
	v_mul_lo_u32 v11, v11, 22
	v_mul_lo_u32 v30, v10, 22
	s_mul_i32 s0, s2, 22
	v_mov_b32_e32 v12, 0
	v_mad_u32_u24 v11, v0, 22, v11
	v_mov_b32_e32 v20, 0
	v_mov_b32_e32 v16, 0
	;; [unrolled: 1-line block ×4, first 2 shown]
	v_subrev_u32_e32 v31, s0, v11
	s_mov_b64 s[0:1], 0
	v_mov_b32_e32 v32, s11
	v_mov_b32_e32 v19, 0
	;; [unrolled: 1-line block ×7, first 2 shown]
	s_branch .LBB274_18
.LBB274_17:                             ;   in Loop: Header=BB274_18 Depth=1
	v_add_u32_e32 v10, 8, v10
	v_cmp_ge_i32_e32 vcc, v10, v33
	v_add_u32_e32 v30, 0xb0, v30
	s_or_b64 s[0:1], vcc, s[0:1]
	v_add_u32_e32 v31, 0xb0, v31
	s_andn2_b64 exec, exec, s[0:1]
	s_cbranch_execz .LBB274_22
.LBB274_18:                             ; =>This Loop Header: Depth=1
                                        ;     Child Loop BB274_20 Depth 2
	v_ashrrev_i32_e32 v11, 31, v10
	v_lshlrev_b64 v[22:23], 2, v[10:11]
	v_mov_b32_e32 v27, v13
	v_add_co_u32_e32 v22, vcc, s10, v22
	v_addc_co_u32_e32 v23, vcc, v32, v23, vcc
	global_load_dword v11, v[22:23], off
	v_mov_b32_e32 v29, v21
	v_mov_b32_e32 v23, v17
	;; [unrolled: 1-line block ×3, first 2 shown]
	s_mov_b32 s3, 0
	v_mov_b32_e32 v26, v12
	v_mov_b32_e32 v28, v20
	;; [unrolled: 1-line block ×4, first 2 shown]
	s_waitcnt vmcnt(0)
	v_subrev_u32_e32 v11, s2, v11
	v_mul_lo_u32 v11, v11, 11
	s_branch .LBB274_20
.LBB274_19:                             ;   in Loop: Header=BB274_20 Depth=2
	s_andn2_b64 vcc, exec, s[8:9]
	s_cbranch_vccz .LBB274_17
.LBB274_20:                             ;   Parent Loop BB274_18 Depth=1
                                        ; =>  This Inner Loop Header: Depth=2
	v_add_u32_e32 v18, s3, v31
	v_lshlrev_b64 v[12:13], 4, v[18:19]
	v_add_u32_e32 v18, s3, v11
	v_add_co_u32_e32 v16, vcc, s12, v12
	v_lshlrev_b64 v[20:21], 4, v[18:19]
	v_addc_co_u32_e32 v17, vcc, v34, v13, vcc
	v_add_co_u32_e32 v20, vcc, s14, v20
	v_addc_co_u32_e32 v21, vcc, v35, v21, vcc
	global_load_dwordx4 v[12:15], v[16:17], off
	global_load_dwordx4 v[37:40], v[20:21], off
	v_add_u32_e32 v36, s3, v30
	v_mov_b32_e32 v21, v19
	v_add_u32_e32 v20, 11, v36
	v_lshlrev_b64 v[20:21], 4, v[20:21]
	s_cmp_eq_u32 s3, 8
	v_add_co_u32_e32 v20, vcc, s12, v20
	v_addc_co_u32_e32 v21, vcc, v34, v21, vcc
	global_load_dwordx4 v[41:44], v[20:21], off
	s_mov_b64 s[8:9], -1
	s_waitcnt vmcnt(1)
	v_fma_f64 v[20:21], v[12:13], v[37:38], v[28:29]
	v_fma_f64 v[45:46], v[14:15], v[37:38], v[26:27]
	global_load_dwordx4 v[26:29], v[16:17], off offset:16
	v_fma_f64 v[16:17], -v[14:15], v[39:40], v[20:21]
	v_fma_f64 v[45:46], v[12:13], v[39:40], v[45:46]
	v_mov_b32_e32 v13, v19
	v_add_u32_e32 v12, 1, v18
	s_waitcnt vmcnt(1)
	v_fma_f64 v[20:21], v[41:42], v[37:38], v[22:23]
	v_lshlrev_b64 v[12:13], 4, v[12:13]
	v_fma_f64 v[22:23], v[43:44], v[37:38], v[24:25]
	v_add_co_u32_e32 v12, vcc, s14, v12
	v_addc_co_u32_e32 v13, vcc, v35, v13, vcc
	global_load_dwordx4 v[12:15], v[12:13], off
	v_fma_f64 v[24:25], -v[43:44], v[39:40], v[20:21]
	v_mov_b32_e32 v21, v19
	v_add_u32_e32 v20, 12, v36
	v_lshlrev_b64 v[20:21], 4, v[20:21]
	v_fma_f64 v[37:38], v[41:42], v[39:40], v[22:23]
	v_add_co_u32_e32 v41, vcc, s12, v20
	v_addc_co_u32_e32 v42, vcc, v34, v21, vcc
	global_load_dwordx4 v[20:23], v[41:42], off
	v_mov_b32_e32 v44, v19
	v_add_u32_e32 v43, 2, v36
	s_waitcnt vmcnt(1)
	v_fma_f64 v[16:17], v[26:27], v[12:13], v[16:17]
	v_fma_f64 v[39:40], v[28:29], v[12:13], v[45:46]
	v_fma_f64 v[16:17], -v[28:29], v[14:15], v[16:17]
	v_fma_f64 v[28:29], v[26:27], v[14:15], v[39:40]
	v_lshlrev_b64 v[39:40], 4, v[43:44]
	s_waitcnt vmcnt(0)
	v_fma_f64 v[43:44], v[20:21], v[12:13], v[24:25]
	v_fma_f64 v[12:13], v[22:23], v[12:13], v[37:38]
	v_mov_b32_e32 v27, v19
	v_add_u32_e32 v26, 2, v18
	v_lshlrev_b64 v[26:27], 4, v[26:27]
	v_add_co_u32_e32 v24, vcc, s12, v39
	v_addc_co_u32_e32 v25, vcc, v34, v40, vcc
	v_add_co_u32_e32 v45, vcc, s14, v26
	v_addc_co_u32_e32 v46, vcc, v35, v27, vcc
	global_load_dwordx4 v[24:27], v[24:25], off
	v_fma_f64 v[22:23], -v[22:23], v[14:15], v[43:44]
	v_fma_f64 v[20:21], v[20:21], v[14:15], v[12:13]
	global_load_dwordx4 v[12:15], v[45:46], off
	global_load_dwordx4 v[37:40], v[41:42], off offset:16
	s_waitcnt vmcnt(1)
	v_fma_f64 v[16:17], v[24:25], v[12:13], v[16:17]
	v_fma_f64 v[28:29], v[26:27], v[12:13], v[28:29]
	s_waitcnt vmcnt(0)
	v_fma_f64 v[22:23], v[37:38], v[12:13], v[22:23]
	v_fma_f64 v[41:42], v[39:40], v[12:13], v[20:21]
	v_fma_f64 v[20:21], -v[26:27], v[14:15], v[16:17]
	v_fma_f64 v[12:13], v[24:25], v[14:15], v[28:29]
	v_fma_f64 v[16:17], -v[39:40], v[14:15], v[22:23]
	v_fma_f64 v[14:15], v[37:38], v[14:15], v[41:42]
                                        ; implicit-def: $vgpr24_vgpr25
                                        ; implicit-def: $vgpr22_vgpr23
                                        ; implicit-def: $vgpr28_vgpr29
                                        ; implicit-def: $vgpr26_vgpr27
	s_cbranch_scc1 .LBB274_19
; %bb.21:                               ;   in Loop: Header=BB274_20 Depth=2
	v_add_u32_e32 v22, 3, v36
	v_mov_b32_e32 v23, v19
	v_lshlrev_b64 v[22:23], 4, v[22:23]
	v_add_u32_e32 v18, 3, v18
	v_mov_b32_e32 v28, s13
	v_add_co_u32_e32 v22, vcc, s12, v22
	v_lshlrev_b64 v[26:27], 4, v[18:19]
	v_addc_co_u32_e32 v23, vcc, v28, v23, vcc
	v_mov_b32_e32 v18, s15
	v_add_co_u32_e32 v26, vcc, s14, v26
	v_addc_co_u32_e32 v27, vcc, v18, v27, vcc
	v_add_u32_e32 v18, 14, v36
	global_load_dwordx4 v[37:40], v[26:27], off
	v_lshlrev_b64 v[26:27], 4, v[18:19]
	global_load_dwordx4 v[22:25], v[22:23], off
	v_add_co_u32_e32 v26, vcc, s12, v26
	v_addc_co_u32_e32 v27, vcc, v28, v27, vcc
	global_load_dwordx4 v[41:44], v[26:27], off
	s_add_i32 s3, s3, 4
	s_mov_b64 s[8:9], 0
	s_waitcnt vmcnt(1)
	v_fma_f64 v[26:27], v[22:23], v[37:38], v[20:21]
	v_fma_f64 v[45:46], v[24:25], v[37:38], v[12:13]
	s_waitcnt vmcnt(0)
	v_fma_f64 v[47:48], v[41:42], v[37:38], v[16:17]
	v_fma_f64 v[36:37], v[43:44], v[37:38], v[14:15]
	v_fma_f64 v[28:29], -v[24:25], v[39:40], v[26:27]
	v_fma_f64 v[26:27], v[22:23], v[39:40], v[45:46]
	v_fma_f64 v[22:23], -v[43:44], v[39:40], v[47:48]
	v_fma_f64 v[24:25], v[41:42], v[39:40], v[36:37]
	s_branch .LBB274_19
.LBB274_22:
	s_or_b64 exec, exec, s[0:1]
.LBB274_23:
	s_or_b64 exec, exec, s[6:7]
.LBB274_24:
	v_mov_b32_dpp v10, v20 row_shr:1 row_mask:0xf bank_mask:0xf
	v_mov_b32_dpp v11, v21 row_shr:1 row_mask:0xf bank_mask:0xf
	v_add_f64 v[10:11], v[20:21], v[10:11]
	v_mov_b32_dpp v18, v12 row_shr:1 row_mask:0xf bank_mask:0xf
	v_mov_b32_dpp v19, v13 row_shr:1 row_mask:0xf bank_mask:0xf
	;; [unrolled: 1-line block ×4, first 2 shown]
	v_add_f64 v[12:13], v[12:13], v[18:19]
	v_add_f64 v[16:17], v[16:17], v[20:21]
	v_mov_b32_dpp v20, v14 row_shr:1 row_mask:0xf bank_mask:0xf
	v_mov_b32_dpp v21, v15 row_shr:1 row_mask:0xf bank_mask:0xf
	v_add_f64 v[14:15], v[14:15], v[20:21]
	v_mov_b32_dpp v18, v10 row_shr:2 row_mask:0xf bank_mask:0xf
	v_mov_b32_dpp v19, v11 row_shr:2 row_mask:0xf bank_mask:0xf
	;; [unrolled: 3-line block ×6, first 2 shown]
	v_mov_b32_dpp v16, v12 row_shr:4 row_mask:0xf bank_mask:0xe
	v_mov_b32_dpp v17, v13 row_shr:4 row_mask:0xf bank_mask:0xe
	;; [unrolled: 1-line block ×4, first 2 shown]
	v_cmp_eq_u32_e32 vcc, 7, v0
	v_mov_b32_dpp v20, v14 row_shr:4 row_mask:0xf bank_mask:0xe
	v_mov_b32_dpp v21, v15 row_shr:4 row_mask:0xf bank_mask:0xe
	s_and_b64 exec, exec, vcc
	s_cbranch_execz .LBB274_29
; %bb.25:
	v_cmp_eq_f64_e32 vcc, 0, v[5:6]
	v_cmp_eq_f64_e64 s[0:1], 0, v[7:8]
	v_add_f64 v[10:11], v[10:11], v[24:25]
	v_add_f64 v[16:17], v[12:13], v[16:17]
	;; [unrolled: 1-line block ×4, first 2 shown]
	s_load_dwordx2 s[2:3], s[4:5], 0x48
	s_and_b64 s[0:1], vcc, s[0:1]
	s_and_saveexec_b64 s[4:5], s[0:1]
	s_xor_b64 s[0:1], exec, s[4:5]
	s_cbranch_execz .LBB274_27
; %bb.26:
	v_mul_f64 v[5:6], v[16:17], -v[3:4]
	v_mul_f64 v[7:8], v[1:2], v[16:17]
	v_mul_f64 v[16:17], v[14:15], -v[3:4]
	v_mul_f64 v[14:15], v[1:2], v[14:15]
	v_lshlrev_b32_e32 v9, 1, v9
	s_waitcnt lgkmcnt(0)
	v_mov_b32_e32 v18, s3
	v_fma_f64 v[5:6], v[1:2], v[10:11], v[5:6]
	v_fma_f64 v[7:8], v[3:4], v[10:11], v[7:8]
	;; [unrolled: 1-line block ×4, first 2 shown]
	v_ashrrev_i32_e32 v10, 31, v9
	v_lshlrev_b64 v[9:10], 4, v[9:10]
                                        ; implicit-def: $vgpr16_vgpr17
                                        ; implicit-def: $vgpr12_vgpr13
                                        ; implicit-def: $vgpr14_vgpr15
	v_add_co_u32_e32 v9, vcc, s2, v9
	v_addc_co_u32_e32 v10, vcc, v18, v10, vcc
	global_store_dwordx4 v[9:10], v[5:8], off
	global_store_dwordx4 v[9:10], v[0:3], off offset:16
                                        ; implicit-def: $vgpr9
                                        ; implicit-def: $vgpr10_vgpr11
                                        ; implicit-def: $vgpr7_vgpr8
                                        ; implicit-def: $vgpr3_vgpr4
.LBB274_27:
	s_andn2_saveexec_b64 s[0:1], s[0:1]
	s_cbranch_execz .LBB274_29
; %bb.28:
	v_lshlrev_b32_e32 v18, 1, v9
	v_ashrrev_i32_e32 v19, 31, v18
	v_lshlrev_b64 v[18:19], 4, v[18:19]
	s_waitcnt lgkmcnt(0)
	v_mov_b32_e32 v0, s3
	v_add_co_u32_e32 v26, vcc, s2, v18
	v_addc_co_u32_e32 v27, vcc, v0, v19, vcc
	global_load_dwordx4 v[18:21], v[26:27], off
	global_load_dwordx4 v[22:25], v[26:27], off offset:16
	v_mul_f64 v[28:29], v[16:17], -v[3:4]
	v_mul_f64 v[16:17], v[1:2], v[16:17]
	v_mul_f64 v[30:31], v[14:15], -v[3:4]
	v_mul_f64 v[14:15], v[1:2], v[14:15]
	v_fma_f64 v[28:29], v[1:2], v[10:11], v[28:29]
	v_fma_f64 v[9:10], v[3:4], v[10:11], v[16:17]
	;; [unrolled: 1-line block ×4, first 2 shown]
	s_waitcnt vmcnt(1)
	v_fma_f64 v[11:12], v[5:6], v[18:19], v[28:29]
	v_fma_f64 v[9:10], v[7:8], v[18:19], v[9:10]
	s_waitcnt vmcnt(0)
	v_fma_f64 v[13:14], v[5:6], v[22:23], v[0:1]
	v_fma_f64 v[15:16], v[7:8], v[22:23], v[2:3]
	v_fma_f64 v[0:1], -v[7:8], v[20:21], v[11:12]
	v_fma_f64 v[2:3], v[5:6], v[20:21], v[9:10]
	v_fma_f64 v[7:8], -v[7:8], v[24:25], v[13:14]
	v_fma_f64 v[9:10], v[5:6], v[24:25], v[15:16]
	global_store_dwordx4 v[26:27], v[0:3], off
	global_store_dwordx4 v[26:27], v[7:10], off offset:16
.LBB274_29:
	s_endpgm
	.section	.rodata,"a",@progbits
	.p2align	6, 0x0
	.amdhsa_kernel _ZN9rocsparseL19gebsrmvn_2xn_kernelILj128ELj11ELj8E21rocsparse_complex_numIdEEEvi20rocsparse_direction_NS_24const_host_device_scalarIT2_EEPKiS8_PKS5_SA_S6_PS5_21rocsparse_index_base_b
		.amdhsa_group_segment_fixed_size 0
		.amdhsa_private_segment_fixed_size 0
		.amdhsa_kernarg_size 88
		.amdhsa_user_sgpr_count 6
		.amdhsa_user_sgpr_private_segment_buffer 1
		.amdhsa_user_sgpr_dispatch_ptr 0
		.amdhsa_user_sgpr_queue_ptr 0
		.amdhsa_user_sgpr_kernarg_segment_ptr 1
		.amdhsa_user_sgpr_dispatch_id 0
		.amdhsa_user_sgpr_flat_scratch_init 0
		.amdhsa_user_sgpr_private_segment_size 0
		.amdhsa_uses_dynamic_stack 0
		.amdhsa_system_sgpr_private_segment_wavefront_offset 0
		.amdhsa_system_sgpr_workgroup_id_x 1
		.amdhsa_system_sgpr_workgroup_id_y 0
		.amdhsa_system_sgpr_workgroup_id_z 0
		.amdhsa_system_sgpr_workgroup_info 0
		.amdhsa_system_vgpr_workitem_id 0
		.amdhsa_next_free_vgpr 55
		.amdhsa_next_free_sgpr 16
		.amdhsa_reserve_vcc 1
		.amdhsa_reserve_flat_scratch 0
		.amdhsa_float_round_mode_32 0
		.amdhsa_float_round_mode_16_64 0
		.amdhsa_float_denorm_mode_32 3
		.amdhsa_float_denorm_mode_16_64 3
		.amdhsa_dx10_clamp 1
		.amdhsa_ieee_mode 1
		.amdhsa_fp16_overflow 0
		.amdhsa_exception_fp_ieee_invalid_op 0
		.amdhsa_exception_fp_denorm_src 0
		.amdhsa_exception_fp_ieee_div_zero 0
		.amdhsa_exception_fp_ieee_overflow 0
		.amdhsa_exception_fp_ieee_underflow 0
		.amdhsa_exception_fp_ieee_inexact 0
		.amdhsa_exception_int_div_zero 0
	.end_amdhsa_kernel
	.section	.text._ZN9rocsparseL19gebsrmvn_2xn_kernelILj128ELj11ELj8E21rocsparse_complex_numIdEEEvi20rocsparse_direction_NS_24const_host_device_scalarIT2_EEPKiS8_PKS5_SA_S6_PS5_21rocsparse_index_base_b,"axG",@progbits,_ZN9rocsparseL19gebsrmvn_2xn_kernelILj128ELj11ELj8E21rocsparse_complex_numIdEEEvi20rocsparse_direction_NS_24const_host_device_scalarIT2_EEPKiS8_PKS5_SA_S6_PS5_21rocsparse_index_base_b,comdat
.Lfunc_end274:
	.size	_ZN9rocsparseL19gebsrmvn_2xn_kernelILj128ELj11ELj8E21rocsparse_complex_numIdEEEvi20rocsparse_direction_NS_24const_host_device_scalarIT2_EEPKiS8_PKS5_SA_S6_PS5_21rocsparse_index_base_b, .Lfunc_end274-_ZN9rocsparseL19gebsrmvn_2xn_kernelILj128ELj11ELj8E21rocsparse_complex_numIdEEEvi20rocsparse_direction_NS_24const_host_device_scalarIT2_EEPKiS8_PKS5_SA_S6_PS5_21rocsparse_index_base_b
                                        ; -- End function
	.set _ZN9rocsparseL19gebsrmvn_2xn_kernelILj128ELj11ELj8E21rocsparse_complex_numIdEEEvi20rocsparse_direction_NS_24const_host_device_scalarIT2_EEPKiS8_PKS5_SA_S6_PS5_21rocsparse_index_base_b.num_vgpr, 55
	.set _ZN9rocsparseL19gebsrmvn_2xn_kernelILj128ELj11ELj8E21rocsparse_complex_numIdEEEvi20rocsparse_direction_NS_24const_host_device_scalarIT2_EEPKiS8_PKS5_SA_S6_PS5_21rocsparse_index_base_b.num_agpr, 0
	.set _ZN9rocsparseL19gebsrmvn_2xn_kernelILj128ELj11ELj8E21rocsparse_complex_numIdEEEvi20rocsparse_direction_NS_24const_host_device_scalarIT2_EEPKiS8_PKS5_SA_S6_PS5_21rocsparse_index_base_b.numbered_sgpr, 16
	.set _ZN9rocsparseL19gebsrmvn_2xn_kernelILj128ELj11ELj8E21rocsparse_complex_numIdEEEvi20rocsparse_direction_NS_24const_host_device_scalarIT2_EEPKiS8_PKS5_SA_S6_PS5_21rocsparse_index_base_b.num_named_barrier, 0
	.set _ZN9rocsparseL19gebsrmvn_2xn_kernelILj128ELj11ELj8E21rocsparse_complex_numIdEEEvi20rocsparse_direction_NS_24const_host_device_scalarIT2_EEPKiS8_PKS5_SA_S6_PS5_21rocsparse_index_base_b.private_seg_size, 0
	.set _ZN9rocsparseL19gebsrmvn_2xn_kernelILj128ELj11ELj8E21rocsparse_complex_numIdEEEvi20rocsparse_direction_NS_24const_host_device_scalarIT2_EEPKiS8_PKS5_SA_S6_PS5_21rocsparse_index_base_b.uses_vcc, 1
	.set _ZN9rocsparseL19gebsrmvn_2xn_kernelILj128ELj11ELj8E21rocsparse_complex_numIdEEEvi20rocsparse_direction_NS_24const_host_device_scalarIT2_EEPKiS8_PKS5_SA_S6_PS5_21rocsparse_index_base_b.uses_flat_scratch, 0
	.set _ZN9rocsparseL19gebsrmvn_2xn_kernelILj128ELj11ELj8E21rocsparse_complex_numIdEEEvi20rocsparse_direction_NS_24const_host_device_scalarIT2_EEPKiS8_PKS5_SA_S6_PS5_21rocsparse_index_base_b.has_dyn_sized_stack, 0
	.set _ZN9rocsparseL19gebsrmvn_2xn_kernelILj128ELj11ELj8E21rocsparse_complex_numIdEEEvi20rocsparse_direction_NS_24const_host_device_scalarIT2_EEPKiS8_PKS5_SA_S6_PS5_21rocsparse_index_base_b.has_recursion, 0
	.set _ZN9rocsparseL19gebsrmvn_2xn_kernelILj128ELj11ELj8E21rocsparse_complex_numIdEEEvi20rocsparse_direction_NS_24const_host_device_scalarIT2_EEPKiS8_PKS5_SA_S6_PS5_21rocsparse_index_base_b.has_indirect_call, 0
	.section	.AMDGPU.csdata,"",@progbits
; Kernel info:
; codeLenInByte = 2696
; TotalNumSgprs: 20
; NumVgprs: 55
; ScratchSize: 0
; MemoryBound: 0
; FloatMode: 240
; IeeeMode: 1
; LDSByteSize: 0 bytes/workgroup (compile time only)
; SGPRBlocks: 2
; VGPRBlocks: 13
; NumSGPRsForWavesPerEU: 20
; NumVGPRsForWavesPerEU: 55
; Occupancy: 4
; WaveLimiterHint : 1
; COMPUTE_PGM_RSRC2:SCRATCH_EN: 0
; COMPUTE_PGM_RSRC2:USER_SGPR: 6
; COMPUTE_PGM_RSRC2:TRAP_HANDLER: 0
; COMPUTE_PGM_RSRC2:TGID_X_EN: 1
; COMPUTE_PGM_RSRC2:TGID_Y_EN: 0
; COMPUTE_PGM_RSRC2:TGID_Z_EN: 0
; COMPUTE_PGM_RSRC2:TIDIG_COMP_CNT: 0
	.section	.text._ZN9rocsparseL19gebsrmvn_2xn_kernelILj128ELj11ELj16E21rocsparse_complex_numIdEEEvi20rocsparse_direction_NS_24const_host_device_scalarIT2_EEPKiS8_PKS5_SA_S6_PS5_21rocsparse_index_base_b,"axG",@progbits,_ZN9rocsparseL19gebsrmvn_2xn_kernelILj128ELj11ELj16E21rocsparse_complex_numIdEEEvi20rocsparse_direction_NS_24const_host_device_scalarIT2_EEPKiS8_PKS5_SA_S6_PS5_21rocsparse_index_base_b,comdat
	.globl	_ZN9rocsparseL19gebsrmvn_2xn_kernelILj128ELj11ELj16E21rocsparse_complex_numIdEEEvi20rocsparse_direction_NS_24const_host_device_scalarIT2_EEPKiS8_PKS5_SA_S6_PS5_21rocsparse_index_base_b ; -- Begin function _ZN9rocsparseL19gebsrmvn_2xn_kernelILj128ELj11ELj16E21rocsparse_complex_numIdEEEvi20rocsparse_direction_NS_24const_host_device_scalarIT2_EEPKiS8_PKS5_SA_S6_PS5_21rocsparse_index_base_b
	.p2align	8
	.type	_ZN9rocsparseL19gebsrmvn_2xn_kernelILj128ELj11ELj16E21rocsparse_complex_numIdEEEvi20rocsparse_direction_NS_24const_host_device_scalarIT2_EEPKiS8_PKS5_SA_S6_PS5_21rocsparse_index_base_b,@function
_ZN9rocsparseL19gebsrmvn_2xn_kernelILj128ELj11ELj16E21rocsparse_complex_numIdEEEvi20rocsparse_direction_NS_24const_host_device_scalarIT2_EEPKiS8_PKS5_SA_S6_PS5_21rocsparse_index_base_b: ; @_ZN9rocsparseL19gebsrmvn_2xn_kernelILj128ELj11ELj16E21rocsparse_complex_numIdEEEvi20rocsparse_direction_NS_24const_host_device_scalarIT2_EEPKiS8_PKS5_SA_S6_PS5_21rocsparse_index_base_b
; %bb.0:
	s_load_dwordx2 s[0:1], s[4:5], 0x8
	s_load_dwordx2 s[8:9], s[4:5], 0x38
	;; [unrolled: 1-line block ×3, first 2 shown]
	s_add_u32 s7, s4, 8
	s_addc_u32 s10, s5, 0
	s_add_u32 s11, s4, 56
	s_addc_u32 s12, s5, 0
	s_waitcnt lgkmcnt(0)
	s_bitcmp1_b32 s3, 0
	s_cselect_b32 s1, s10, s1
	s_cselect_b32 s0, s7, s0
	v_mov_b32_e32 v1, s0
	v_mov_b32_e32 v2, s1
	flat_load_dwordx4 v[1:4], v[1:2]
	s_cselect_b32 s0, s12, s9
	s_cselect_b32 s1, s11, s8
	v_mov_b32_e32 v5, s1
	v_mov_b32_e32 v6, s0
	flat_load_dwordx4 v[5:8], v[5:6]
	s_waitcnt vmcnt(0) lgkmcnt(0)
	v_cmp_eq_f64_e32 vcc, 0, v[1:2]
	v_cmp_eq_f64_e64 s[0:1], 0, v[3:4]
	s_and_b64 s[10:11], vcc, s[0:1]
	s_mov_b64 s[0:1], -1
	s_and_saveexec_b64 s[8:9], s[10:11]
	s_cbranch_execz .LBB275_2
; %bb.1:
	v_cmp_neq_f64_e32 vcc, 1.0, v[5:6]
	v_cmp_neq_f64_e64 s[0:1], 0, v[7:8]
	s_or_b64 s[0:1], vcc, s[0:1]
	s_orn2_b64 s[0:1], s[0:1], exec
.LBB275_2:
	s_or_b64 exec, exec, s[8:9]
	s_and_saveexec_b64 s[8:9], s[0:1]
	s_cbranch_execz .LBB275_29
; %bb.3:
	s_load_dwordx2 s[0:1], s[4:5], 0x0
	v_lshrrev_b32_e32 v9, 4, v0
	v_lshl_or_b32 v9, s6, 3, v9
	s_waitcnt lgkmcnt(0)
	v_cmp_gt_i32_e32 vcc, s0, v9
	s_and_b64 exec, exec, vcc
	s_cbranch_execz .LBB275_29
; %bb.4:
	s_load_dwordx8 s[8:15], s[4:5], 0x18
	v_ashrrev_i32_e32 v10, 31, v9
	v_lshlrev_b64 v[10:11], 2, v[9:10]
	v_and_b32_e32 v0, 15, v0
	s_cmp_lg_u32 s1, 0
	s_waitcnt lgkmcnt(0)
	v_mov_b32_e32 v12, s9
	v_add_co_u32_e32 v10, vcc, s8, v10
	v_addc_co_u32_e32 v11, vcc, v12, v11, vcc
	global_load_dwordx2 v[11:12], v[10:11], off
	s_waitcnt vmcnt(0)
	v_subrev_u32_e32 v10, s2, v11
	v_subrev_u32_e32 v33, s2, v12
	v_add_u32_e32 v10, v10, v0
	v_cmp_lt_i32_e64 s[0:1], v10, v33
	s_cbranch_scc0 .LBB275_12
; %bb.5:
	v_mov_b32_e32 v12, 0
	v_mov_b32_e32 v20, 0
	;; [unrolled: 1-line block ×8, first 2 shown]
	s_and_saveexec_b64 s[6:7], s[0:1]
	s_cbranch_execz .LBB275_14
; %bb.6:
	v_mul_lo_u32 v14, v11, 22
	v_mul_lo_u32 v34, v10, 22
	s_mul_i32 s3, s2, 22
	v_mov_b32_e32 v12, 0
	v_mad_u32_u24 v14, v0, 22, v14
	v_subrev_u32_e32 v35, s3, v14
	v_mov_b32_e32 v20, 0
	v_mov_b32_e32 v14, 0
	;; [unrolled: 1-line block ×4, first 2 shown]
	s_mov_b64 s[8:9], 0
	v_mov_b32_e32 v36, s11
	v_mov_b32_e32 v19, 0
	;; [unrolled: 1-line block ×8, first 2 shown]
	s_branch .LBB275_8
.LBB275_7:                              ;   in Loop: Header=BB275_8 Depth=1
	v_add_u32_e32 v22, 16, v22
	v_cmp_ge_i32_e32 vcc, v22, v33
	v_add_u32_e32 v34, 0x160, v34
	s_or_b64 s[8:9], vcc, s[8:9]
	v_add_u32_e32 v35, 0x160, v35
	s_andn2_b64 exec, exec, s[8:9]
	s_cbranch_execz .LBB275_13
.LBB275_8:                              ; =>This Loop Header: Depth=1
                                        ;     Child Loop BB275_10 Depth 2
	v_ashrrev_i32_e32 v23, 31, v22
	v_lshlrev_b64 v[23:24], 2, v[22:23]
	v_mov_b32_e32 v30, v13
	v_add_co_u32_e32 v23, vcc, s10, v23
	v_addc_co_u32_e32 v24, vcc, v36, v24, vcc
	global_load_dword v18, v[23:24], off
	v_mov_b32_e32 v32, v21
	v_mov_b32_e32 v26, v15
	;; [unrolled: 1-line block ×3, first 2 shown]
	s_mov_b32 s3, 0
	v_mov_b32_e32 v29, v12
	v_mov_b32_e32 v31, v20
	;; [unrolled: 1-line block ×4, first 2 shown]
	s_waitcnt vmcnt(0)
	v_subrev_u32_e32 v18, s2, v18
	v_mul_lo_u32 v23, v18, 11
	s_branch .LBB275_10
.LBB275_9:                              ;   in Loop: Header=BB275_8 Depth=1
                                        ; implicit-def: $vgpr27_vgpr28
                                        ; implicit-def: $vgpr25_vgpr26
                                        ; implicit-def: $vgpr31_vgpr32
                                        ; implicit-def: $vgpr29_vgpr30
                                        ; implicit-def: $sgpr3
                                        ; implicit-def: $vgpr23
	s_branch .LBB275_7
.LBB275_10:                             ;   Parent Loop BB275_8 Depth=1
                                        ; =>  This Inner Loop Header: Depth=2
	v_add_u32_e32 v18, s3, v35
	v_lshlrev_b64 v[12:13], 4, v[18:19]
	v_mov_b32_e32 v24, v19
	v_add_co_u32_e32 v16, vcc, s12, v12
	v_addc_co_u32_e32 v17, vcc, v37, v13, vcc
	v_lshlrev_b64 v[12:13], 4, v[23:24]
	v_add_u32_e32 v24, s3, v34
	v_add_co_u32_e32 v20, vcc, s14, v12
	v_addc_co_u32_e32 v21, vcc, v38, v13, vcc
	global_load_dwordx4 v[12:15], v[20:21], off
	global_load_dwordx4 v[39:42], v[16:17], off
	global_load_dwordx4 v[43:46], v[16:17], off offset:16
	v_add_u32_e32 v18, 2, v24
	v_lshlrev_b64 v[20:21], 4, v[18:19]
	v_add_u32_e32 v18, 1, v23
	v_lshlrev_b64 v[47:48], 4, v[18:19]
	v_add_co_u32_e32 v16, vcc, s12, v20
	v_addc_co_u32_e32 v17, vcc, v37, v21, vcc
	v_add_co_u32_e32 v20, vcc, s14, v47
	v_addc_co_u32_e32 v21, vcc, v38, v48, vcc
	v_add_u32_e32 v18, 4, v24
	s_cmp_eq_u32 s3, 16
	s_waitcnt vmcnt(1)
	v_fma_f64 v[49:50], v[39:40], v[12:13], v[31:32]
	v_fma_f64 v[51:52], v[41:42], v[12:13], v[29:30]
	global_load_dwordx4 v[29:32], v[16:17], off
	v_fma_f64 v[47:48], -v[41:42], v[14:15], v[49:50]
	v_fma_f64 v[49:50], v[39:40], v[14:15], v[51:52]
	global_load_dwordx4 v[39:42], v[20:21], off
	s_waitcnt vmcnt(2)
	v_fma_f64 v[20:21], v[43:44], v[12:13], v[25:26]
	v_fma_f64 v[12:13], v[45:46], v[12:13], v[27:28]
	v_lshlrev_b64 v[25:26], 4, v[18:19]
	v_add_u32_e32 v18, 2, v23
	v_lshlrev_b64 v[27:28], 4, v[18:19]
	v_fma_f64 v[20:21], -v[45:46], v[14:15], v[20:21]
	v_fma_f64 v[51:52], v[43:44], v[14:15], v[12:13]
	global_load_dwordx4 v[12:15], v[16:17], off offset:16
	v_add_co_u32_e32 v16, vcc, s12, v25
	v_addc_co_u32_e32 v17, vcc, v37, v26, vcc
	s_waitcnt vmcnt(1)
	v_fma_f64 v[43:44], v[29:30], v[39:40], v[47:48]
	v_fma_f64 v[45:46], v[31:32], v[39:40], v[49:50]
	v_add_co_u32_e32 v47, vcc, s14, v27
	v_addc_co_u32_e32 v48, vcc, v38, v28, vcc
	global_load_dwordx4 v[25:28], v[16:17], off
	v_fma_f64 v[49:50], -v[31:32], v[41:42], v[43:44]
	v_fma_f64 v[53:54], v[29:30], v[41:42], v[45:46]
	global_load_dwordx4 v[29:32], v[47:48], off
	global_load_dwordx4 v[43:46], v[16:17], off offset:16
	s_waitcnt vmcnt(3)
	v_fma_f64 v[16:17], v[12:13], v[39:40], v[20:21]
	v_fma_f64 v[20:21], v[14:15], v[39:40], v[51:52]
	v_fma_f64 v[14:15], -v[14:15], v[41:42], v[16:17]
	v_fma_f64 v[12:13], v[12:13], v[41:42], v[20:21]
	s_waitcnt vmcnt(1)
	v_fma_f64 v[16:17], v[25:26], v[29:30], v[49:50]
	v_fma_f64 v[39:40], v[27:28], v[29:30], v[53:54]
	s_waitcnt vmcnt(0)
	v_fma_f64 v[14:15], v[43:44], v[29:30], v[14:15]
	v_fma_f64 v[29:30], v[45:46], v[29:30], v[12:13]
	v_fma_f64 v[20:21], -v[27:28], v[31:32], v[16:17]
	v_fma_f64 v[12:13], v[25:26], v[31:32], v[39:40]
	v_fma_f64 v[14:15], -v[45:46], v[31:32], v[14:15]
	v_fma_f64 v[16:17], v[43:44], v[31:32], v[29:30]
	s_cbranch_scc1 .LBB275_9
; %bb.11:                               ;   in Loop: Header=BB275_10 Depth=2
	v_add_u32_e32 v18, 6, v24
	v_lshlrev_b64 v[24:25], 4, v[18:19]
	v_mov_b32_e32 v18, s13
	v_add_co_u32_e32 v43, vcc, s12, v24
	v_addc_co_u32_e32 v44, vcc, v18, v25, vcc
	v_add_u32_e32 v18, 3, v23
	v_lshlrev_b64 v[24:25], 4, v[18:19]
	v_mov_b32_e32 v18, s15
	v_add_co_u32_e32 v45, vcc, s14, v24
	v_addc_co_u32_e32 v46, vcc, v18, v25, vcc
	global_load_dwordx4 v[25:28], v[45:46], off
	global_load_dwordx4 v[29:32], v[43:44], off
	global_load_dwordx4 v[39:42], v[43:44], off offset:16
	s_add_i32 s3, s3, 8
	v_add_u32_e32 v23, 4, v23
	s_waitcnt vmcnt(1)
	v_fma_f64 v[43:44], v[29:30], v[25:26], v[20:21]
	v_fma_f64 v[45:46], v[31:32], v[25:26], v[12:13]
	s_waitcnt vmcnt(0)
	v_fma_f64 v[47:48], v[39:40], v[25:26], v[14:15]
	v_fma_f64 v[49:50], v[41:42], v[25:26], v[16:17]
	v_fma_f64 v[31:32], -v[31:32], v[27:28], v[43:44]
	v_fma_f64 v[29:30], v[29:30], v[27:28], v[45:46]
	v_fma_f64 v[25:26], -v[41:42], v[27:28], v[47:48]
	v_fma_f64 v[27:28], v[39:40], v[27:28], v[49:50]
	s_cbranch_execnz .LBB275_10
	s_branch .LBB275_7
.LBB275_12:
                                        ; implicit-def: $vgpr12_vgpr13
                                        ; implicit-def: $vgpr20_vgpr21
                                        ; implicit-def: $vgpr14_vgpr15
                                        ; implicit-def: $vgpr16_vgpr17
	s_branch .LBB275_15
.LBB275_13:
	s_or_b64 exec, exec, s[8:9]
.LBB275_14:
	s_or_b64 exec, exec, s[6:7]
	s_cbranch_execnz .LBB275_24
.LBB275_15:
	v_mov_b32_e32 v12, 0
	v_mov_b32_e32 v20, 0
	;; [unrolled: 1-line block ×8, first 2 shown]
	s_and_saveexec_b64 s[6:7], s[0:1]
	s_cbranch_execz .LBB275_23
; %bb.16:
	v_mul_lo_u32 v11, v11, 22
	v_mul_lo_u32 v30, v10, 22
	s_mul_i32 s0, s2, 22
	v_mov_b32_e32 v12, 0
	v_mad_u32_u24 v11, v0, 22, v11
	v_mov_b32_e32 v20, 0
	v_mov_b32_e32 v14, 0
	;; [unrolled: 1-line block ×4, first 2 shown]
	v_subrev_u32_e32 v31, s0, v11
	s_mov_b64 s[0:1], 0
	v_mov_b32_e32 v32, s11
	v_mov_b32_e32 v19, 0
	;; [unrolled: 1-line block ×7, first 2 shown]
	s_branch .LBB275_18
.LBB275_17:                             ;   in Loop: Header=BB275_18 Depth=1
	v_add_u32_e32 v10, 16, v10
	v_cmp_ge_i32_e32 vcc, v10, v33
	v_add_u32_e32 v30, 0x160, v30
	s_or_b64 s[0:1], vcc, s[0:1]
	v_add_u32_e32 v31, 0x160, v31
	s_andn2_b64 exec, exec, s[0:1]
	s_cbranch_execz .LBB275_22
.LBB275_18:                             ; =>This Loop Header: Depth=1
                                        ;     Child Loop BB275_20 Depth 2
	v_ashrrev_i32_e32 v11, 31, v10
	v_lshlrev_b64 v[22:23], 2, v[10:11]
	v_mov_b32_e32 v27, v13
	v_add_co_u32_e32 v22, vcc, s10, v22
	v_addc_co_u32_e32 v23, vcc, v32, v23, vcc
	global_load_dword v11, v[22:23], off
	v_mov_b32_e32 v29, v21
	v_mov_b32_e32 v23, v15
	;; [unrolled: 1-line block ×3, first 2 shown]
	s_mov_b32 s3, 0
	v_mov_b32_e32 v26, v12
	v_mov_b32_e32 v28, v20
	;; [unrolled: 1-line block ×4, first 2 shown]
	s_waitcnt vmcnt(0)
	v_subrev_u32_e32 v11, s2, v11
	v_mul_lo_u32 v11, v11, 11
	s_branch .LBB275_20
.LBB275_19:                             ;   in Loop: Header=BB275_20 Depth=2
	s_andn2_b64 vcc, exec, s[8:9]
	s_cbranch_vccz .LBB275_17
.LBB275_20:                             ;   Parent Loop BB275_18 Depth=1
                                        ; =>  This Inner Loop Header: Depth=2
	v_add_u32_e32 v18, s3, v31
	v_lshlrev_b64 v[12:13], 4, v[18:19]
	v_add_u32_e32 v18, s3, v11
	v_add_co_u32_e32 v16, vcc, s12, v12
	v_lshlrev_b64 v[20:21], 4, v[18:19]
	v_addc_co_u32_e32 v17, vcc, v34, v13, vcc
	v_add_co_u32_e32 v20, vcc, s14, v20
	v_addc_co_u32_e32 v21, vcc, v35, v21, vcc
	global_load_dwordx4 v[12:15], v[16:17], off
	global_load_dwordx4 v[37:40], v[20:21], off
	v_add_u32_e32 v36, s3, v30
	v_mov_b32_e32 v21, v19
	v_add_u32_e32 v20, 11, v36
	v_lshlrev_b64 v[20:21], 4, v[20:21]
	s_cmp_eq_u32 s3, 8
	v_add_co_u32_e32 v20, vcc, s12, v20
	v_addc_co_u32_e32 v21, vcc, v34, v21, vcc
	global_load_dwordx4 v[41:44], v[20:21], off
	s_mov_b64 s[8:9], -1
	s_waitcnt vmcnt(1)
	v_fma_f64 v[20:21], v[12:13], v[37:38], v[28:29]
	v_fma_f64 v[45:46], v[14:15], v[37:38], v[26:27]
	global_load_dwordx4 v[26:29], v[16:17], off offset:16
	v_fma_f64 v[16:17], -v[14:15], v[39:40], v[20:21]
	v_fma_f64 v[45:46], v[12:13], v[39:40], v[45:46]
	v_mov_b32_e32 v13, v19
	v_add_u32_e32 v12, 1, v18
	s_waitcnt vmcnt(1)
	v_fma_f64 v[20:21], v[41:42], v[37:38], v[22:23]
	v_lshlrev_b64 v[12:13], 4, v[12:13]
	v_fma_f64 v[22:23], v[43:44], v[37:38], v[24:25]
	v_add_co_u32_e32 v12, vcc, s14, v12
	v_addc_co_u32_e32 v13, vcc, v35, v13, vcc
	global_load_dwordx4 v[12:15], v[12:13], off
	v_fma_f64 v[24:25], -v[43:44], v[39:40], v[20:21]
	v_mov_b32_e32 v21, v19
	v_add_u32_e32 v20, 12, v36
	v_lshlrev_b64 v[20:21], 4, v[20:21]
	v_fma_f64 v[37:38], v[41:42], v[39:40], v[22:23]
	v_add_co_u32_e32 v41, vcc, s12, v20
	v_addc_co_u32_e32 v42, vcc, v34, v21, vcc
	global_load_dwordx4 v[20:23], v[41:42], off
	v_mov_b32_e32 v44, v19
	v_add_u32_e32 v43, 2, v36
	s_waitcnt vmcnt(1)
	v_fma_f64 v[39:40], v[28:29], v[12:13], v[45:46]
	v_fma_f64 v[16:17], v[26:27], v[12:13], v[16:17]
	;; [unrolled: 1-line block ×3, first 2 shown]
	v_lshlrev_b64 v[26:27], 4, v[43:44]
	s_waitcnt vmcnt(0)
	v_fma_f64 v[39:40], v[20:21], v[12:13], v[24:25]
	v_fma_f64 v[12:13], v[22:23], v[12:13], v[37:38]
	v_fma_f64 v[28:29], -v[28:29], v[14:15], v[16:17]
	v_mov_b32_e32 v17, v19
	v_add_u32_e32 v16, 2, v18
	v_lshlrev_b64 v[16:17], 4, v[16:17]
	v_add_co_u32_e32 v24, vcc, s12, v26
	v_addc_co_u32_e32 v25, vcc, v34, v27, vcc
	v_add_co_u32_e32 v43, vcc, s14, v16
	v_addc_co_u32_e32 v44, vcc, v35, v17, vcc
	global_load_dwordx4 v[24:27], v[24:25], off
	v_fma_f64 v[22:23], -v[22:23], v[14:15], v[39:40]
	v_fma_f64 v[12:13], v[20:21], v[14:15], v[12:13]
	global_load_dwordx4 v[14:17], v[43:44], off
	global_load_dwordx4 v[37:40], v[41:42], off offset:16
	s_waitcnt vmcnt(1)
	v_fma_f64 v[20:21], v[24:25], v[14:15], v[28:29]
	v_fma_f64 v[28:29], v[26:27], v[14:15], v[45:46]
	s_waitcnt vmcnt(0)
	v_fma_f64 v[22:23], v[37:38], v[14:15], v[22:23]
	v_fma_f64 v[41:42], v[39:40], v[14:15], v[12:13]
	v_fma_f64 v[20:21], -v[26:27], v[16:17], v[20:21]
	v_fma_f64 v[12:13], v[24:25], v[16:17], v[28:29]
	v_fma_f64 v[14:15], -v[39:40], v[16:17], v[22:23]
	v_fma_f64 v[16:17], v[37:38], v[16:17], v[41:42]
                                        ; implicit-def: $vgpr24_vgpr25
                                        ; implicit-def: $vgpr22_vgpr23
                                        ; implicit-def: $vgpr28_vgpr29
                                        ; implicit-def: $vgpr26_vgpr27
	s_cbranch_scc1 .LBB275_19
; %bb.21:                               ;   in Loop: Header=BB275_20 Depth=2
	v_add_u32_e32 v22, 3, v36
	v_mov_b32_e32 v23, v19
	v_lshlrev_b64 v[22:23], 4, v[22:23]
	v_add_u32_e32 v18, 3, v18
	v_mov_b32_e32 v28, s13
	v_add_co_u32_e32 v22, vcc, s12, v22
	v_lshlrev_b64 v[26:27], 4, v[18:19]
	v_addc_co_u32_e32 v23, vcc, v28, v23, vcc
	v_mov_b32_e32 v18, s15
	v_add_co_u32_e32 v26, vcc, s14, v26
	v_addc_co_u32_e32 v27, vcc, v18, v27, vcc
	v_add_u32_e32 v18, 14, v36
	global_load_dwordx4 v[37:40], v[26:27], off
	v_lshlrev_b64 v[26:27], 4, v[18:19]
	global_load_dwordx4 v[22:25], v[22:23], off
	v_add_co_u32_e32 v26, vcc, s12, v26
	v_addc_co_u32_e32 v27, vcc, v28, v27, vcc
	global_load_dwordx4 v[41:44], v[26:27], off
	s_add_i32 s3, s3, 4
	s_mov_b64 s[8:9], 0
	s_waitcnt vmcnt(1)
	v_fma_f64 v[26:27], v[22:23], v[37:38], v[20:21]
	v_fma_f64 v[45:46], v[24:25], v[37:38], v[12:13]
	s_waitcnt vmcnt(0)
	v_fma_f64 v[47:48], v[41:42], v[37:38], v[14:15]
	v_fma_f64 v[36:37], v[43:44], v[37:38], v[16:17]
	v_fma_f64 v[28:29], -v[24:25], v[39:40], v[26:27]
	v_fma_f64 v[26:27], v[22:23], v[39:40], v[45:46]
	v_fma_f64 v[22:23], -v[43:44], v[39:40], v[47:48]
	v_fma_f64 v[24:25], v[41:42], v[39:40], v[36:37]
	s_branch .LBB275_19
.LBB275_22:
	s_or_b64 exec, exec, s[0:1]
.LBB275_23:
	s_or_b64 exec, exec, s[6:7]
.LBB275_24:
	v_mov_b32_dpp v10, v20 row_shr:1 row_mask:0xf bank_mask:0xf
	v_mov_b32_dpp v11, v21 row_shr:1 row_mask:0xf bank_mask:0xf
	v_add_f64 v[10:11], v[20:21], v[10:11]
	v_mov_b32_dpp v18, v12 row_shr:1 row_mask:0xf bank_mask:0xf
	v_mov_b32_dpp v19, v13 row_shr:1 row_mask:0xf bank_mask:0xf
	;; [unrolled: 1-line block ×3, first 2 shown]
	v_add_f64 v[12:13], v[12:13], v[18:19]
	v_mov_b32_dpp v21, v15 row_shr:1 row_mask:0xf bank_mask:0xf
	v_add_f64 v[14:15], v[14:15], v[20:21]
	v_cmp_eq_u32_e32 vcc, 15, v0
	v_mov_b32_dpp v18, v10 row_shr:2 row_mask:0xf bank_mask:0xf
	v_mov_b32_dpp v19, v11 row_shr:2 row_mask:0xf bank_mask:0xf
	v_add_f64 v[10:11], v[10:11], v[18:19]
	v_mov_b32_dpp v18, v16 row_shr:1 row_mask:0xf bank_mask:0xf
	v_mov_b32_dpp v19, v17 row_shr:1 row_mask:0xf bank_mask:0xf
	v_add_f64 v[16:17], v[16:17], v[18:19]
	;; [unrolled: 3-line block ×4, first 2 shown]
	v_mov_b32_dpp v20, v10 row_shr:4 row_mask:0xf bank_mask:0xe
	v_mov_b32_dpp v18, v16 row_shr:2 row_mask:0xf bank_mask:0xf
	;; [unrolled: 1-line block ×3, first 2 shown]
	v_add_f64 v[16:17], v[16:17], v[18:19]
	v_mov_b32_dpp v18, v12 row_shr:4 row_mask:0xf bank_mask:0xe
	v_mov_b32_dpp v19, v13 row_shr:4 row_mask:0xf bank_mask:0xe
	v_add_f64 v[12:13], v[12:13], v[18:19]
	v_mov_b32_dpp v18, v14 row_shr:4 row_mask:0xf bank_mask:0xe
	v_mov_b32_dpp v19, v15 row_shr:4 row_mask:0xf bank_mask:0xe
	;; [unrolled: 1-line block ×3, first 2 shown]
	v_add_f64 v[18:19], v[14:15], v[18:19]
	v_mov_b32_dpp v14, v16 row_shr:4 row_mask:0xf bank_mask:0xe
	v_mov_b32_dpp v15, v17 row_shr:4 row_mask:0xf bank_mask:0xe
	v_add_f64 v[10:11], v[10:11], v[20:21]
	v_add_f64 v[14:15], v[16:17], v[14:15]
	v_mov_b32_dpp v16, v12 row_shr:8 row_mask:0xf bank_mask:0xc
	v_mov_b32_dpp v17, v13 row_shr:8 row_mask:0xf bank_mask:0xc
	;; [unrolled: 1-line block ×8, first 2 shown]
	s_and_b64 exec, exec, vcc
	s_cbranch_execz .LBB275_29
; %bb.25:
	v_cmp_eq_f64_e32 vcc, 0, v[5:6]
	v_cmp_eq_f64_e64 s[0:1], 0, v[7:8]
	v_add_f64 v[10:11], v[10:11], v[24:25]
	v_add_f64 v[16:17], v[12:13], v[16:17]
	;; [unrolled: 1-line block ×4, first 2 shown]
	s_load_dwordx2 s[2:3], s[4:5], 0x48
	s_and_b64 s[0:1], vcc, s[0:1]
	s_and_saveexec_b64 s[4:5], s[0:1]
	s_xor_b64 s[0:1], exec, s[4:5]
	s_cbranch_execz .LBB275_27
; %bb.26:
	v_mul_f64 v[5:6], v[16:17], -v[3:4]
	v_mul_f64 v[7:8], v[1:2], v[16:17]
	v_mul_f64 v[16:17], v[14:15], -v[3:4]
	v_mul_f64 v[14:15], v[1:2], v[14:15]
	v_lshlrev_b32_e32 v9, 1, v9
	s_waitcnt lgkmcnt(0)
	v_mov_b32_e32 v18, s3
	v_fma_f64 v[5:6], v[1:2], v[10:11], v[5:6]
	v_fma_f64 v[7:8], v[3:4], v[10:11], v[7:8]
	;; [unrolled: 1-line block ×4, first 2 shown]
	v_ashrrev_i32_e32 v10, 31, v9
	v_lshlrev_b64 v[9:10], 4, v[9:10]
                                        ; implicit-def: $vgpr16_vgpr17
                                        ; implicit-def: $vgpr12_vgpr13
                                        ; implicit-def: $vgpr14_vgpr15
	v_add_co_u32_e32 v9, vcc, s2, v9
	v_addc_co_u32_e32 v10, vcc, v18, v10, vcc
	global_store_dwordx4 v[9:10], v[5:8], off
	global_store_dwordx4 v[9:10], v[0:3], off offset:16
                                        ; implicit-def: $vgpr9
                                        ; implicit-def: $vgpr10_vgpr11
                                        ; implicit-def: $vgpr7_vgpr8
                                        ; implicit-def: $vgpr3_vgpr4
.LBB275_27:
	s_andn2_saveexec_b64 s[0:1], s[0:1]
	s_cbranch_execz .LBB275_29
; %bb.28:
	v_lshlrev_b32_e32 v18, 1, v9
	v_ashrrev_i32_e32 v19, 31, v18
	v_lshlrev_b64 v[18:19], 4, v[18:19]
	s_waitcnt lgkmcnt(0)
	v_mov_b32_e32 v0, s3
	v_add_co_u32_e32 v26, vcc, s2, v18
	v_addc_co_u32_e32 v27, vcc, v0, v19, vcc
	global_load_dwordx4 v[18:21], v[26:27], off
	global_load_dwordx4 v[22:25], v[26:27], off offset:16
	v_mul_f64 v[28:29], v[16:17], -v[3:4]
	v_mul_f64 v[16:17], v[1:2], v[16:17]
	v_mul_f64 v[30:31], v[14:15], -v[3:4]
	v_mul_f64 v[14:15], v[1:2], v[14:15]
	v_fma_f64 v[28:29], v[1:2], v[10:11], v[28:29]
	v_fma_f64 v[9:10], v[3:4], v[10:11], v[16:17]
	;; [unrolled: 1-line block ×4, first 2 shown]
	s_waitcnt vmcnt(1)
	v_fma_f64 v[11:12], v[5:6], v[18:19], v[28:29]
	v_fma_f64 v[9:10], v[7:8], v[18:19], v[9:10]
	s_waitcnt vmcnt(0)
	v_fma_f64 v[13:14], v[5:6], v[22:23], v[0:1]
	v_fma_f64 v[15:16], v[7:8], v[22:23], v[2:3]
	v_fma_f64 v[0:1], -v[7:8], v[20:21], v[11:12]
	v_fma_f64 v[2:3], v[5:6], v[20:21], v[9:10]
	v_fma_f64 v[7:8], -v[7:8], v[24:25], v[13:14]
	v_fma_f64 v[9:10], v[5:6], v[24:25], v[15:16]
	global_store_dwordx4 v[26:27], v[0:3], off
	global_store_dwordx4 v[26:27], v[7:10], off offset:16
.LBB275_29:
	s_endpgm
	.section	.rodata,"a",@progbits
	.p2align	6, 0x0
	.amdhsa_kernel _ZN9rocsparseL19gebsrmvn_2xn_kernelILj128ELj11ELj16E21rocsparse_complex_numIdEEEvi20rocsparse_direction_NS_24const_host_device_scalarIT2_EEPKiS8_PKS5_SA_S6_PS5_21rocsparse_index_base_b
		.amdhsa_group_segment_fixed_size 0
		.amdhsa_private_segment_fixed_size 0
		.amdhsa_kernarg_size 88
		.amdhsa_user_sgpr_count 6
		.amdhsa_user_sgpr_private_segment_buffer 1
		.amdhsa_user_sgpr_dispatch_ptr 0
		.amdhsa_user_sgpr_queue_ptr 0
		.amdhsa_user_sgpr_kernarg_segment_ptr 1
		.amdhsa_user_sgpr_dispatch_id 0
		.amdhsa_user_sgpr_flat_scratch_init 0
		.amdhsa_user_sgpr_private_segment_size 0
		.amdhsa_uses_dynamic_stack 0
		.amdhsa_system_sgpr_private_segment_wavefront_offset 0
		.amdhsa_system_sgpr_workgroup_id_x 1
		.amdhsa_system_sgpr_workgroup_id_y 0
		.amdhsa_system_sgpr_workgroup_id_z 0
		.amdhsa_system_sgpr_workgroup_info 0
		.amdhsa_system_vgpr_workitem_id 0
		.amdhsa_next_free_vgpr 55
		.amdhsa_next_free_sgpr 16
		.amdhsa_reserve_vcc 1
		.amdhsa_reserve_flat_scratch 0
		.amdhsa_float_round_mode_32 0
		.amdhsa_float_round_mode_16_64 0
		.amdhsa_float_denorm_mode_32 3
		.amdhsa_float_denorm_mode_16_64 3
		.amdhsa_dx10_clamp 1
		.amdhsa_ieee_mode 1
		.amdhsa_fp16_overflow 0
		.amdhsa_exception_fp_ieee_invalid_op 0
		.amdhsa_exception_fp_denorm_src 0
		.amdhsa_exception_fp_ieee_div_zero 0
		.amdhsa_exception_fp_ieee_overflow 0
		.amdhsa_exception_fp_ieee_underflow 0
		.amdhsa_exception_fp_ieee_inexact 0
		.amdhsa_exception_int_div_zero 0
	.end_amdhsa_kernel
	.section	.text._ZN9rocsparseL19gebsrmvn_2xn_kernelILj128ELj11ELj16E21rocsparse_complex_numIdEEEvi20rocsparse_direction_NS_24const_host_device_scalarIT2_EEPKiS8_PKS5_SA_S6_PS5_21rocsparse_index_base_b,"axG",@progbits,_ZN9rocsparseL19gebsrmvn_2xn_kernelILj128ELj11ELj16E21rocsparse_complex_numIdEEEvi20rocsparse_direction_NS_24const_host_device_scalarIT2_EEPKiS8_PKS5_SA_S6_PS5_21rocsparse_index_base_b,comdat
.Lfunc_end275:
	.size	_ZN9rocsparseL19gebsrmvn_2xn_kernelILj128ELj11ELj16E21rocsparse_complex_numIdEEEvi20rocsparse_direction_NS_24const_host_device_scalarIT2_EEPKiS8_PKS5_SA_S6_PS5_21rocsparse_index_base_b, .Lfunc_end275-_ZN9rocsparseL19gebsrmvn_2xn_kernelILj128ELj11ELj16E21rocsparse_complex_numIdEEEvi20rocsparse_direction_NS_24const_host_device_scalarIT2_EEPKiS8_PKS5_SA_S6_PS5_21rocsparse_index_base_b
                                        ; -- End function
	.set _ZN9rocsparseL19gebsrmvn_2xn_kernelILj128ELj11ELj16E21rocsparse_complex_numIdEEEvi20rocsparse_direction_NS_24const_host_device_scalarIT2_EEPKiS8_PKS5_SA_S6_PS5_21rocsparse_index_base_b.num_vgpr, 55
	.set _ZN9rocsparseL19gebsrmvn_2xn_kernelILj128ELj11ELj16E21rocsparse_complex_numIdEEEvi20rocsparse_direction_NS_24const_host_device_scalarIT2_EEPKiS8_PKS5_SA_S6_PS5_21rocsparse_index_base_b.num_agpr, 0
	.set _ZN9rocsparseL19gebsrmvn_2xn_kernelILj128ELj11ELj16E21rocsparse_complex_numIdEEEvi20rocsparse_direction_NS_24const_host_device_scalarIT2_EEPKiS8_PKS5_SA_S6_PS5_21rocsparse_index_base_b.numbered_sgpr, 16
	.set _ZN9rocsparseL19gebsrmvn_2xn_kernelILj128ELj11ELj16E21rocsparse_complex_numIdEEEvi20rocsparse_direction_NS_24const_host_device_scalarIT2_EEPKiS8_PKS5_SA_S6_PS5_21rocsparse_index_base_b.num_named_barrier, 0
	.set _ZN9rocsparseL19gebsrmvn_2xn_kernelILj128ELj11ELj16E21rocsparse_complex_numIdEEEvi20rocsparse_direction_NS_24const_host_device_scalarIT2_EEPKiS8_PKS5_SA_S6_PS5_21rocsparse_index_base_b.private_seg_size, 0
	.set _ZN9rocsparseL19gebsrmvn_2xn_kernelILj128ELj11ELj16E21rocsparse_complex_numIdEEEvi20rocsparse_direction_NS_24const_host_device_scalarIT2_EEPKiS8_PKS5_SA_S6_PS5_21rocsparse_index_base_b.uses_vcc, 1
	.set _ZN9rocsparseL19gebsrmvn_2xn_kernelILj128ELj11ELj16E21rocsparse_complex_numIdEEEvi20rocsparse_direction_NS_24const_host_device_scalarIT2_EEPKiS8_PKS5_SA_S6_PS5_21rocsparse_index_base_b.uses_flat_scratch, 0
	.set _ZN9rocsparseL19gebsrmvn_2xn_kernelILj128ELj11ELj16E21rocsparse_complex_numIdEEEvi20rocsparse_direction_NS_24const_host_device_scalarIT2_EEPKiS8_PKS5_SA_S6_PS5_21rocsparse_index_base_b.has_dyn_sized_stack, 0
	.set _ZN9rocsparseL19gebsrmvn_2xn_kernelILj128ELj11ELj16E21rocsparse_complex_numIdEEEvi20rocsparse_direction_NS_24const_host_device_scalarIT2_EEPKiS8_PKS5_SA_S6_PS5_21rocsparse_index_base_b.has_recursion, 0
	.set _ZN9rocsparseL19gebsrmvn_2xn_kernelILj128ELj11ELj16E21rocsparse_complex_numIdEEEvi20rocsparse_direction_NS_24const_host_device_scalarIT2_EEPKiS8_PKS5_SA_S6_PS5_21rocsparse_index_base_b.has_indirect_call, 0
	.section	.AMDGPU.csdata,"",@progbits
; Kernel info:
; codeLenInByte = 2792
; TotalNumSgprs: 20
; NumVgprs: 55
; ScratchSize: 0
; MemoryBound: 0
; FloatMode: 240
; IeeeMode: 1
; LDSByteSize: 0 bytes/workgroup (compile time only)
; SGPRBlocks: 2
; VGPRBlocks: 13
; NumSGPRsForWavesPerEU: 20
; NumVGPRsForWavesPerEU: 55
; Occupancy: 4
; WaveLimiterHint : 1
; COMPUTE_PGM_RSRC2:SCRATCH_EN: 0
; COMPUTE_PGM_RSRC2:USER_SGPR: 6
; COMPUTE_PGM_RSRC2:TRAP_HANDLER: 0
; COMPUTE_PGM_RSRC2:TGID_X_EN: 1
; COMPUTE_PGM_RSRC2:TGID_Y_EN: 0
; COMPUTE_PGM_RSRC2:TGID_Z_EN: 0
; COMPUTE_PGM_RSRC2:TIDIG_COMP_CNT: 0
	.section	.text._ZN9rocsparseL19gebsrmvn_2xn_kernelILj128ELj11ELj32E21rocsparse_complex_numIdEEEvi20rocsparse_direction_NS_24const_host_device_scalarIT2_EEPKiS8_PKS5_SA_S6_PS5_21rocsparse_index_base_b,"axG",@progbits,_ZN9rocsparseL19gebsrmvn_2xn_kernelILj128ELj11ELj32E21rocsparse_complex_numIdEEEvi20rocsparse_direction_NS_24const_host_device_scalarIT2_EEPKiS8_PKS5_SA_S6_PS5_21rocsparse_index_base_b,comdat
	.globl	_ZN9rocsparseL19gebsrmvn_2xn_kernelILj128ELj11ELj32E21rocsparse_complex_numIdEEEvi20rocsparse_direction_NS_24const_host_device_scalarIT2_EEPKiS8_PKS5_SA_S6_PS5_21rocsparse_index_base_b ; -- Begin function _ZN9rocsparseL19gebsrmvn_2xn_kernelILj128ELj11ELj32E21rocsparse_complex_numIdEEEvi20rocsparse_direction_NS_24const_host_device_scalarIT2_EEPKiS8_PKS5_SA_S6_PS5_21rocsparse_index_base_b
	.p2align	8
	.type	_ZN9rocsparseL19gebsrmvn_2xn_kernelILj128ELj11ELj32E21rocsparse_complex_numIdEEEvi20rocsparse_direction_NS_24const_host_device_scalarIT2_EEPKiS8_PKS5_SA_S6_PS5_21rocsparse_index_base_b,@function
_ZN9rocsparseL19gebsrmvn_2xn_kernelILj128ELj11ELj32E21rocsparse_complex_numIdEEEvi20rocsparse_direction_NS_24const_host_device_scalarIT2_EEPKiS8_PKS5_SA_S6_PS5_21rocsparse_index_base_b: ; @_ZN9rocsparseL19gebsrmvn_2xn_kernelILj128ELj11ELj32E21rocsparse_complex_numIdEEEvi20rocsparse_direction_NS_24const_host_device_scalarIT2_EEPKiS8_PKS5_SA_S6_PS5_21rocsparse_index_base_b
; %bb.0:
	s_load_dwordx2 s[0:1], s[4:5], 0x8
	s_load_dwordx2 s[8:9], s[4:5], 0x38
	;; [unrolled: 1-line block ×3, first 2 shown]
	s_add_u32 s7, s4, 8
	s_addc_u32 s10, s5, 0
	s_add_u32 s11, s4, 56
	s_addc_u32 s12, s5, 0
	s_waitcnt lgkmcnt(0)
	s_bitcmp1_b32 s3, 0
	s_cselect_b32 s1, s10, s1
	s_cselect_b32 s0, s7, s0
	v_mov_b32_e32 v1, s0
	v_mov_b32_e32 v2, s1
	flat_load_dwordx4 v[1:4], v[1:2]
	s_cselect_b32 s0, s12, s9
	s_cselect_b32 s1, s11, s8
	v_mov_b32_e32 v5, s1
	v_mov_b32_e32 v6, s0
	flat_load_dwordx4 v[5:8], v[5:6]
	s_waitcnt vmcnt(0) lgkmcnt(0)
	v_cmp_eq_f64_e32 vcc, 0, v[1:2]
	v_cmp_eq_f64_e64 s[0:1], 0, v[3:4]
	s_and_b64 s[10:11], vcc, s[0:1]
	s_mov_b64 s[0:1], -1
	s_and_saveexec_b64 s[8:9], s[10:11]
	s_cbranch_execz .LBB276_2
; %bb.1:
	v_cmp_neq_f64_e32 vcc, 1.0, v[5:6]
	v_cmp_neq_f64_e64 s[0:1], 0, v[7:8]
	s_or_b64 s[0:1], vcc, s[0:1]
	s_orn2_b64 s[0:1], s[0:1], exec
.LBB276_2:
	s_or_b64 exec, exec, s[8:9]
	s_and_saveexec_b64 s[8:9], s[0:1]
	s_cbranch_execz .LBB276_29
; %bb.3:
	s_load_dwordx2 s[0:1], s[4:5], 0x0
	v_lshrrev_b32_e32 v9, 5, v0
	v_lshl_or_b32 v9, s6, 2, v9
	s_waitcnt lgkmcnt(0)
	v_cmp_gt_i32_e32 vcc, s0, v9
	s_and_b64 exec, exec, vcc
	s_cbranch_execz .LBB276_29
; %bb.4:
	s_load_dwordx8 s[8:15], s[4:5], 0x18
	v_ashrrev_i32_e32 v10, 31, v9
	v_lshlrev_b64 v[10:11], 2, v[9:10]
	v_and_b32_e32 v0, 31, v0
	s_cmp_lg_u32 s1, 0
	s_waitcnt lgkmcnt(0)
	v_mov_b32_e32 v12, s9
	v_add_co_u32_e32 v10, vcc, s8, v10
	v_addc_co_u32_e32 v11, vcc, v12, v11, vcc
	global_load_dwordx2 v[11:12], v[10:11], off
	s_waitcnt vmcnt(0)
	v_subrev_u32_e32 v10, s2, v11
	v_subrev_u32_e32 v33, s2, v12
	v_add_u32_e32 v10, v10, v0
	v_cmp_lt_i32_e64 s[0:1], v10, v33
	s_cbranch_scc0 .LBB276_12
; %bb.5:
	v_mov_b32_e32 v12, 0
	v_mov_b32_e32 v20, 0
	;; [unrolled: 1-line block ×8, first 2 shown]
	s_and_saveexec_b64 s[6:7], s[0:1]
	s_cbranch_execz .LBB276_14
; %bb.6:
	v_mul_lo_u32 v14, v11, 22
	v_mul_lo_u32 v34, v10, 22
	s_mul_i32 s3, s2, 22
	v_mov_b32_e32 v12, 0
	v_mad_u32_u24 v14, v0, 22, v14
	v_subrev_u32_e32 v35, s3, v14
	v_mov_b32_e32 v20, 0
	v_mov_b32_e32 v14, 0
	;; [unrolled: 1-line block ×4, first 2 shown]
	s_mov_b64 s[8:9], 0
	v_mov_b32_e32 v36, s11
	v_mov_b32_e32 v19, 0
	;; [unrolled: 1-line block ×8, first 2 shown]
	s_branch .LBB276_8
.LBB276_7:                              ;   in Loop: Header=BB276_8 Depth=1
	v_add_u32_e32 v22, 32, v22
	v_cmp_ge_i32_e32 vcc, v22, v33
	v_add_u32_e32 v34, 0x2c0, v34
	s_or_b64 s[8:9], vcc, s[8:9]
	v_add_u32_e32 v35, 0x2c0, v35
	s_andn2_b64 exec, exec, s[8:9]
	s_cbranch_execz .LBB276_13
.LBB276_8:                              ; =>This Loop Header: Depth=1
                                        ;     Child Loop BB276_10 Depth 2
	v_ashrrev_i32_e32 v23, 31, v22
	v_lshlrev_b64 v[23:24], 2, v[22:23]
	v_mov_b32_e32 v30, v13
	v_add_co_u32_e32 v23, vcc, s10, v23
	v_addc_co_u32_e32 v24, vcc, v36, v24, vcc
	global_load_dword v18, v[23:24], off
	v_mov_b32_e32 v32, v21
	v_mov_b32_e32 v26, v15
	v_mov_b32_e32 v28, v17
	s_mov_b32 s3, 0
	v_mov_b32_e32 v29, v12
	v_mov_b32_e32 v31, v20
	;; [unrolled: 1-line block ×4, first 2 shown]
	s_waitcnt vmcnt(0)
	v_subrev_u32_e32 v18, s2, v18
	v_mul_lo_u32 v23, v18, 11
	s_branch .LBB276_10
.LBB276_9:                              ;   in Loop: Header=BB276_8 Depth=1
                                        ; implicit-def: $vgpr27_vgpr28
                                        ; implicit-def: $vgpr25_vgpr26
                                        ; implicit-def: $vgpr31_vgpr32
                                        ; implicit-def: $vgpr29_vgpr30
                                        ; implicit-def: $sgpr3
                                        ; implicit-def: $vgpr23
	s_branch .LBB276_7
.LBB276_10:                             ;   Parent Loop BB276_8 Depth=1
                                        ; =>  This Inner Loop Header: Depth=2
	v_add_u32_e32 v18, s3, v35
	v_lshlrev_b64 v[12:13], 4, v[18:19]
	v_mov_b32_e32 v24, v19
	v_add_co_u32_e32 v16, vcc, s12, v12
	v_addc_co_u32_e32 v17, vcc, v37, v13, vcc
	v_lshlrev_b64 v[12:13], 4, v[23:24]
	v_add_u32_e32 v24, s3, v34
	v_add_co_u32_e32 v20, vcc, s14, v12
	v_addc_co_u32_e32 v21, vcc, v38, v13, vcc
	global_load_dwordx4 v[12:15], v[20:21], off
	global_load_dwordx4 v[39:42], v[16:17], off
	global_load_dwordx4 v[43:46], v[16:17], off offset:16
	v_add_u32_e32 v18, 2, v24
	v_lshlrev_b64 v[20:21], 4, v[18:19]
	v_add_u32_e32 v18, 1, v23
	v_lshlrev_b64 v[47:48], 4, v[18:19]
	v_add_co_u32_e32 v16, vcc, s12, v20
	v_addc_co_u32_e32 v17, vcc, v37, v21, vcc
	v_add_co_u32_e32 v20, vcc, s14, v47
	v_addc_co_u32_e32 v21, vcc, v38, v48, vcc
	v_add_u32_e32 v18, 4, v24
	s_cmp_eq_u32 s3, 16
	s_waitcnt vmcnt(1)
	v_fma_f64 v[49:50], v[39:40], v[12:13], v[31:32]
	v_fma_f64 v[51:52], v[41:42], v[12:13], v[29:30]
	global_load_dwordx4 v[29:32], v[16:17], off
	v_fma_f64 v[47:48], -v[41:42], v[14:15], v[49:50]
	v_fma_f64 v[49:50], v[39:40], v[14:15], v[51:52]
	global_load_dwordx4 v[39:42], v[20:21], off
	s_waitcnt vmcnt(2)
	v_fma_f64 v[20:21], v[43:44], v[12:13], v[25:26]
	v_fma_f64 v[12:13], v[45:46], v[12:13], v[27:28]
	v_lshlrev_b64 v[25:26], 4, v[18:19]
	v_add_u32_e32 v18, 2, v23
	v_lshlrev_b64 v[27:28], 4, v[18:19]
	v_fma_f64 v[20:21], -v[45:46], v[14:15], v[20:21]
	v_fma_f64 v[51:52], v[43:44], v[14:15], v[12:13]
	global_load_dwordx4 v[12:15], v[16:17], off offset:16
	v_add_co_u32_e32 v16, vcc, s12, v25
	v_addc_co_u32_e32 v17, vcc, v37, v26, vcc
	s_waitcnt vmcnt(1)
	v_fma_f64 v[43:44], v[29:30], v[39:40], v[47:48]
	v_fma_f64 v[45:46], v[31:32], v[39:40], v[49:50]
	v_add_co_u32_e32 v47, vcc, s14, v27
	v_addc_co_u32_e32 v48, vcc, v38, v28, vcc
	global_load_dwordx4 v[25:28], v[16:17], off
	v_fma_f64 v[49:50], -v[31:32], v[41:42], v[43:44]
	v_fma_f64 v[53:54], v[29:30], v[41:42], v[45:46]
	global_load_dwordx4 v[29:32], v[47:48], off
	global_load_dwordx4 v[43:46], v[16:17], off offset:16
	s_waitcnt vmcnt(3)
	v_fma_f64 v[16:17], v[12:13], v[39:40], v[20:21]
	v_fma_f64 v[20:21], v[14:15], v[39:40], v[51:52]
	v_fma_f64 v[14:15], -v[14:15], v[41:42], v[16:17]
	v_fma_f64 v[12:13], v[12:13], v[41:42], v[20:21]
	s_waitcnt vmcnt(1)
	v_fma_f64 v[16:17], v[25:26], v[29:30], v[49:50]
	v_fma_f64 v[39:40], v[27:28], v[29:30], v[53:54]
	s_waitcnt vmcnt(0)
	v_fma_f64 v[14:15], v[43:44], v[29:30], v[14:15]
	v_fma_f64 v[29:30], v[45:46], v[29:30], v[12:13]
	v_fma_f64 v[20:21], -v[27:28], v[31:32], v[16:17]
	v_fma_f64 v[12:13], v[25:26], v[31:32], v[39:40]
	v_fma_f64 v[14:15], -v[45:46], v[31:32], v[14:15]
	v_fma_f64 v[16:17], v[43:44], v[31:32], v[29:30]
	s_cbranch_scc1 .LBB276_9
; %bb.11:                               ;   in Loop: Header=BB276_10 Depth=2
	v_add_u32_e32 v18, 6, v24
	v_lshlrev_b64 v[24:25], 4, v[18:19]
	v_mov_b32_e32 v18, s13
	v_add_co_u32_e32 v43, vcc, s12, v24
	v_addc_co_u32_e32 v44, vcc, v18, v25, vcc
	v_add_u32_e32 v18, 3, v23
	v_lshlrev_b64 v[24:25], 4, v[18:19]
	v_mov_b32_e32 v18, s15
	v_add_co_u32_e32 v45, vcc, s14, v24
	v_addc_co_u32_e32 v46, vcc, v18, v25, vcc
	global_load_dwordx4 v[25:28], v[45:46], off
	global_load_dwordx4 v[29:32], v[43:44], off
	global_load_dwordx4 v[39:42], v[43:44], off offset:16
	s_add_i32 s3, s3, 8
	v_add_u32_e32 v23, 4, v23
	s_waitcnt vmcnt(1)
	v_fma_f64 v[43:44], v[29:30], v[25:26], v[20:21]
	v_fma_f64 v[45:46], v[31:32], v[25:26], v[12:13]
	s_waitcnt vmcnt(0)
	v_fma_f64 v[47:48], v[39:40], v[25:26], v[14:15]
	v_fma_f64 v[49:50], v[41:42], v[25:26], v[16:17]
	v_fma_f64 v[31:32], -v[31:32], v[27:28], v[43:44]
	v_fma_f64 v[29:30], v[29:30], v[27:28], v[45:46]
	v_fma_f64 v[25:26], -v[41:42], v[27:28], v[47:48]
	v_fma_f64 v[27:28], v[39:40], v[27:28], v[49:50]
	s_cbranch_execnz .LBB276_10
	s_branch .LBB276_7
.LBB276_12:
                                        ; implicit-def: $vgpr12_vgpr13
                                        ; implicit-def: $vgpr20_vgpr21
                                        ; implicit-def: $vgpr14_vgpr15
                                        ; implicit-def: $vgpr16_vgpr17
	s_branch .LBB276_15
.LBB276_13:
	s_or_b64 exec, exec, s[8:9]
.LBB276_14:
	s_or_b64 exec, exec, s[6:7]
	s_cbranch_execnz .LBB276_24
.LBB276_15:
	v_mov_b32_e32 v12, 0
	v_mov_b32_e32 v20, 0
	;; [unrolled: 1-line block ×8, first 2 shown]
	s_and_saveexec_b64 s[6:7], s[0:1]
	s_cbranch_execz .LBB276_23
; %bb.16:
	v_mul_lo_u32 v11, v11, 22
	v_mul_lo_u32 v30, v10, 22
	s_mul_i32 s0, s2, 22
	v_mov_b32_e32 v12, 0
	v_mad_u32_u24 v11, v0, 22, v11
	v_mov_b32_e32 v20, 0
	v_mov_b32_e32 v14, 0
	;; [unrolled: 1-line block ×4, first 2 shown]
	v_subrev_u32_e32 v31, s0, v11
	s_mov_b64 s[0:1], 0
	v_mov_b32_e32 v32, s11
	v_mov_b32_e32 v19, 0
	;; [unrolled: 1-line block ×7, first 2 shown]
	s_branch .LBB276_18
.LBB276_17:                             ;   in Loop: Header=BB276_18 Depth=1
	v_add_u32_e32 v10, 32, v10
	v_cmp_ge_i32_e32 vcc, v10, v33
	v_add_u32_e32 v30, 0x2c0, v30
	s_or_b64 s[0:1], vcc, s[0:1]
	v_add_u32_e32 v31, 0x2c0, v31
	s_andn2_b64 exec, exec, s[0:1]
	s_cbranch_execz .LBB276_22
.LBB276_18:                             ; =>This Loop Header: Depth=1
                                        ;     Child Loop BB276_20 Depth 2
	v_ashrrev_i32_e32 v11, 31, v10
	v_lshlrev_b64 v[22:23], 2, v[10:11]
	v_mov_b32_e32 v27, v13
	v_add_co_u32_e32 v22, vcc, s10, v22
	v_addc_co_u32_e32 v23, vcc, v32, v23, vcc
	global_load_dword v11, v[22:23], off
	v_mov_b32_e32 v29, v21
	v_mov_b32_e32 v23, v15
	;; [unrolled: 1-line block ×3, first 2 shown]
	s_mov_b32 s3, 0
	v_mov_b32_e32 v26, v12
	v_mov_b32_e32 v28, v20
	;; [unrolled: 1-line block ×4, first 2 shown]
	s_waitcnt vmcnt(0)
	v_subrev_u32_e32 v11, s2, v11
	v_mul_lo_u32 v11, v11, 11
	s_branch .LBB276_20
.LBB276_19:                             ;   in Loop: Header=BB276_20 Depth=2
	s_andn2_b64 vcc, exec, s[8:9]
	s_cbranch_vccz .LBB276_17
.LBB276_20:                             ;   Parent Loop BB276_18 Depth=1
                                        ; =>  This Inner Loop Header: Depth=2
	v_add_u32_e32 v18, s3, v31
	v_lshlrev_b64 v[12:13], 4, v[18:19]
	v_add_u32_e32 v18, s3, v11
	v_add_co_u32_e32 v16, vcc, s12, v12
	v_lshlrev_b64 v[20:21], 4, v[18:19]
	v_addc_co_u32_e32 v17, vcc, v34, v13, vcc
	v_add_co_u32_e32 v20, vcc, s14, v20
	v_addc_co_u32_e32 v21, vcc, v35, v21, vcc
	global_load_dwordx4 v[12:15], v[16:17], off
	global_load_dwordx4 v[37:40], v[20:21], off
	v_add_u32_e32 v36, s3, v30
	v_mov_b32_e32 v21, v19
	v_add_u32_e32 v20, 11, v36
	v_lshlrev_b64 v[20:21], 4, v[20:21]
	s_cmp_eq_u32 s3, 8
	v_add_co_u32_e32 v20, vcc, s12, v20
	v_addc_co_u32_e32 v21, vcc, v34, v21, vcc
	global_load_dwordx4 v[41:44], v[20:21], off
	s_mov_b64 s[8:9], -1
	s_waitcnt vmcnt(1)
	v_fma_f64 v[20:21], v[12:13], v[37:38], v[28:29]
	v_fma_f64 v[45:46], v[14:15], v[37:38], v[26:27]
	global_load_dwordx4 v[26:29], v[16:17], off offset:16
	v_fma_f64 v[16:17], -v[14:15], v[39:40], v[20:21]
	v_fma_f64 v[45:46], v[12:13], v[39:40], v[45:46]
	v_mov_b32_e32 v13, v19
	v_add_u32_e32 v12, 1, v18
	s_waitcnt vmcnt(1)
	v_fma_f64 v[20:21], v[41:42], v[37:38], v[22:23]
	v_lshlrev_b64 v[12:13], 4, v[12:13]
	v_fma_f64 v[22:23], v[43:44], v[37:38], v[24:25]
	v_add_co_u32_e32 v12, vcc, s14, v12
	v_addc_co_u32_e32 v13, vcc, v35, v13, vcc
	global_load_dwordx4 v[12:15], v[12:13], off
	v_fma_f64 v[24:25], -v[43:44], v[39:40], v[20:21]
	v_mov_b32_e32 v21, v19
	v_add_u32_e32 v20, 12, v36
	v_lshlrev_b64 v[20:21], 4, v[20:21]
	v_fma_f64 v[37:38], v[41:42], v[39:40], v[22:23]
	v_add_co_u32_e32 v41, vcc, s12, v20
	v_addc_co_u32_e32 v42, vcc, v34, v21, vcc
	global_load_dwordx4 v[20:23], v[41:42], off
	v_mov_b32_e32 v44, v19
	v_add_u32_e32 v43, 2, v36
	s_waitcnt vmcnt(1)
	v_fma_f64 v[39:40], v[28:29], v[12:13], v[45:46]
	v_fma_f64 v[16:17], v[26:27], v[12:13], v[16:17]
	;; [unrolled: 1-line block ×3, first 2 shown]
	v_lshlrev_b64 v[26:27], 4, v[43:44]
	s_waitcnt vmcnt(0)
	v_fma_f64 v[39:40], v[20:21], v[12:13], v[24:25]
	v_fma_f64 v[12:13], v[22:23], v[12:13], v[37:38]
	v_fma_f64 v[28:29], -v[28:29], v[14:15], v[16:17]
	v_mov_b32_e32 v17, v19
	v_add_u32_e32 v16, 2, v18
	v_lshlrev_b64 v[16:17], 4, v[16:17]
	v_add_co_u32_e32 v24, vcc, s12, v26
	v_addc_co_u32_e32 v25, vcc, v34, v27, vcc
	v_add_co_u32_e32 v43, vcc, s14, v16
	v_addc_co_u32_e32 v44, vcc, v35, v17, vcc
	global_load_dwordx4 v[24:27], v[24:25], off
	v_fma_f64 v[22:23], -v[22:23], v[14:15], v[39:40]
	v_fma_f64 v[12:13], v[20:21], v[14:15], v[12:13]
	global_load_dwordx4 v[14:17], v[43:44], off
	global_load_dwordx4 v[37:40], v[41:42], off offset:16
	s_waitcnt vmcnt(1)
	v_fma_f64 v[20:21], v[24:25], v[14:15], v[28:29]
	v_fma_f64 v[28:29], v[26:27], v[14:15], v[45:46]
	s_waitcnt vmcnt(0)
	v_fma_f64 v[22:23], v[37:38], v[14:15], v[22:23]
	v_fma_f64 v[41:42], v[39:40], v[14:15], v[12:13]
	v_fma_f64 v[20:21], -v[26:27], v[16:17], v[20:21]
	v_fma_f64 v[12:13], v[24:25], v[16:17], v[28:29]
	v_fma_f64 v[14:15], -v[39:40], v[16:17], v[22:23]
	v_fma_f64 v[16:17], v[37:38], v[16:17], v[41:42]
                                        ; implicit-def: $vgpr24_vgpr25
                                        ; implicit-def: $vgpr22_vgpr23
                                        ; implicit-def: $vgpr28_vgpr29
                                        ; implicit-def: $vgpr26_vgpr27
	s_cbranch_scc1 .LBB276_19
; %bb.21:                               ;   in Loop: Header=BB276_20 Depth=2
	v_add_u32_e32 v22, 3, v36
	v_mov_b32_e32 v23, v19
	v_lshlrev_b64 v[22:23], 4, v[22:23]
	v_add_u32_e32 v18, 3, v18
	v_mov_b32_e32 v28, s13
	v_add_co_u32_e32 v22, vcc, s12, v22
	v_lshlrev_b64 v[26:27], 4, v[18:19]
	v_addc_co_u32_e32 v23, vcc, v28, v23, vcc
	v_mov_b32_e32 v18, s15
	v_add_co_u32_e32 v26, vcc, s14, v26
	v_addc_co_u32_e32 v27, vcc, v18, v27, vcc
	v_add_u32_e32 v18, 14, v36
	global_load_dwordx4 v[37:40], v[26:27], off
	v_lshlrev_b64 v[26:27], 4, v[18:19]
	global_load_dwordx4 v[22:25], v[22:23], off
	v_add_co_u32_e32 v26, vcc, s12, v26
	v_addc_co_u32_e32 v27, vcc, v28, v27, vcc
	global_load_dwordx4 v[41:44], v[26:27], off
	s_add_i32 s3, s3, 4
	s_mov_b64 s[8:9], 0
	s_waitcnt vmcnt(1)
	v_fma_f64 v[26:27], v[22:23], v[37:38], v[20:21]
	v_fma_f64 v[45:46], v[24:25], v[37:38], v[12:13]
	s_waitcnt vmcnt(0)
	v_fma_f64 v[47:48], v[41:42], v[37:38], v[14:15]
	v_fma_f64 v[36:37], v[43:44], v[37:38], v[16:17]
	v_fma_f64 v[28:29], -v[24:25], v[39:40], v[26:27]
	v_fma_f64 v[26:27], v[22:23], v[39:40], v[45:46]
	v_fma_f64 v[22:23], -v[43:44], v[39:40], v[47:48]
	v_fma_f64 v[24:25], v[41:42], v[39:40], v[36:37]
	s_branch .LBB276_19
.LBB276_22:
	s_or_b64 exec, exec, s[0:1]
.LBB276_23:
	s_or_b64 exec, exec, s[6:7]
.LBB276_24:
	v_mov_b32_dpp v10, v20 row_shr:1 row_mask:0xf bank_mask:0xf
	v_mov_b32_dpp v11, v21 row_shr:1 row_mask:0xf bank_mask:0xf
	v_add_f64 v[10:11], v[20:21], v[10:11]
	v_mov_b32_dpp v18, v12 row_shr:1 row_mask:0xf bank_mask:0xf
	v_mov_b32_dpp v19, v13 row_shr:1 row_mask:0xf bank_mask:0xf
	v_add_f64 v[12:13], v[12:13], v[18:19]
	;; [unrolled: 3-line block ×3, first 2 shown]
	v_cmp_eq_u32_e32 vcc, 31, v0
	v_mov_b32_dpp v18, v10 row_shr:2 row_mask:0xf bank_mask:0xf
	v_mov_b32_dpp v19, v11 row_shr:2 row_mask:0xf bank_mask:0xf
	v_add_f64 v[10:11], v[10:11], v[18:19]
	v_mov_b32_dpp v18, v16 row_shr:1 row_mask:0xf bank_mask:0xf
	v_mov_b32_dpp v19, v17 row_shr:1 row_mask:0xf bank_mask:0xf
	v_add_f64 v[16:17], v[16:17], v[18:19]
	;; [unrolled: 3-line block ×4, first 2 shown]
	v_mov_b32_dpp v20, v14 row_shr:2 row_mask:0xf bank_mask:0xf
	v_mov_b32_dpp v21, v15 row_shr:2 row_mask:0xf bank_mask:0xf
	;; [unrolled: 1-line block ×3, first 2 shown]
	v_add_f64 v[14:15], v[14:15], v[20:21]
	v_mov_b32_dpp v19, v17 row_shr:2 row_mask:0xf bank_mask:0xf
	v_add_f64 v[16:17], v[16:17], v[18:19]
	v_mov_b32_dpp v20, v12 row_shr:4 row_mask:0xf bank_mask:0xe
	v_mov_b32_dpp v21, v13 row_shr:4 row_mask:0xf bank_mask:0xe
	v_add_f64 v[12:13], v[12:13], v[20:21]
	v_mov_b32_dpp v18, v10 row_shr:8 row_mask:0xf bank_mask:0xc
	v_mov_b32_dpp v19, v11 row_shr:8 row_mask:0xf bank_mask:0xc
	;; [unrolled: 1-line block ×4, first 2 shown]
	v_add_f64 v[14:15], v[14:15], v[20:21]
	v_mov_b32_dpp v20, v16 row_shr:4 row_mask:0xf bank_mask:0xe
	v_mov_b32_dpp v21, v17 row_shr:4 row_mask:0xf bank_mask:0xe
	v_add_f64 v[16:17], v[16:17], v[20:21]
	v_add_f64 v[10:11], v[10:11], v[18:19]
	v_mov_b32_dpp v18, v12 row_shr:8 row_mask:0xf bank_mask:0xc
	v_mov_b32_dpp v19, v13 row_shr:8 row_mask:0xf bank_mask:0xc
	v_add_f64 v[12:13], v[12:13], v[18:19]
	v_mov_b32_dpp v18, v14 row_shr:8 row_mask:0xf bank_mask:0xc
	v_mov_b32_dpp v19, v15 row_shr:8 row_mask:0xf bank_mask:0xc
	v_add_f64 v[18:19], v[14:15], v[18:19]
	v_mov_b32_dpp v14, v16 row_shr:8 row_mask:0xf bank_mask:0xc
	v_mov_b32_dpp v15, v17 row_shr:8 row_mask:0xf bank_mask:0xc
	v_add_f64 v[14:15], v[16:17], v[14:15]
	v_mov_b32_dpp v24, v10 row_bcast:15 row_mask:0xa bank_mask:0xf
	v_mov_b32_dpp v25, v11 row_bcast:15 row_mask:0xa bank_mask:0xf
	v_mov_b32_dpp v16, v12 row_bcast:15 row_mask:0xa bank_mask:0xf
	v_mov_b32_dpp v17, v13 row_bcast:15 row_mask:0xa bank_mask:0xf
	v_mov_b32_dpp v22, v18 row_bcast:15 row_mask:0xa bank_mask:0xf
	v_mov_b32_dpp v23, v19 row_bcast:15 row_mask:0xa bank_mask:0xf
	v_mov_b32_dpp v20, v14 row_bcast:15 row_mask:0xa bank_mask:0xf
	v_mov_b32_dpp v21, v15 row_bcast:15 row_mask:0xa bank_mask:0xf
	s_and_b64 exec, exec, vcc
	s_cbranch_execz .LBB276_29
; %bb.25:
	v_cmp_eq_f64_e32 vcc, 0, v[5:6]
	v_cmp_eq_f64_e64 s[0:1], 0, v[7:8]
	v_add_f64 v[10:11], v[10:11], v[24:25]
	v_add_f64 v[16:17], v[12:13], v[16:17]
	;; [unrolled: 1-line block ×4, first 2 shown]
	s_load_dwordx2 s[2:3], s[4:5], 0x48
	s_and_b64 s[0:1], vcc, s[0:1]
	s_and_saveexec_b64 s[4:5], s[0:1]
	s_xor_b64 s[0:1], exec, s[4:5]
	s_cbranch_execz .LBB276_27
; %bb.26:
	v_mul_f64 v[5:6], v[16:17], -v[3:4]
	v_mul_f64 v[7:8], v[1:2], v[16:17]
	v_mul_f64 v[16:17], v[14:15], -v[3:4]
	v_mul_f64 v[14:15], v[1:2], v[14:15]
	v_lshlrev_b32_e32 v9, 1, v9
	s_waitcnt lgkmcnt(0)
	v_mov_b32_e32 v18, s3
	v_fma_f64 v[5:6], v[1:2], v[10:11], v[5:6]
	v_fma_f64 v[7:8], v[3:4], v[10:11], v[7:8]
	v_fma_f64 v[0:1], v[1:2], v[12:13], v[16:17]
	v_fma_f64 v[2:3], v[3:4], v[12:13], v[14:15]
	v_ashrrev_i32_e32 v10, 31, v9
	v_lshlrev_b64 v[9:10], 4, v[9:10]
                                        ; implicit-def: $vgpr16_vgpr17
                                        ; implicit-def: $vgpr12_vgpr13
                                        ; implicit-def: $vgpr14_vgpr15
	v_add_co_u32_e32 v9, vcc, s2, v9
	v_addc_co_u32_e32 v10, vcc, v18, v10, vcc
	global_store_dwordx4 v[9:10], v[5:8], off
	global_store_dwordx4 v[9:10], v[0:3], off offset:16
                                        ; implicit-def: $vgpr9
                                        ; implicit-def: $vgpr10_vgpr11
                                        ; implicit-def: $vgpr7_vgpr8
                                        ; implicit-def: $vgpr3_vgpr4
.LBB276_27:
	s_andn2_saveexec_b64 s[0:1], s[0:1]
	s_cbranch_execz .LBB276_29
; %bb.28:
	v_lshlrev_b32_e32 v18, 1, v9
	v_ashrrev_i32_e32 v19, 31, v18
	v_lshlrev_b64 v[18:19], 4, v[18:19]
	s_waitcnt lgkmcnt(0)
	v_mov_b32_e32 v0, s3
	v_add_co_u32_e32 v26, vcc, s2, v18
	v_addc_co_u32_e32 v27, vcc, v0, v19, vcc
	global_load_dwordx4 v[18:21], v[26:27], off
	global_load_dwordx4 v[22:25], v[26:27], off offset:16
	v_mul_f64 v[28:29], v[16:17], -v[3:4]
	v_mul_f64 v[16:17], v[1:2], v[16:17]
	v_mul_f64 v[30:31], v[14:15], -v[3:4]
	v_mul_f64 v[14:15], v[1:2], v[14:15]
	v_fma_f64 v[28:29], v[1:2], v[10:11], v[28:29]
	v_fma_f64 v[9:10], v[3:4], v[10:11], v[16:17]
	;; [unrolled: 1-line block ×4, first 2 shown]
	s_waitcnt vmcnt(1)
	v_fma_f64 v[11:12], v[5:6], v[18:19], v[28:29]
	v_fma_f64 v[9:10], v[7:8], v[18:19], v[9:10]
	s_waitcnt vmcnt(0)
	v_fma_f64 v[13:14], v[5:6], v[22:23], v[0:1]
	v_fma_f64 v[15:16], v[7:8], v[22:23], v[2:3]
	v_fma_f64 v[0:1], -v[7:8], v[20:21], v[11:12]
	v_fma_f64 v[2:3], v[5:6], v[20:21], v[9:10]
	v_fma_f64 v[7:8], -v[7:8], v[24:25], v[13:14]
	v_fma_f64 v[9:10], v[5:6], v[24:25], v[15:16]
	global_store_dwordx4 v[26:27], v[0:3], off
	global_store_dwordx4 v[26:27], v[7:10], off offset:16
.LBB276_29:
	s_endpgm
	.section	.rodata,"a",@progbits
	.p2align	6, 0x0
	.amdhsa_kernel _ZN9rocsparseL19gebsrmvn_2xn_kernelILj128ELj11ELj32E21rocsparse_complex_numIdEEEvi20rocsparse_direction_NS_24const_host_device_scalarIT2_EEPKiS8_PKS5_SA_S6_PS5_21rocsparse_index_base_b
		.amdhsa_group_segment_fixed_size 0
		.amdhsa_private_segment_fixed_size 0
		.amdhsa_kernarg_size 88
		.amdhsa_user_sgpr_count 6
		.amdhsa_user_sgpr_private_segment_buffer 1
		.amdhsa_user_sgpr_dispatch_ptr 0
		.amdhsa_user_sgpr_queue_ptr 0
		.amdhsa_user_sgpr_kernarg_segment_ptr 1
		.amdhsa_user_sgpr_dispatch_id 0
		.amdhsa_user_sgpr_flat_scratch_init 0
		.amdhsa_user_sgpr_private_segment_size 0
		.amdhsa_uses_dynamic_stack 0
		.amdhsa_system_sgpr_private_segment_wavefront_offset 0
		.amdhsa_system_sgpr_workgroup_id_x 1
		.amdhsa_system_sgpr_workgroup_id_y 0
		.amdhsa_system_sgpr_workgroup_id_z 0
		.amdhsa_system_sgpr_workgroup_info 0
		.amdhsa_system_vgpr_workitem_id 0
		.amdhsa_next_free_vgpr 55
		.amdhsa_next_free_sgpr 16
		.amdhsa_reserve_vcc 1
		.amdhsa_reserve_flat_scratch 0
		.amdhsa_float_round_mode_32 0
		.amdhsa_float_round_mode_16_64 0
		.amdhsa_float_denorm_mode_32 3
		.amdhsa_float_denorm_mode_16_64 3
		.amdhsa_dx10_clamp 1
		.amdhsa_ieee_mode 1
		.amdhsa_fp16_overflow 0
		.amdhsa_exception_fp_ieee_invalid_op 0
		.amdhsa_exception_fp_denorm_src 0
		.amdhsa_exception_fp_ieee_div_zero 0
		.amdhsa_exception_fp_ieee_overflow 0
		.amdhsa_exception_fp_ieee_underflow 0
		.amdhsa_exception_fp_ieee_inexact 0
		.amdhsa_exception_int_div_zero 0
	.end_amdhsa_kernel
	.section	.text._ZN9rocsparseL19gebsrmvn_2xn_kernelILj128ELj11ELj32E21rocsparse_complex_numIdEEEvi20rocsparse_direction_NS_24const_host_device_scalarIT2_EEPKiS8_PKS5_SA_S6_PS5_21rocsparse_index_base_b,"axG",@progbits,_ZN9rocsparseL19gebsrmvn_2xn_kernelILj128ELj11ELj32E21rocsparse_complex_numIdEEEvi20rocsparse_direction_NS_24const_host_device_scalarIT2_EEPKiS8_PKS5_SA_S6_PS5_21rocsparse_index_base_b,comdat
.Lfunc_end276:
	.size	_ZN9rocsparseL19gebsrmvn_2xn_kernelILj128ELj11ELj32E21rocsparse_complex_numIdEEEvi20rocsparse_direction_NS_24const_host_device_scalarIT2_EEPKiS8_PKS5_SA_S6_PS5_21rocsparse_index_base_b, .Lfunc_end276-_ZN9rocsparseL19gebsrmvn_2xn_kernelILj128ELj11ELj32E21rocsparse_complex_numIdEEEvi20rocsparse_direction_NS_24const_host_device_scalarIT2_EEPKiS8_PKS5_SA_S6_PS5_21rocsparse_index_base_b
                                        ; -- End function
	.set _ZN9rocsparseL19gebsrmvn_2xn_kernelILj128ELj11ELj32E21rocsparse_complex_numIdEEEvi20rocsparse_direction_NS_24const_host_device_scalarIT2_EEPKiS8_PKS5_SA_S6_PS5_21rocsparse_index_base_b.num_vgpr, 55
	.set _ZN9rocsparseL19gebsrmvn_2xn_kernelILj128ELj11ELj32E21rocsparse_complex_numIdEEEvi20rocsparse_direction_NS_24const_host_device_scalarIT2_EEPKiS8_PKS5_SA_S6_PS5_21rocsparse_index_base_b.num_agpr, 0
	.set _ZN9rocsparseL19gebsrmvn_2xn_kernelILj128ELj11ELj32E21rocsparse_complex_numIdEEEvi20rocsparse_direction_NS_24const_host_device_scalarIT2_EEPKiS8_PKS5_SA_S6_PS5_21rocsparse_index_base_b.numbered_sgpr, 16
	.set _ZN9rocsparseL19gebsrmvn_2xn_kernelILj128ELj11ELj32E21rocsparse_complex_numIdEEEvi20rocsparse_direction_NS_24const_host_device_scalarIT2_EEPKiS8_PKS5_SA_S6_PS5_21rocsparse_index_base_b.num_named_barrier, 0
	.set _ZN9rocsparseL19gebsrmvn_2xn_kernelILj128ELj11ELj32E21rocsparse_complex_numIdEEEvi20rocsparse_direction_NS_24const_host_device_scalarIT2_EEPKiS8_PKS5_SA_S6_PS5_21rocsparse_index_base_b.private_seg_size, 0
	.set _ZN9rocsparseL19gebsrmvn_2xn_kernelILj128ELj11ELj32E21rocsparse_complex_numIdEEEvi20rocsparse_direction_NS_24const_host_device_scalarIT2_EEPKiS8_PKS5_SA_S6_PS5_21rocsparse_index_base_b.uses_vcc, 1
	.set _ZN9rocsparseL19gebsrmvn_2xn_kernelILj128ELj11ELj32E21rocsparse_complex_numIdEEEvi20rocsparse_direction_NS_24const_host_device_scalarIT2_EEPKiS8_PKS5_SA_S6_PS5_21rocsparse_index_base_b.uses_flat_scratch, 0
	.set _ZN9rocsparseL19gebsrmvn_2xn_kernelILj128ELj11ELj32E21rocsparse_complex_numIdEEEvi20rocsparse_direction_NS_24const_host_device_scalarIT2_EEPKiS8_PKS5_SA_S6_PS5_21rocsparse_index_base_b.has_dyn_sized_stack, 0
	.set _ZN9rocsparseL19gebsrmvn_2xn_kernelILj128ELj11ELj32E21rocsparse_complex_numIdEEEvi20rocsparse_direction_NS_24const_host_device_scalarIT2_EEPKiS8_PKS5_SA_S6_PS5_21rocsparse_index_base_b.has_recursion, 0
	.set _ZN9rocsparseL19gebsrmvn_2xn_kernelILj128ELj11ELj32E21rocsparse_complex_numIdEEEvi20rocsparse_direction_NS_24const_host_device_scalarIT2_EEPKiS8_PKS5_SA_S6_PS5_21rocsparse_index_base_b.has_indirect_call, 0
	.section	.AMDGPU.csdata,"",@progbits
; Kernel info:
; codeLenInByte = 2888
; TotalNumSgprs: 20
; NumVgprs: 55
; ScratchSize: 0
; MemoryBound: 0
; FloatMode: 240
; IeeeMode: 1
; LDSByteSize: 0 bytes/workgroup (compile time only)
; SGPRBlocks: 2
; VGPRBlocks: 13
; NumSGPRsForWavesPerEU: 20
; NumVGPRsForWavesPerEU: 55
; Occupancy: 4
; WaveLimiterHint : 1
; COMPUTE_PGM_RSRC2:SCRATCH_EN: 0
; COMPUTE_PGM_RSRC2:USER_SGPR: 6
; COMPUTE_PGM_RSRC2:TRAP_HANDLER: 0
; COMPUTE_PGM_RSRC2:TGID_X_EN: 1
; COMPUTE_PGM_RSRC2:TGID_Y_EN: 0
; COMPUTE_PGM_RSRC2:TGID_Z_EN: 0
; COMPUTE_PGM_RSRC2:TIDIG_COMP_CNT: 0
	.section	.text._ZN9rocsparseL19gebsrmvn_2xn_kernelILj128ELj11ELj64E21rocsparse_complex_numIdEEEvi20rocsparse_direction_NS_24const_host_device_scalarIT2_EEPKiS8_PKS5_SA_S6_PS5_21rocsparse_index_base_b,"axG",@progbits,_ZN9rocsparseL19gebsrmvn_2xn_kernelILj128ELj11ELj64E21rocsparse_complex_numIdEEEvi20rocsparse_direction_NS_24const_host_device_scalarIT2_EEPKiS8_PKS5_SA_S6_PS5_21rocsparse_index_base_b,comdat
	.globl	_ZN9rocsparseL19gebsrmvn_2xn_kernelILj128ELj11ELj64E21rocsparse_complex_numIdEEEvi20rocsparse_direction_NS_24const_host_device_scalarIT2_EEPKiS8_PKS5_SA_S6_PS5_21rocsparse_index_base_b ; -- Begin function _ZN9rocsparseL19gebsrmvn_2xn_kernelILj128ELj11ELj64E21rocsparse_complex_numIdEEEvi20rocsparse_direction_NS_24const_host_device_scalarIT2_EEPKiS8_PKS5_SA_S6_PS5_21rocsparse_index_base_b
	.p2align	8
	.type	_ZN9rocsparseL19gebsrmvn_2xn_kernelILj128ELj11ELj64E21rocsparse_complex_numIdEEEvi20rocsparse_direction_NS_24const_host_device_scalarIT2_EEPKiS8_PKS5_SA_S6_PS5_21rocsparse_index_base_b,@function
_ZN9rocsparseL19gebsrmvn_2xn_kernelILj128ELj11ELj64E21rocsparse_complex_numIdEEEvi20rocsparse_direction_NS_24const_host_device_scalarIT2_EEPKiS8_PKS5_SA_S6_PS5_21rocsparse_index_base_b: ; @_ZN9rocsparseL19gebsrmvn_2xn_kernelILj128ELj11ELj64E21rocsparse_complex_numIdEEEvi20rocsparse_direction_NS_24const_host_device_scalarIT2_EEPKiS8_PKS5_SA_S6_PS5_21rocsparse_index_base_b
; %bb.0:
	s_load_dwordx2 s[0:1], s[4:5], 0x8
	s_load_dwordx2 s[8:9], s[4:5], 0x38
	;; [unrolled: 1-line block ×3, first 2 shown]
	s_add_u32 s7, s4, 8
	s_addc_u32 s10, s5, 0
	s_add_u32 s11, s4, 56
	s_addc_u32 s12, s5, 0
	s_waitcnt lgkmcnt(0)
	s_bitcmp1_b32 s3, 0
	s_cselect_b32 s1, s10, s1
	s_cselect_b32 s0, s7, s0
	v_mov_b32_e32 v1, s0
	v_mov_b32_e32 v2, s1
	flat_load_dwordx4 v[1:4], v[1:2]
	s_cselect_b32 s0, s12, s9
	s_cselect_b32 s1, s11, s8
	v_mov_b32_e32 v5, s1
	v_mov_b32_e32 v6, s0
	flat_load_dwordx4 v[5:8], v[5:6]
	s_waitcnt vmcnt(0) lgkmcnt(0)
	v_cmp_eq_f64_e32 vcc, 0, v[1:2]
	v_cmp_eq_f64_e64 s[0:1], 0, v[3:4]
	s_and_b64 s[10:11], vcc, s[0:1]
	s_mov_b64 s[0:1], -1
	s_and_saveexec_b64 s[8:9], s[10:11]
	s_cbranch_execz .LBB277_2
; %bb.1:
	v_cmp_neq_f64_e32 vcc, 1.0, v[5:6]
	v_cmp_neq_f64_e64 s[0:1], 0, v[7:8]
	s_or_b64 s[0:1], vcc, s[0:1]
	s_orn2_b64 s[0:1], s[0:1], exec
.LBB277_2:
	s_or_b64 exec, exec, s[8:9]
	s_and_saveexec_b64 s[8:9], s[0:1]
	s_cbranch_execz .LBB277_29
; %bb.3:
	s_load_dwordx2 s[0:1], s[4:5], 0x0
	v_lshrrev_b32_e32 v9, 6, v0
	v_lshl_or_b32 v9, s6, 1, v9
	s_waitcnt lgkmcnt(0)
	v_cmp_gt_i32_e32 vcc, s0, v9
	s_and_b64 exec, exec, vcc
	s_cbranch_execz .LBB277_29
; %bb.4:
	s_load_dwordx8 s[8:15], s[4:5], 0x18
	v_ashrrev_i32_e32 v10, 31, v9
	v_lshlrev_b64 v[10:11], 2, v[9:10]
	v_and_b32_e32 v0, 63, v0
	s_cmp_lg_u32 s1, 0
	s_waitcnt lgkmcnt(0)
	v_mov_b32_e32 v12, s9
	v_add_co_u32_e32 v10, vcc, s8, v10
	v_addc_co_u32_e32 v11, vcc, v12, v11, vcc
	global_load_dwordx2 v[11:12], v[10:11], off
	s_waitcnt vmcnt(0)
	v_subrev_u32_e32 v10, s2, v11
	v_subrev_u32_e32 v33, s2, v12
	v_add_u32_e32 v10, v10, v0
	v_cmp_lt_i32_e64 s[0:1], v10, v33
	s_cbranch_scc0 .LBB277_12
; %bb.5:
	v_mov_b32_e32 v16, 0
	v_mov_b32_e32 v20, 0
	;; [unrolled: 1-line block ×8, first 2 shown]
	s_and_saveexec_b64 s[6:7], s[0:1]
	s_cbranch_execz .LBB277_14
; %bb.6:
	v_mul_lo_u32 v12, v11, 22
	v_mul_lo_u32 v34, v10, 22
	s_mul_i32 s3, s2, 22
	v_mov_b32_e32 v16, 0
	v_mad_u32_u24 v12, v0, 22, v12
	v_subrev_u32_e32 v35, s3, v12
	v_mov_b32_e32 v20, 0
	v_mov_b32_e32 v12, 0
	;; [unrolled: 1-line block ×4, first 2 shown]
	s_mov_b64 s[8:9], 0
	v_mov_b32_e32 v36, s11
	v_mov_b32_e32 v19, 0
	;; [unrolled: 1-line block ×8, first 2 shown]
	s_branch .LBB277_8
.LBB277_7:                              ;   in Loop: Header=BB277_8 Depth=1
	v_add_u32_e32 v22, 64, v22
	v_cmp_ge_i32_e32 vcc, v22, v33
	v_add_u32_e32 v34, 0x580, v34
	s_or_b64 s[8:9], vcc, s[8:9]
	v_add_u32_e32 v35, 0x580, v35
	s_andn2_b64 exec, exec, s[8:9]
	s_cbranch_execz .LBB277_13
.LBB277_8:                              ; =>This Loop Header: Depth=1
                                        ;     Child Loop BB277_10 Depth 2
	v_ashrrev_i32_e32 v23, 31, v22
	v_lshlrev_b64 v[23:24], 2, v[22:23]
	v_mov_b32_e32 v30, v17
	v_add_co_u32_e32 v23, vcc, s10, v23
	v_addc_co_u32_e32 v24, vcc, v36, v24, vcc
	global_load_dword v18, v[23:24], off
	v_mov_b32_e32 v32, v21
	v_mov_b32_e32 v26, v13
	v_mov_b32_e32 v28, v15
	s_mov_b32 s3, 0
	v_mov_b32_e32 v29, v16
	v_mov_b32_e32 v31, v20
	;; [unrolled: 1-line block ×4, first 2 shown]
	s_waitcnt vmcnt(0)
	v_subrev_u32_e32 v18, s2, v18
	v_mul_lo_u32 v23, v18, 11
	s_branch .LBB277_10
.LBB277_9:                              ;   in Loop: Header=BB277_8 Depth=1
                                        ; implicit-def: $vgpr27_vgpr28
                                        ; implicit-def: $vgpr25_vgpr26
                                        ; implicit-def: $vgpr31_vgpr32
                                        ; implicit-def: $vgpr29_vgpr30
                                        ; implicit-def: $sgpr3
                                        ; implicit-def: $vgpr23
	s_branch .LBB277_7
.LBB277_10:                             ;   Parent Loop BB277_8 Depth=1
                                        ; =>  This Inner Loop Header: Depth=2
	v_add_u32_e32 v18, s3, v35
	v_lshlrev_b64 v[12:13], 4, v[18:19]
	v_mov_b32_e32 v24, v19
	v_add_co_u32_e32 v16, vcc, s12, v12
	v_addc_co_u32_e32 v17, vcc, v37, v13, vcc
	v_lshlrev_b64 v[12:13], 4, v[23:24]
	v_add_u32_e32 v24, s3, v34
	v_add_co_u32_e32 v20, vcc, s14, v12
	v_addc_co_u32_e32 v21, vcc, v38, v13, vcc
	global_load_dwordx4 v[12:15], v[20:21], off
	global_load_dwordx4 v[39:42], v[16:17], off
	global_load_dwordx4 v[43:46], v[16:17], off offset:16
	v_add_u32_e32 v18, 2, v24
	v_lshlrev_b64 v[20:21], 4, v[18:19]
	v_add_u32_e32 v18, 1, v23
	v_lshlrev_b64 v[47:48], 4, v[18:19]
	v_add_co_u32_e32 v16, vcc, s12, v20
	v_addc_co_u32_e32 v17, vcc, v37, v21, vcc
	v_add_co_u32_e32 v20, vcc, s14, v47
	v_addc_co_u32_e32 v21, vcc, v38, v48, vcc
	v_add_u32_e32 v18, 4, v24
	s_cmp_eq_u32 s3, 16
	s_waitcnt vmcnt(1)
	v_fma_f64 v[49:50], v[39:40], v[12:13], v[31:32]
	v_fma_f64 v[51:52], v[41:42], v[12:13], v[29:30]
	global_load_dwordx4 v[29:32], v[16:17], off
	v_fma_f64 v[47:48], -v[41:42], v[14:15], v[49:50]
	v_fma_f64 v[49:50], v[39:40], v[14:15], v[51:52]
	global_load_dwordx4 v[39:42], v[20:21], off
	s_waitcnt vmcnt(2)
	v_fma_f64 v[20:21], v[43:44], v[12:13], v[25:26]
	v_fma_f64 v[12:13], v[45:46], v[12:13], v[27:28]
	v_lshlrev_b64 v[25:26], 4, v[18:19]
	v_add_u32_e32 v18, 2, v23
	v_lshlrev_b64 v[27:28], 4, v[18:19]
	v_fma_f64 v[20:21], -v[45:46], v[14:15], v[20:21]
	v_fma_f64 v[51:52], v[43:44], v[14:15], v[12:13]
	global_load_dwordx4 v[12:15], v[16:17], off offset:16
	v_add_co_u32_e32 v16, vcc, s12, v25
	v_addc_co_u32_e32 v17, vcc, v37, v26, vcc
	s_waitcnt vmcnt(1)
	v_fma_f64 v[43:44], v[29:30], v[39:40], v[47:48]
	v_fma_f64 v[45:46], v[31:32], v[39:40], v[49:50]
	v_add_co_u32_e32 v47, vcc, s14, v27
	v_addc_co_u32_e32 v48, vcc, v38, v28, vcc
	global_load_dwordx4 v[25:28], v[16:17], off
	v_fma_f64 v[49:50], -v[31:32], v[41:42], v[43:44]
	v_fma_f64 v[53:54], v[29:30], v[41:42], v[45:46]
	global_load_dwordx4 v[29:32], v[47:48], off
	global_load_dwordx4 v[43:46], v[16:17], off offset:16
	s_waitcnt vmcnt(3)
	v_fma_f64 v[16:17], v[12:13], v[39:40], v[20:21]
	v_fma_f64 v[20:21], v[14:15], v[39:40], v[51:52]
	v_fma_f64 v[14:15], -v[14:15], v[41:42], v[16:17]
	v_fma_f64 v[12:13], v[12:13], v[41:42], v[20:21]
	s_waitcnt vmcnt(1)
	v_fma_f64 v[16:17], v[25:26], v[29:30], v[49:50]
	v_fma_f64 v[39:40], v[27:28], v[29:30], v[53:54]
	s_waitcnt vmcnt(0)
	v_fma_f64 v[14:15], v[43:44], v[29:30], v[14:15]
	v_fma_f64 v[29:30], v[45:46], v[29:30], v[12:13]
	v_fma_f64 v[20:21], -v[27:28], v[31:32], v[16:17]
	v_fma_f64 v[16:17], v[25:26], v[31:32], v[39:40]
	v_fma_f64 v[12:13], -v[45:46], v[31:32], v[14:15]
	v_fma_f64 v[14:15], v[43:44], v[31:32], v[29:30]
	s_cbranch_scc1 .LBB277_9
; %bb.11:                               ;   in Loop: Header=BB277_10 Depth=2
	v_add_u32_e32 v18, 6, v24
	v_lshlrev_b64 v[24:25], 4, v[18:19]
	v_mov_b32_e32 v18, s13
	v_add_co_u32_e32 v43, vcc, s12, v24
	v_addc_co_u32_e32 v44, vcc, v18, v25, vcc
	v_add_u32_e32 v18, 3, v23
	v_lshlrev_b64 v[24:25], 4, v[18:19]
	v_mov_b32_e32 v18, s15
	v_add_co_u32_e32 v45, vcc, s14, v24
	v_addc_co_u32_e32 v46, vcc, v18, v25, vcc
	global_load_dwordx4 v[25:28], v[45:46], off
	global_load_dwordx4 v[29:32], v[43:44], off
	global_load_dwordx4 v[39:42], v[43:44], off offset:16
	s_add_i32 s3, s3, 8
	v_add_u32_e32 v23, 4, v23
	s_waitcnt vmcnt(1)
	v_fma_f64 v[43:44], v[29:30], v[25:26], v[20:21]
	v_fma_f64 v[45:46], v[31:32], v[25:26], v[16:17]
	s_waitcnt vmcnt(0)
	v_fma_f64 v[47:48], v[39:40], v[25:26], v[12:13]
	v_fma_f64 v[49:50], v[41:42], v[25:26], v[14:15]
	v_fma_f64 v[31:32], -v[31:32], v[27:28], v[43:44]
	v_fma_f64 v[29:30], v[29:30], v[27:28], v[45:46]
	v_fma_f64 v[25:26], -v[41:42], v[27:28], v[47:48]
	v_fma_f64 v[27:28], v[39:40], v[27:28], v[49:50]
	s_cbranch_execnz .LBB277_10
	s_branch .LBB277_7
.LBB277_12:
                                        ; implicit-def: $vgpr16_vgpr17
                                        ; implicit-def: $vgpr20_vgpr21
                                        ; implicit-def: $vgpr12_vgpr13
                                        ; implicit-def: $vgpr14_vgpr15
	s_branch .LBB277_15
.LBB277_13:
	s_or_b64 exec, exec, s[8:9]
.LBB277_14:
	s_or_b64 exec, exec, s[6:7]
	s_cbranch_execnz .LBB277_24
.LBB277_15:
	v_mov_b32_e32 v16, 0
	v_mov_b32_e32 v20, 0
	;; [unrolled: 1-line block ×8, first 2 shown]
	s_and_saveexec_b64 s[6:7], s[0:1]
	s_cbranch_execz .LBB277_23
; %bb.16:
	v_mul_lo_u32 v11, v11, 22
	v_mul_lo_u32 v30, v10, 22
	s_mul_i32 s0, s2, 22
	v_mov_b32_e32 v16, 0
	v_mad_u32_u24 v11, v0, 22, v11
	v_mov_b32_e32 v20, 0
	v_mov_b32_e32 v12, 0
	;; [unrolled: 1-line block ×4, first 2 shown]
	v_subrev_u32_e32 v31, s0, v11
	s_mov_b64 s[0:1], 0
	v_mov_b32_e32 v32, s11
	v_mov_b32_e32 v19, 0
	;; [unrolled: 1-line block ×7, first 2 shown]
	s_branch .LBB277_18
.LBB277_17:                             ;   in Loop: Header=BB277_18 Depth=1
	v_add_u32_e32 v10, 64, v10
	v_cmp_ge_i32_e32 vcc, v10, v33
	v_add_u32_e32 v30, 0x580, v30
	s_or_b64 s[0:1], vcc, s[0:1]
	v_add_u32_e32 v31, 0x580, v31
	s_andn2_b64 exec, exec, s[0:1]
	s_cbranch_execz .LBB277_22
.LBB277_18:                             ; =>This Loop Header: Depth=1
                                        ;     Child Loop BB277_20 Depth 2
	v_ashrrev_i32_e32 v11, 31, v10
	v_lshlrev_b64 v[22:23], 2, v[10:11]
	v_mov_b32_e32 v27, v17
	v_add_co_u32_e32 v22, vcc, s10, v22
	v_addc_co_u32_e32 v23, vcc, v32, v23, vcc
	global_load_dword v11, v[22:23], off
	v_mov_b32_e32 v29, v21
	v_mov_b32_e32 v23, v13
	;; [unrolled: 1-line block ×3, first 2 shown]
	s_mov_b32 s3, 0
	v_mov_b32_e32 v26, v16
	v_mov_b32_e32 v28, v20
	;; [unrolled: 1-line block ×4, first 2 shown]
	s_waitcnt vmcnt(0)
	v_subrev_u32_e32 v11, s2, v11
	v_mul_lo_u32 v11, v11, 11
	s_branch .LBB277_20
.LBB277_19:                             ;   in Loop: Header=BB277_20 Depth=2
	s_andn2_b64 vcc, exec, s[8:9]
	s_cbranch_vccz .LBB277_17
.LBB277_20:                             ;   Parent Loop BB277_18 Depth=1
                                        ; =>  This Inner Loop Header: Depth=2
	v_add_u32_e32 v18, s3, v31
	v_lshlrev_b64 v[12:13], 4, v[18:19]
	v_add_u32_e32 v18, s3, v11
	v_add_co_u32_e32 v16, vcc, s12, v12
	v_lshlrev_b64 v[20:21], 4, v[18:19]
	v_addc_co_u32_e32 v17, vcc, v34, v13, vcc
	v_add_co_u32_e32 v20, vcc, s14, v20
	v_addc_co_u32_e32 v21, vcc, v35, v21, vcc
	global_load_dwordx4 v[12:15], v[16:17], off
	global_load_dwordx4 v[37:40], v[20:21], off
	v_add_u32_e32 v36, s3, v30
	v_mov_b32_e32 v21, v19
	v_add_u32_e32 v20, 11, v36
	v_lshlrev_b64 v[20:21], 4, v[20:21]
	s_cmp_eq_u32 s3, 8
	v_add_co_u32_e32 v20, vcc, s12, v20
	v_addc_co_u32_e32 v21, vcc, v34, v21, vcc
	global_load_dwordx4 v[41:44], v[20:21], off
	s_mov_b64 s[8:9], -1
	s_waitcnt vmcnt(1)
	v_fma_f64 v[20:21], v[12:13], v[37:38], v[28:29]
	v_fma_f64 v[45:46], v[14:15], v[37:38], v[26:27]
	global_load_dwordx4 v[26:29], v[16:17], off offset:16
	v_fma_f64 v[16:17], -v[14:15], v[39:40], v[20:21]
	v_fma_f64 v[45:46], v[12:13], v[39:40], v[45:46]
	v_mov_b32_e32 v13, v19
	v_add_u32_e32 v12, 1, v18
	s_waitcnt vmcnt(1)
	v_fma_f64 v[20:21], v[41:42], v[37:38], v[22:23]
	v_lshlrev_b64 v[12:13], 4, v[12:13]
	v_fma_f64 v[22:23], v[43:44], v[37:38], v[24:25]
	v_add_co_u32_e32 v12, vcc, s14, v12
	v_addc_co_u32_e32 v13, vcc, v35, v13, vcc
	global_load_dwordx4 v[12:15], v[12:13], off
	v_fma_f64 v[24:25], -v[43:44], v[39:40], v[20:21]
	v_mov_b32_e32 v21, v19
	v_add_u32_e32 v20, 12, v36
	v_lshlrev_b64 v[20:21], 4, v[20:21]
	v_fma_f64 v[37:38], v[41:42], v[39:40], v[22:23]
	v_add_co_u32_e32 v41, vcc, s12, v20
	v_addc_co_u32_e32 v42, vcc, v34, v21, vcc
	global_load_dwordx4 v[20:23], v[41:42], off
	v_mov_b32_e32 v44, v19
	v_add_u32_e32 v43, 2, v36
	s_waitcnt vmcnt(1)
	v_fma_f64 v[16:17], v[26:27], v[12:13], v[16:17]
	v_fma_f64 v[39:40], v[28:29], v[12:13], v[45:46]
	v_fma_f64 v[16:17], -v[28:29], v[14:15], v[16:17]
	v_fma_f64 v[28:29], v[26:27], v[14:15], v[39:40]
	v_lshlrev_b64 v[39:40], 4, v[43:44]
	s_waitcnt vmcnt(0)
	v_fma_f64 v[43:44], v[20:21], v[12:13], v[24:25]
	v_fma_f64 v[12:13], v[22:23], v[12:13], v[37:38]
	v_mov_b32_e32 v27, v19
	v_add_u32_e32 v26, 2, v18
	v_lshlrev_b64 v[26:27], 4, v[26:27]
	v_add_co_u32_e32 v24, vcc, s12, v39
	v_addc_co_u32_e32 v25, vcc, v34, v40, vcc
	v_add_co_u32_e32 v45, vcc, s14, v26
	v_addc_co_u32_e32 v46, vcc, v35, v27, vcc
	global_load_dwordx4 v[24:27], v[24:25], off
	v_fma_f64 v[22:23], -v[22:23], v[14:15], v[43:44]
	v_fma_f64 v[20:21], v[20:21], v[14:15], v[12:13]
	global_load_dwordx4 v[12:15], v[45:46], off
	global_load_dwordx4 v[37:40], v[41:42], off offset:16
	s_waitcnt vmcnt(1)
	v_fma_f64 v[16:17], v[24:25], v[12:13], v[16:17]
	v_fma_f64 v[28:29], v[26:27], v[12:13], v[28:29]
	s_waitcnt vmcnt(0)
	v_fma_f64 v[22:23], v[37:38], v[12:13], v[22:23]
	v_fma_f64 v[41:42], v[39:40], v[12:13], v[20:21]
	v_fma_f64 v[20:21], -v[26:27], v[14:15], v[16:17]
	v_fma_f64 v[16:17], v[24:25], v[14:15], v[28:29]
	v_fma_f64 v[12:13], -v[39:40], v[14:15], v[22:23]
	v_fma_f64 v[14:15], v[37:38], v[14:15], v[41:42]
                                        ; implicit-def: $vgpr24_vgpr25
                                        ; implicit-def: $vgpr22_vgpr23
                                        ; implicit-def: $vgpr28_vgpr29
                                        ; implicit-def: $vgpr26_vgpr27
	s_cbranch_scc1 .LBB277_19
; %bb.21:                               ;   in Loop: Header=BB277_20 Depth=2
	v_add_u32_e32 v22, 3, v36
	v_mov_b32_e32 v23, v19
	v_lshlrev_b64 v[22:23], 4, v[22:23]
	v_add_u32_e32 v18, 3, v18
	v_mov_b32_e32 v28, s13
	v_add_co_u32_e32 v22, vcc, s12, v22
	v_lshlrev_b64 v[26:27], 4, v[18:19]
	v_addc_co_u32_e32 v23, vcc, v28, v23, vcc
	v_mov_b32_e32 v18, s15
	v_add_co_u32_e32 v26, vcc, s14, v26
	v_addc_co_u32_e32 v27, vcc, v18, v27, vcc
	v_add_u32_e32 v18, 14, v36
	global_load_dwordx4 v[37:40], v[26:27], off
	v_lshlrev_b64 v[26:27], 4, v[18:19]
	global_load_dwordx4 v[22:25], v[22:23], off
	v_add_co_u32_e32 v26, vcc, s12, v26
	v_addc_co_u32_e32 v27, vcc, v28, v27, vcc
	global_load_dwordx4 v[41:44], v[26:27], off
	s_add_i32 s3, s3, 4
	s_mov_b64 s[8:9], 0
	s_waitcnt vmcnt(1)
	v_fma_f64 v[26:27], v[22:23], v[37:38], v[20:21]
	v_fma_f64 v[45:46], v[24:25], v[37:38], v[16:17]
	s_waitcnt vmcnt(0)
	v_fma_f64 v[47:48], v[41:42], v[37:38], v[12:13]
	v_fma_f64 v[36:37], v[43:44], v[37:38], v[14:15]
	v_fma_f64 v[28:29], -v[24:25], v[39:40], v[26:27]
	v_fma_f64 v[26:27], v[22:23], v[39:40], v[45:46]
	v_fma_f64 v[22:23], -v[43:44], v[39:40], v[47:48]
	v_fma_f64 v[24:25], v[41:42], v[39:40], v[36:37]
	s_branch .LBB277_19
.LBB277_22:
	s_or_b64 exec, exec, s[0:1]
.LBB277_23:
	s_or_b64 exec, exec, s[6:7]
.LBB277_24:
	v_mov_b32_dpp v10, v20 row_shr:1 row_mask:0xf bank_mask:0xf
	v_mov_b32_dpp v11, v21 row_shr:1 row_mask:0xf bank_mask:0xf
	v_add_f64 v[10:11], v[20:21], v[10:11]
	v_mov_b32_dpp v18, v16 row_shr:1 row_mask:0xf bank_mask:0xf
	v_mov_b32_dpp v19, v17 row_shr:1 row_mask:0xf bank_mask:0xf
	v_add_f64 v[16:17], v[16:17], v[18:19]
	;; [unrolled: 3-line block ×3, first 2 shown]
	v_cmp_eq_u32_e32 vcc, 63, v0
	v_mov_b32_dpp v18, v10 row_shr:2 row_mask:0xf bank_mask:0xf
	v_mov_b32_dpp v19, v11 row_shr:2 row_mask:0xf bank_mask:0xf
	v_add_f64 v[10:11], v[10:11], v[18:19]
	v_mov_b32_dpp v18, v12 row_shr:1 row_mask:0xf bank_mask:0xf
	v_mov_b32_dpp v19, v13 row_shr:1 row_mask:0xf bank_mask:0xf
	v_add_f64 v[12:13], v[12:13], v[18:19]
	v_mov_b32_dpp v18, v16 row_shr:2 row_mask:0xf bank_mask:0xf
	v_mov_b32_dpp v19, v10 row_shr:4 row_mask:0xf bank_mask:0xe
	v_mov_b32_dpp v20, v11 row_shr:4 row_mask:0xf bank_mask:0xe
	v_add_f64 v[10:11], v[10:11], v[19:20]
	v_mov_b32_dpp v19, v17 row_shr:2 row_mask:0xf bank_mask:0xf
	;; [unrolled: 4-line block ×3, first 2 shown]
	v_add_f64 v[12:13], v[12:13], v[20:21]
	v_mov_b32_dpp v19, v15 row_shr:2 row_mask:0xf bank_mask:0xf
	v_add_f64 v[14:15], v[14:15], v[18:19]
	v_mov_b32_dpp v20, v10 row_shr:8 row_mask:0xf bank_mask:0xc
	v_mov_b32_dpp v21, v11 row_shr:8 row_mask:0xf bank_mask:0xc
	v_add_f64 v[10:11], v[10:11], v[20:21]
	v_mov_b32_dpp v18, v16 row_shr:4 row_mask:0xf bank_mask:0xe
	v_mov_b32_dpp v19, v17 row_shr:4 row_mask:0xf bank_mask:0xe
	;; [unrolled: 1-line block ×3, first 2 shown]
	v_add_f64 v[16:17], v[16:17], v[18:19]
	v_mov_b32_dpp v21, v13 row_shr:4 row_mask:0xf bank_mask:0xe
	v_add_f64 v[12:13], v[12:13], v[20:21]
	v_mov_b32_dpp v19, v14 row_shr:4 row_mask:0xf bank_mask:0xe
	v_mov_b32_dpp v20, v15 row_shr:4 row_mask:0xf bank_mask:0xe
	v_add_f64 v[14:15], v[14:15], v[19:20]
	v_mov_b32_dpp v18, v10 row_bcast:15 row_mask:0xa bank_mask:0xf
	v_mov_b32_dpp v19, v11 row_bcast:15 row_mask:0xa bank_mask:0xf
	v_mov_b32_dpp v20, v16 row_shr:8 row_mask:0xf bank_mask:0xc
	v_mov_b32_dpp v21, v17 row_shr:8 row_mask:0xf bank_mask:0xc
	v_add_f64 v[16:17], v[16:17], v[20:21]
	v_mov_b32_dpp v20, v12 row_shr:8 row_mask:0xf bank_mask:0xc
	v_mov_b32_dpp v21, v13 row_shr:8 row_mask:0xf bank_mask:0xc
	v_add_f64 v[20:21], v[12:13], v[20:21]
	;; [unrolled: 3-line block ×3, first 2 shown]
	v_add_f64 v[10:11], v[10:11], v[18:19]
	v_mov_b32_dpp v12, v16 row_bcast:15 row_mask:0xa bank_mask:0xf
	v_mov_b32_dpp v13, v17 row_bcast:15 row_mask:0xa bank_mask:0xf
	v_add_f64 v[12:13], v[16:17], v[12:13]
	v_mov_b32_dpp v16, v20 row_bcast:15 row_mask:0xa bank_mask:0xf
	v_mov_b32_dpp v17, v21 row_bcast:15 row_mask:0xa bank_mask:0xf
	;; [unrolled: 3-line block ×4, first 2 shown]
	v_mov_b32_dpp v16, v12 row_bcast:31 row_mask:0xc bank_mask:0xf
	v_mov_b32_dpp v17, v13 row_bcast:31 row_mask:0xc bank_mask:0xf
	;; [unrolled: 1-line block ×6, first 2 shown]
	s_and_b64 exec, exec, vcc
	s_cbranch_execz .LBB277_29
; %bb.25:
	v_cmp_eq_f64_e32 vcc, 0, v[5:6]
	v_cmp_eq_f64_e64 s[0:1], 0, v[7:8]
	v_add_f64 v[10:11], v[10:11], v[24:25]
	v_add_f64 v[16:17], v[12:13], v[16:17]
	;; [unrolled: 1-line block ×4, first 2 shown]
	s_load_dwordx2 s[2:3], s[4:5], 0x48
	s_and_b64 s[0:1], vcc, s[0:1]
	s_and_saveexec_b64 s[4:5], s[0:1]
	s_xor_b64 s[0:1], exec, s[4:5]
	s_cbranch_execz .LBB277_27
; %bb.26:
	v_mul_f64 v[5:6], v[16:17], -v[3:4]
	v_mul_f64 v[7:8], v[1:2], v[16:17]
	v_mul_f64 v[16:17], v[14:15], -v[3:4]
	v_mul_f64 v[14:15], v[1:2], v[14:15]
	v_lshlrev_b32_e32 v9, 1, v9
	s_waitcnt lgkmcnt(0)
	v_mov_b32_e32 v18, s3
	v_fma_f64 v[5:6], v[1:2], v[10:11], v[5:6]
	v_fma_f64 v[7:8], v[3:4], v[10:11], v[7:8]
	;; [unrolled: 1-line block ×4, first 2 shown]
	v_ashrrev_i32_e32 v10, 31, v9
	v_lshlrev_b64 v[9:10], 4, v[9:10]
                                        ; implicit-def: $vgpr16_vgpr17
                                        ; implicit-def: $vgpr12_vgpr13
                                        ; implicit-def: $vgpr14_vgpr15
	v_add_co_u32_e32 v9, vcc, s2, v9
	v_addc_co_u32_e32 v10, vcc, v18, v10, vcc
	global_store_dwordx4 v[9:10], v[5:8], off
	global_store_dwordx4 v[9:10], v[0:3], off offset:16
                                        ; implicit-def: $vgpr9
                                        ; implicit-def: $vgpr10_vgpr11
                                        ; implicit-def: $vgpr7_vgpr8
                                        ; implicit-def: $vgpr3_vgpr4
.LBB277_27:
	s_andn2_saveexec_b64 s[0:1], s[0:1]
	s_cbranch_execz .LBB277_29
; %bb.28:
	v_lshlrev_b32_e32 v18, 1, v9
	v_ashrrev_i32_e32 v19, 31, v18
	v_lshlrev_b64 v[18:19], 4, v[18:19]
	s_waitcnt lgkmcnt(0)
	v_mov_b32_e32 v0, s3
	v_add_co_u32_e32 v26, vcc, s2, v18
	v_addc_co_u32_e32 v27, vcc, v0, v19, vcc
	global_load_dwordx4 v[18:21], v[26:27], off
	global_load_dwordx4 v[22:25], v[26:27], off offset:16
	v_mul_f64 v[28:29], v[16:17], -v[3:4]
	v_mul_f64 v[16:17], v[1:2], v[16:17]
	v_mul_f64 v[30:31], v[14:15], -v[3:4]
	v_mul_f64 v[14:15], v[1:2], v[14:15]
	v_fma_f64 v[28:29], v[1:2], v[10:11], v[28:29]
	v_fma_f64 v[9:10], v[3:4], v[10:11], v[16:17]
	;; [unrolled: 1-line block ×4, first 2 shown]
	s_waitcnt vmcnt(1)
	v_fma_f64 v[11:12], v[5:6], v[18:19], v[28:29]
	v_fma_f64 v[9:10], v[7:8], v[18:19], v[9:10]
	s_waitcnt vmcnt(0)
	v_fma_f64 v[13:14], v[5:6], v[22:23], v[0:1]
	v_fma_f64 v[15:16], v[7:8], v[22:23], v[2:3]
	v_fma_f64 v[0:1], -v[7:8], v[20:21], v[11:12]
	v_fma_f64 v[2:3], v[5:6], v[20:21], v[9:10]
	v_fma_f64 v[7:8], -v[7:8], v[24:25], v[13:14]
	v_fma_f64 v[9:10], v[5:6], v[24:25], v[15:16]
	global_store_dwordx4 v[26:27], v[0:3], off
	global_store_dwordx4 v[26:27], v[7:10], off offset:16
.LBB277_29:
	s_endpgm
	.section	.rodata,"a",@progbits
	.p2align	6, 0x0
	.amdhsa_kernel _ZN9rocsparseL19gebsrmvn_2xn_kernelILj128ELj11ELj64E21rocsparse_complex_numIdEEEvi20rocsparse_direction_NS_24const_host_device_scalarIT2_EEPKiS8_PKS5_SA_S6_PS5_21rocsparse_index_base_b
		.amdhsa_group_segment_fixed_size 0
		.amdhsa_private_segment_fixed_size 0
		.amdhsa_kernarg_size 88
		.amdhsa_user_sgpr_count 6
		.amdhsa_user_sgpr_private_segment_buffer 1
		.amdhsa_user_sgpr_dispatch_ptr 0
		.amdhsa_user_sgpr_queue_ptr 0
		.amdhsa_user_sgpr_kernarg_segment_ptr 1
		.amdhsa_user_sgpr_dispatch_id 0
		.amdhsa_user_sgpr_flat_scratch_init 0
		.amdhsa_user_sgpr_private_segment_size 0
		.amdhsa_uses_dynamic_stack 0
		.amdhsa_system_sgpr_private_segment_wavefront_offset 0
		.amdhsa_system_sgpr_workgroup_id_x 1
		.amdhsa_system_sgpr_workgroup_id_y 0
		.amdhsa_system_sgpr_workgroup_id_z 0
		.amdhsa_system_sgpr_workgroup_info 0
		.amdhsa_system_vgpr_workitem_id 0
		.amdhsa_next_free_vgpr 55
		.amdhsa_next_free_sgpr 16
		.amdhsa_reserve_vcc 1
		.amdhsa_reserve_flat_scratch 0
		.amdhsa_float_round_mode_32 0
		.amdhsa_float_round_mode_16_64 0
		.amdhsa_float_denorm_mode_32 3
		.amdhsa_float_denorm_mode_16_64 3
		.amdhsa_dx10_clamp 1
		.amdhsa_ieee_mode 1
		.amdhsa_fp16_overflow 0
		.amdhsa_exception_fp_ieee_invalid_op 0
		.amdhsa_exception_fp_denorm_src 0
		.amdhsa_exception_fp_ieee_div_zero 0
		.amdhsa_exception_fp_ieee_overflow 0
		.amdhsa_exception_fp_ieee_underflow 0
		.amdhsa_exception_fp_ieee_inexact 0
		.amdhsa_exception_int_div_zero 0
	.end_amdhsa_kernel
	.section	.text._ZN9rocsparseL19gebsrmvn_2xn_kernelILj128ELj11ELj64E21rocsparse_complex_numIdEEEvi20rocsparse_direction_NS_24const_host_device_scalarIT2_EEPKiS8_PKS5_SA_S6_PS5_21rocsparse_index_base_b,"axG",@progbits,_ZN9rocsparseL19gebsrmvn_2xn_kernelILj128ELj11ELj64E21rocsparse_complex_numIdEEEvi20rocsparse_direction_NS_24const_host_device_scalarIT2_EEPKiS8_PKS5_SA_S6_PS5_21rocsparse_index_base_b,comdat
.Lfunc_end277:
	.size	_ZN9rocsparseL19gebsrmvn_2xn_kernelILj128ELj11ELj64E21rocsparse_complex_numIdEEEvi20rocsparse_direction_NS_24const_host_device_scalarIT2_EEPKiS8_PKS5_SA_S6_PS5_21rocsparse_index_base_b, .Lfunc_end277-_ZN9rocsparseL19gebsrmvn_2xn_kernelILj128ELj11ELj64E21rocsparse_complex_numIdEEEvi20rocsparse_direction_NS_24const_host_device_scalarIT2_EEPKiS8_PKS5_SA_S6_PS5_21rocsparse_index_base_b
                                        ; -- End function
	.set _ZN9rocsparseL19gebsrmvn_2xn_kernelILj128ELj11ELj64E21rocsparse_complex_numIdEEEvi20rocsparse_direction_NS_24const_host_device_scalarIT2_EEPKiS8_PKS5_SA_S6_PS5_21rocsparse_index_base_b.num_vgpr, 55
	.set _ZN9rocsparseL19gebsrmvn_2xn_kernelILj128ELj11ELj64E21rocsparse_complex_numIdEEEvi20rocsparse_direction_NS_24const_host_device_scalarIT2_EEPKiS8_PKS5_SA_S6_PS5_21rocsparse_index_base_b.num_agpr, 0
	.set _ZN9rocsparseL19gebsrmvn_2xn_kernelILj128ELj11ELj64E21rocsparse_complex_numIdEEEvi20rocsparse_direction_NS_24const_host_device_scalarIT2_EEPKiS8_PKS5_SA_S6_PS5_21rocsparse_index_base_b.numbered_sgpr, 16
	.set _ZN9rocsparseL19gebsrmvn_2xn_kernelILj128ELj11ELj64E21rocsparse_complex_numIdEEEvi20rocsparse_direction_NS_24const_host_device_scalarIT2_EEPKiS8_PKS5_SA_S6_PS5_21rocsparse_index_base_b.num_named_barrier, 0
	.set _ZN9rocsparseL19gebsrmvn_2xn_kernelILj128ELj11ELj64E21rocsparse_complex_numIdEEEvi20rocsparse_direction_NS_24const_host_device_scalarIT2_EEPKiS8_PKS5_SA_S6_PS5_21rocsparse_index_base_b.private_seg_size, 0
	.set _ZN9rocsparseL19gebsrmvn_2xn_kernelILj128ELj11ELj64E21rocsparse_complex_numIdEEEvi20rocsparse_direction_NS_24const_host_device_scalarIT2_EEPKiS8_PKS5_SA_S6_PS5_21rocsparse_index_base_b.uses_vcc, 1
	.set _ZN9rocsparseL19gebsrmvn_2xn_kernelILj128ELj11ELj64E21rocsparse_complex_numIdEEEvi20rocsparse_direction_NS_24const_host_device_scalarIT2_EEPKiS8_PKS5_SA_S6_PS5_21rocsparse_index_base_b.uses_flat_scratch, 0
	.set _ZN9rocsparseL19gebsrmvn_2xn_kernelILj128ELj11ELj64E21rocsparse_complex_numIdEEEvi20rocsparse_direction_NS_24const_host_device_scalarIT2_EEPKiS8_PKS5_SA_S6_PS5_21rocsparse_index_base_b.has_dyn_sized_stack, 0
	.set _ZN9rocsparseL19gebsrmvn_2xn_kernelILj128ELj11ELj64E21rocsparse_complex_numIdEEEvi20rocsparse_direction_NS_24const_host_device_scalarIT2_EEPKiS8_PKS5_SA_S6_PS5_21rocsparse_index_base_b.has_recursion, 0
	.set _ZN9rocsparseL19gebsrmvn_2xn_kernelILj128ELj11ELj64E21rocsparse_complex_numIdEEEvi20rocsparse_direction_NS_24const_host_device_scalarIT2_EEPKiS8_PKS5_SA_S6_PS5_21rocsparse_index_base_b.has_indirect_call, 0
	.section	.AMDGPU.csdata,"",@progbits
; Kernel info:
; codeLenInByte = 2984
; TotalNumSgprs: 20
; NumVgprs: 55
; ScratchSize: 0
; MemoryBound: 0
; FloatMode: 240
; IeeeMode: 1
; LDSByteSize: 0 bytes/workgroup (compile time only)
; SGPRBlocks: 2
; VGPRBlocks: 13
; NumSGPRsForWavesPerEU: 20
; NumVGPRsForWavesPerEU: 55
; Occupancy: 4
; WaveLimiterHint : 1
; COMPUTE_PGM_RSRC2:SCRATCH_EN: 0
; COMPUTE_PGM_RSRC2:USER_SGPR: 6
; COMPUTE_PGM_RSRC2:TRAP_HANDLER: 0
; COMPUTE_PGM_RSRC2:TGID_X_EN: 1
; COMPUTE_PGM_RSRC2:TGID_Y_EN: 0
; COMPUTE_PGM_RSRC2:TGID_Z_EN: 0
; COMPUTE_PGM_RSRC2:TIDIG_COMP_CNT: 0
	.section	.text._ZN9rocsparseL19gebsrmvn_2xn_kernelILj128ELj12ELj4E21rocsparse_complex_numIdEEEvi20rocsparse_direction_NS_24const_host_device_scalarIT2_EEPKiS8_PKS5_SA_S6_PS5_21rocsparse_index_base_b,"axG",@progbits,_ZN9rocsparseL19gebsrmvn_2xn_kernelILj128ELj12ELj4E21rocsparse_complex_numIdEEEvi20rocsparse_direction_NS_24const_host_device_scalarIT2_EEPKiS8_PKS5_SA_S6_PS5_21rocsparse_index_base_b,comdat
	.globl	_ZN9rocsparseL19gebsrmvn_2xn_kernelILj128ELj12ELj4E21rocsparse_complex_numIdEEEvi20rocsparse_direction_NS_24const_host_device_scalarIT2_EEPKiS8_PKS5_SA_S6_PS5_21rocsparse_index_base_b ; -- Begin function _ZN9rocsparseL19gebsrmvn_2xn_kernelILj128ELj12ELj4E21rocsparse_complex_numIdEEEvi20rocsparse_direction_NS_24const_host_device_scalarIT2_EEPKiS8_PKS5_SA_S6_PS5_21rocsparse_index_base_b
	.p2align	8
	.type	_ZN9rocsparseL19gebsrmvn_2xn_kernelILj128ELj12ELj4E21rocsparse_complex_numIdEEEvi20rocsparse_direction_NS_24const_host_device_scalarIT2_EEPKiS8_PKS5_SA_S6_PS5_21rocsparse_index_base_b,@function
_ZN9rocsparseL19gebsrmvn_2xn_kernelILj128ELj12ELj4E21rocsparse_complex_numIdEEEvi20rocsparse_direction_NS_24const_host_device_scalarIT2_EEPKiS8_PKS5_SA_S6_PS5_21rocsparse_index_base_b: ; @_ZN9rocsparseL19gebsrmvn_2xn_kernelILj128ELj12ELj4E21rocsparse_complex_numIdEEEvi20rocsparse_direction_NS_24const_host_device_scalarIT2_EEPKiS8_PKS5_SA_S6_PS5_21rocsparse_index_base_b
; %bb.0:
	s_load_dwordx2 s[0:1], s[4:5], 0x8
	s_load_dwordx2 s[2:3], s[4:5], 0x38
	;; [unrolled: 1-line block ×3, first 2 shown]
	s_add_u32 s7, s4, 8
	s_addc_u32 s8, s5, 0
	s_add_u32 s9, s4, 56
	s_addc_u32 s10, s5, 0
	s_waitcnt lgkmcnt(0)
	s_bitcmp1_b32 s17, 0
	s_cselect_b32 s1, s8, s1
	s_cselect_b32 s0, s7, s0
	v_mov_b32_e32 v1, s0
	v_mov_b32_e32 v2, s1
	flat_load_dwordx4 v[1:4], v[1:2]
	s_cselect_b32 s0, s10, s3
	s_cselect_b32 s1, s9, s2
	v_mov_b32_e32 v5, s1
	v_mov_b32_e32 v6, s0
	flat_load_dwordx4 v[5:8], v[5:6]
	s_waitcnt vmcnt(0) lgkmcnt(0)
	v_cmp_eq_f64_e32 vcc, 0, v[1:2]
	v_cmp_eq_f64_e64 s[0:1], 0, v[3:4]
	s_and_b64 s[8:9], vcc, s[0:1]
	s_mov_b64 s[0:1], -1
	s_and_saveexec_b64 s[2:3], s[8:9]
	s_cbranch_execz .LBB278_2
; %bb.1:
	v_cmp_neq_f64_e32 vcc, 1.0, v[5:6]
	v_cmp_neq_f64_e64 s[0:1], 0, v[7:8]
	s_or_b64 s[0:1], vcc, s[0:1]
	s_orn2_b64 s[0:1], s[0:1], exec
.LBB278_2:
	s_or_b64 exec, exec, s[2:3]
	s_and_saveexec_b64 s[2:3], s[0:1]
	s_cbranch_execz .LBB278_25
; %bb.3:
	s_load_dwordx2 s[0:1], s[4:5], 0x0
	v_lshrrev_b32_e32 v9, 2, v0
	v_lshl_or_b32 v9, s6, 5, v9
	s_waitcnt lgkmcnt(0)
	v_cmp_gt_i32_e32 vcc, s0, v9
	s_and_b64 exec, exec, vcc
	s_cbranch_execz .LBB278_25
; %bb.4:
	s_load_dwordx8 s[8:15], s[4:5], 0x18
	v_ashrrev_i32_e32 v10, 31, v9
	v_lshlrev_b64 v[10:11], 2, v[9:10]
	v_and_b32_e32 v0, 3, v0
	s_cmp_lg_u32 s1, 0
	s_waitcnt lgkmcnt(0)
	v_mov_b32_e32 v12, s9
	v_add_co_u32_e32 v10, vcc, s8, v10
	v_addc_co_u32_e32 v11, vcc, v12, v11, vcc
	global_load_dwordx2 v[11:12], v[10:11], off
	s_waitcnt vmcnt(0)
	v_subrev_u32_e32 v10, s16, v11
	v_subrev_u32_e32 v25, s16, v12
	v_add_u32_e32 v10, v10, v0
	v_cmp_lt_i32_e64 s[0:1], v10, v25
	s_cbranch_scc0 .LBB278_12
; %bb.5:
	v_mov_b32_e32 v16, 0
	v_mov_b32_e32 v18, 0
	;; [unrolled: 1-line block ×8, first 2 shown]
	s_and_saveexec_b64 s[6:7], s[0:1]
	s_cbranch_execz .LBB278_11
; %bb.6:
	v_mul_lo_u32 v12, v11, 24
	v_mul_lo_u32 v26, v10, 24
	s_mul_i32 s2, s16, 24
	v_mov_b32_e32 v16, 0
	v_mad_u32_u24 v12, v0, 24, v12
	v_subrev_u32_e32 v27, s2, v12
	v_mov_b32_e32 v18, 0
	v_mov_b32_e32 v14, 0
	;; [unrolled: 1-line block ×4, first 2 shown]
	s_mov_b64 s[8:9], 0
	v_mov_b32_e32 v28, s11
	v_mov_b32_e32 v21, 0
	v_mov_b32_e32 v29, s13
	v_mov_b32_e32 v30, s15
	v_mov_b32_e32 v19, 0
	v_mov_b32_e32 v15, 0
	v_mov_b32_e32 v13, 0
	v_mov_b32_e32 v22, v10
.LBB278_7:                              ; =>This Loop Header: Depth=1
                                        ;     Child Loop BB278_8 Depth 2
	v_ashrrev_i32_e32 v23, 31, v22
	v_lshlrev_b64 v[23:24], 2, v[22:23]
	s_mov_b32 s17, 0
	v_add_co_u32_e32 v23, vcc, s10, v23
	v_addc_co_u32_e32 v24, vcc, v28, v24, vcc
	global_load_dword v20, v[23:24], off
	s_waitcnt vmcnt(0)
	v_subrev_u32_e32 v20, s16, v20
	v_mul_lo_u32 v23, v20, 12
.LBB278_8:                              ;   Parent Loop BB278_7 Depth=1
                                        ; =>  This Inner Loop Header: Depth=2
	v_add_u32_e32 v20, s17, v27
	v_mov_b32_e32 v24, v21
	v_lshlrev_b64 v[31:32], 4, v[20:21]
	v_lshlrev_b64 v[33:34], 4, v[23:24]
	v_add3_u32 v20, v26, s17, 4
	v_lshlrev_b64 v[42:43], 4, v[20:21]
	v_add_co_u32_e32 v44, vcc, s12, v31
	v_add_co_u32_e64 v46, s[2:3], s14, v33
	v_addc_co_u32_e32 v45, vcc, v29, v32, vcc
	v_addc_co_u32_e64 v47, vcc, v30, v34, s[2:3]
	v_add_co_u32_e32 v48, vcc, s12, v42
	global_load_dwordx4 v[31:34], v[46:47], off
	global_load_dwordx4 v[35:38], v[44:45], off
	global_load_dwordx4 v[39:42], v[44:45], off offset:16
	v_addc_co_u32_e32 v49, vcc, v29, v43, vcc
	s_add_i32 s17, s17, 8
	s_cmp_eq_u32 s17, 24
	v_add_u32_e32 v23, 4, v23
	s_waitcnt vmcnt(1)
	v_fma_f64 v[18:19], v[35:36], v[31:32], v[18:19]
	v_fma_f64 v[16:17], v[37:38], v[31:32], v[16:17]
	s_waitcnt vmcnt(0)
	v_fma_f64 v[14:15], v[39:40], v[31:32], v[14:15]
	v_fma_f64 v[12:13], v[41:42], v[31:32], v[12:13]
	v_fma_f64 v[50:51], -v[37:38], v[33:34], v[18:19]
	v_fma_f64 v[52:53], v[35:36], v[33:34], v[16:17]
	global_load_dwordx4 v[16:19], v[46:47], off offset:16
	v_fma_f64 v[41:42], -v[41:42], v[33:34], v[14:15]
	v_fma_f64 v[39:40], v[39:40], v[33:34], v[12:13]
	global_load_dwordx4 v[12:15], v[44:45], off offset:32
	global_load_dwordx4 v[31:34], v[44:45], off offset:48
	;; [unrolled: 1-line block ×3, first 2 shown]
	s_waitcnt vmcnt(2)
	v_fma_f64 v[43:44], v[12:13], v[16:17], v[50:51]
	v_fma_f64 v[50:51], v[14:15], v[16:17], v[52:53]
	s_waitcnt vmcnt(1)
	v_fma_f64 v[41:42], v[31:32], v[16:17], v[41:42]
	v_fma_f64 v[16:17], v[33:34], v[16:17], v[39:40]
	v_fma_f64 v[43:44], -v[14:15], v[18:19], v[43:44]
	v_fma_f64 v[50:51], v[12:13], v[18:19], v[50:51]
	global_load_dwordx4 v[12:15], v[48:49], off
	v_fma_f64 v[52:53], -v[33:34], v[18:19], v[41:42]
	v_fma_f64 v[54:55], v[31:32], v[18:19], v[16:17]
	global_load_dwordx4 v[16:19], v[48:49], off offset:16
	global_load_dwordx4 v[31:34], v[46:47], off offset:48
	s_waitcnt vmcnt(2)
	v_fma_f64 v[39:40], v[12:13], v[35:36], v[43:44]
	v_fma_f64 v[41:42], v[14:15], v[35:36], v[50:51]
	v_fma_f64 v[43:44], -v[14:15], v[37:38], v[39:40]
	v_fma_f64 v[45:46], v[12:13], v[37:38], v[41:42]
	global_load_dwordx4 v[12:15], v[48:49], off offset:32
	global_load_dwordx4 v[39:42], v[48:49], off offset:48
	s_waitcnt vmcnt(3)
	v_fma_f64 v[47:48], v[16:17], v[35:36], v[52:53]
	v_fma_f64 v[35:36], v[18:19], v[35:36], v[54:55]
	v_fma_f64 v[18:19], -v[18:19], v[37:38], v[47:48]
	v_fma_f64 v[16:17], v[16:17], v[37:38], v[35:36]
	s_waitcnt vmcnt(1)
	v_fma_f64 v[35:36], v[12:13], v[31:32], v[43:44]
	v_fma_f64 v[37:38], v[14:15], v[31:32], v[45:46]
	s_waitcnt vmcnt(0)
	v_fma_f64 v[43:44], v[39:40], v[31:32], v[18:19]
	v_fma_f64 v[31:32], v[41:42], v[31:32], v[16:17]
	v_fma_f64 v[18:19], -v[14:15], v[33:34], v[35:36]
	v_fma_f64 v[16:17], v[12:13], v[33:34], v[37:38]
	v_fma_f64 v[14:15], -v[41:42], v[33:34], v[43:44]
	v_fma_f64 v[12:13], v[39:40], v[33:34], v[31:32]
	s_cbranch_scc0 .LBB278_8
; %bb.9:                                ;   in Loop: Header=BB278_7 Depth=1
	v_add_u32_e32 v22, 4, v22
	v_cmp_ge_i32_e32 vcc, v22, v25
	v_add_u32_e32 v26, 0x60, v26
	s_or_b64 s[8:9], vcc, s[8:9]
	v_add_u32_e32 v27, 0x60, v27
	s_andn2_b64 exec, exec, s[8:9]
	s_cbranch_execnz .LBB278_7
; %bb.10:
	s_or_b64 exec, exec, s[8:9]
.LBB278_11:
	s_or_b64 exec, exec, s[6:7]
	s_cbranch_execz .LBB278_13
	s_branch .LBB278_20
.LBB278_12:
                                        ; implicit-def: $vgpr16_vgpr17
                                        ; implicit-def: $vgpr18_vgpr19
                                        ; implicit-def: $vgpr14_vgpr15
                                        ; implicit-def: $vgpr12_vgpr13
.LBB278_13:
	v_mov_b32_e32 v16, 0
	v_mov_b32_e32 v18, 0
	;; [unrolled: 1-line block ×8, first 2 shown]
	s_and_saveexec_b64 s[2:3], s[0:1]
	s_cbranch_execz .LBB278_19
; %bb.14:
	v_mul_lo_u32 v11, v11, 24
	v_mul_lo_u32 v22, v10, 24
	s_mul_i32 s0, s16, 24
	v_mov_b32_e32 v16, 0
	v_mad_u32_u24 v11, v0, 24, v11
	v_mov_b32_e32 v18, 0
	v_mov_b32_e32 v14, 0
	;; [unrolled: 1-line block ×4, first 2 shown]
	v_subrev_u32_e32 v23, s0, v11
	s_mov_b64 s[0:1], 0
	v_mov_b32_e32 v24, s11
	v_mov_b32_e32 v21, 0
	;; [unrolled: 1-line block ×7, first 2 shown]
.LBB278_15:                             ; =>This Loop Header: Depth=1
                                        ;     Child Loop BB278_16 Depth 2
	v_ashrrev_i32_e32 v11, 31, v10
	v_lshlrev_b64 v[28:29], 2, v[10:11]
	s_mov_b32 s6, 0
	v_add_co_u32_e32 v28, vcc, s10, v28
	v_addc_co_u32_e32 v29, vcc, v24, v29, vcc
	global_load_dword v11, v[28:29], off
	s_waitcnt vmcnt(0)
	v_subrev_u32_e32 v11, s16, v11
	v_mul_lo_u32 v11, v11, 12
.LBB278_16:                             ;   Parent Loop BB278_15 Depth=1
                                        ; =>  This Inner Loop Header: Depth=2
	v_add_u32_e32 v20, s6, v23
	v_lshlrev_b64 v[28:29], 4, v[20:21]
	v_add_u32_e32 v20, s6, v11
	v_lshlrev_b64 v[32:33], 4, v[20:21]
	v_add_co_u32_e32 v36, vcc, s12, v28
	v_addc_co_u32_e32 v37, vcc, v26, v29, vcc
	v_add_co_u32_e32 v38, vcc, s14, v32
	v_addc_co_u32_e32 v39, vcc, v27, v33, vcc
	global_load_dwordx4 v[28:31], v[36:37], off
	global_load_dwordx4 v[32:35], v[38:39], off
	v_add3_u32 v20, v22, s6, 12
	s_add_i32 s6, s6, 4
	s_cmp_eq_u32 s6, 12
	s_waitcnt vmcnt(0)
	v_fma_f64 v[16:17], v[30:31], v[32:33], v[16:17]
	v_fma_f64 v[18:19], v[28:29], v[32:33], v[18:19]
	v_fma_f64 v[28:29], v[28:29], v[34:35], v[16:17]
	v_lshlrev_b64 v[16:17], 4, v[20:21]
	v_fma_f64 v[30:31], -v[30:31], v[34:35], v[18:19]
	v_add_co_u32_e32 v40, vcc, s12, v16
	v_addc_co_u32_e32 v41, vcc, v26, v17, vcc
	global_load_dwordx4 v[16:19], v[40:41], off
	s_waitcnt vmcnt(0)
	v_fma_f64 v[14:15], v[16:17], v[32:33], v[14:15]
	v_fma_f64 v[12:13], v[18:19], v[32:33], v[12:13]
	v_fma_f64 v[32:33], -v[18:19], v[34:35], v[14:15]
	v_fma_f64 v[34:35], v[16:17], v[34:35], v[12:13]
	global_load_dwordx4 v[12:15], v[36:37], off offset:16
	global_load_dwordx4 v[16:19], v[38:39], off offset:16
	s_waitcnt vmcnt(0)
	v_fma_f64 v[30:31], v[12:13], v[16:17], v[30:31]
	v_fma_f64 v[28:29], v[14:15], v[16:17], v[28:29]
	v_fma_f64 v[30:31], -v[14:15], v[18:19], v[30:31]
	v_fma_f64 v[28:29], v[12:13], v[18:19], v[28:29]
	global_load_dwordx4 v[12:15], v[40:41], off offset:16
	s_waitcnt vmcnt(0)
	v_fma_f64 v[32:33], v[12:13], v[16:17], v[32:33]
	v_fma_f64 v[16:17], v[14:15], v[16:17], v[34:35]
	v_fma_f64 v[32:33], -v[14:15], v[18:19], v[32:33]
	v_fma_f64 v[34:35], v[12:13], v[18:19], v[16:17]
	global_load_dwordx4 v[12:15], v[36:37], off offset:32
	global_load_dwordx4 v[16:19], v[38:39], off offset:32
	s_waitcnt vmcnt(0)
	v_fma_f64 v[30:31], v[12:13], v[16:17], v[30:31]
	v_fma_f64 v[28:29], v[14:15], v[16:17], v[28:29]
	v_fma_f64 v[42:43], -v[14:15], v[18:19], v[30:31]
	v_fma_f64 v[44:45], v[12:13], v[18:19], v[28:29]
	global_load_dwordx4 v[12:15], v[40:41], off offset:32
	s_waitcnt vmcnt(0)
	v_fma_f64 v[28:29], v[12:13], v[16:17], v[32:33]
	v_fma_f64 v[16:17], v[14:15], v[16:17], v[34:35]
	v_fma_f64 v[46:47], -v[14:15], v[18:19], v[28:29]
	v_fma_f64 v[16:17], v[12:13], v[18:19], v[16:17]
	global_load_dwordx4 v[12:15], v[36:37], off offset:48
	global_load_dwordx4 v[28:31], v[38:39], off offset:48
	global_load_dwordx4 v[32:35], v[40:41], off offset:48
	s_waitcnt vmcnt(1)
	v_fma_f64 v[18:19], v[12:13], v[28:29], v[42:43]
	v_fma_f64 v[36:37], v[14:15], v[28:29], v[44:45]
	s_waitcnt vmcnt(0)
	v_fma_f64 v[38:39], v[32:33], v[28:29], v[46:47]
	v_fma_f64 v[28:29], v[34:35], v[28:29], v[16:17]
	v_fma_f64 v[18:19], -v[14:15], v[30:31], v[18:19]
	v_fma_f64 v[16:17], v[12:13], v[30:31], v[36:37]
	v_fma_f64 v[14:15], -v[34:35], v[30:31], v[38:39]
	v_fma_f64 v[12:13], v[32:33], v[30:31], v[28:29]
	s_cbranch_scc0 .LBB278_16
; %bb.17:                               ;   in Loop: Header=BB278_15 Depth=1
	v_add_u32_e32 v10, 4, v10
	v_cmp_ge_i32_e32 vcc, v10, v25
	v_add_u32_e32 v22, 0x60, v22
	s_or_b64 s[0:1], vcc, s[0:1]
	v_add_u32_e32 v23, 0x60, v23
	s_andn2_b64 exec, exec, s[0:1]
	s_cbranch_execnz .LBB278_15
; %bb.18:
	s_or_b64 exec, exec, s[0:1]
.LBB278_19:
	s_or_b64 exec, exec, s[2:3]
.LBB278_20:
	v_mov_b32_dpp v10, v18 row_shr:1 row_mask:0xf bank_mask:0xf
	v_mov_b32_dpp v11, v19 row_shr:1 row_mask:0xf bank_mask:0xf
	v_add_f64 v[10:11], v[18:19], v[10:11]
	v_mov_b32_dpp v18, v16 row_shr:1 row_mask:0xf bank_mask:0xf
	v_mov_b32_dpp v19, v17 row_shr:1 row_mask:0xf bank_mask:0xf
	v_add_f64 v[16:17], v[16:17], v[18:19]
	;; [unrolled: 3-line block ×4, first 2 shown]
	v_mov_b32_dpp v24, v10 row_shr:2 row_mask:0xf bank_mask:0xf
	v_mov_b32_dpp v25, v11 row_shr:2 row_mask:0xf bank_mask:0xf
	;; [unrolled: 1-line block ×6, first 2 shown]
	v_cmp_eq_u32_e32 vcc, 3, v0
	v_mov_b32_dpp v20, v18 row_shr:2 row_mask:0xf bank_mask:0xf
	v_mov_b32_dpp v21, v19 row_shr:2 row_mask:0xf bank_mask:0xf
	s_and_b64 exec, exec, vcc
	s_cbranch_execz .LBB278_25
; %bb.21:
	v_cmp_eq_f64_e32 vcc, 0, v[5:6]
	v_cmp_eq_f64_e64 s[0:1], 0, v[7:8]
	v_add_f64 v[10:11], v[10:11], v[24:25]
	v_add_f64 v[16:17], v[16:17], v[22:23]
	;; [unrolled: 1-line block ×4, first 2 shown]
	s_load_dwordx2 s[2:3], s[4:5], 0x48
	s_and_b64 s[0:1], vcc, s[0:1]
	s_and_saveexec_b64 s[4:5], s[0:1]
	s_xor_b64 s[0:1], exec, s[4:5]
	s_cbranch_execz .LBB278_23
; %bb.22:
	v_mul_f64 v[5:6], v[16:17], -v[3:4]
	v_mul_f64 v[7:8], v[1:2], v[16:17]
	v_mul_f64 v[16:17], v[14:15], -v[3:4]
	v_mul_f64 v[14:15], v[1:2], v[14:15]
	v_lshlrev_b32_e32 v9, 1, v9
	s_waitcnt lgkmcnt(0)
	v_mov_b32_e32 v18, s3
	v_fma_f64 v[5:6], v[1:2], v[10:11], v[5:6]
	v_fma_f64 v[7:8], v[3:4], v[10:11], v[7:8]
	;; [unrolled: 1-line block ×4, first 2 shown]
	v_ashrrev_i32_e32 v10, 31, v9
	v_lshlrev_b64 v[9:10], 4, v[9:10]
                                        ; implicit-def: $vgpr16_vgpr17
                                        ; implicit-def: $vgpr12_vgpr13
                                        ; implicit-def: $vgpr14_vgpr15
	v_add_co_u32_e32 v9, vcc, s2, v9
	v_addc_co_u32_e32 v10, vcc, v18, v10, vcc
	global_store_dwordx4 v[9:10], v[5:8], off
	global_store_dwordx4 v[9:10], v[0:3], off offset:16
                                        ; implicit-def: $vgpr9
                                        ; implicit-def: $vgpr10_vgpr11
                                        ; implicit-def: $vgpr7_vgpr8
                                        ; implicit-def: $vgpr3_vgpr4
.LBB278_23:
	s_andn2_saveexec_b64 s[0:1], s[0:1]
	s_cbranch_execz .LBB278_25
; %bb.24:
	v_lshlrev_b32_e32 v18, 1, v9
	v_ashrrev_i32_e32 v19, 31, v18
	v_lshlrev_b64 v[18:19], 4, v[18:19]
	s_waitcnt lgkmcnt(0)
	v_mov_b32_e32 v0, s3
	v_add_co_u32_e32 v26, vcc, s2, v18
	v_addc_co_u32_e32 v27, vcc, v0, v19, vcc
	global_load_dwordx4 v[18:21], v[26:27], off
	global_load_dwordx4 v[22:25], v[26:27], off offset:16
	v_mul_f64 v[28:29], v[16:17], -v[3:4]
	v_mul_f64 v[16:17], v[1:2], v[16:17]
	v_mul_f64 v[30:31], v[14:15], -v[3:4]
	v_mul_f64 v[14:15], v[1:2], v[14:15]
	v_fma_f64 v[28:29], v[1:2], v[10:11], v[28:29]
	v_fma_f64 v[9:10], v[3:4], v[10:11], v[16:17]
	;; [unrolled: 1-line block ×4, first 2 shown]
	s_waitcnt vmcnt(1)
	v_fma_f64 v[11:12], v[5:6], v[18:19], v[28:29]
	v_fma_f64 v[9:10], v[7:8], v[18:19], v[9:10]
	s_waitcnt vmcnt(0)
	v_fma_f64 v[13:14], v[5:6], v[22:23], v[0:1]
	v_fma_f64 v[15:16], v[7:8], v[22:23], v[2:3]
	v_fma_f64 v[0:1], -v[7:8], v[20:21], v[11:12]
	v_fma_f64 v[2:3], v[5:6], v[20:21], v[9:10]
	v_fma_f64 v[7:8], -v[7:8], v[24:25], v[13:14]
	v_fma_f64 v[9:10], v[5:6], v[24:25], v[15:16]
	global_store_dwordx4 v[26:27], v[0:3], off
	global_store_dwordx4 v[26:27], v[7:10], off offset:16
.LBB278_25:
	s_endpgm
	.section	.rodata,"a",@progbits
	.p2align	6, 0x0
	.amdhsa_kernel _ZN9rocsparseL19gebsrmvn_2xn_kernelILj128ELj12ELj4E21rocsparse_complex_numIdEEEvi20rocsparse_direction_NS_24const_host_device_scalarIT2_EEPKiS8_PKS5_SA_S6_PS5_21rocsparse_index_base_b
		.amdhsa_group_segment_fixed_size 0
		.amdhsa_private_segment_fixed_size 0
		.amdhsa_kernarg_size 88
		.amdhsa_user_sgpr_count 6
		.amdhsa_user_sgpr_private_segment_buffer 1
		.amdhsa_user_sgpr_dispatch_ptr 0
		.amdhsa_user_sgpr_queue_ptr 0
		.amdhsa_user_sgpr_kernarg_segment_ptr 1
		.amdhsa_user_sgpr_dispatch_id 0
		.amdhsa_user_sgpr_flat_scratch_init 0
		.amdhsa_user_sgpr_private_segment_size 0
		.amdhsa_uses_dynamic_stack 0
		.amdhsa_system_sgpr_private_segment_wavefront_offset 0
		.amdhsa_system_sgpr_workgroup_id_x 1
		.amdhsa_system_sgpr_workgroup_id_y 0
		.amdhsa_system_sgpr_workgroup_id_z 0
		.amdhsa_system_sgpr_workgroup_info 0
		.amdhsa_system_vgpr_workitem_id 0
		.amdhsa_next_free_vgpr 56
		.amdhsa_next_free_sgpr 18
		.amdhsa_reserve_vcc 1
		.amdhsa_reserve_flat_scratch 0
		.amdhsa_float_round_mode_32 0
		.amdhsa_float_round_mode_16_64 0
		.amdhsa_float_denorm_mode_32 3
		.amdhsa_float_denorm_mode_16_64 3
		.amdhsa_dx10_clamp 1
		.amdhsa_ieee_mode 1
		.amdhsa_fp16_overflow 0
		.amdhsa_exception_fp_ieee_invalid_op 0
		.amdhsa_exception_fp_denorm_src 0
		.amdhsa_exception_fp_ieee_div_zero 0
		.amdhsa_exception_fp_ieee_overflow 0
		.amdhsa_exception_fp_ieee_underflow 0
		.amdhsa_exception_fp_ieee_inexact 0
		.amdhsa_exception_int_div_zero 0
	.end_amdhsa_kernel
	.section	.text._ZN9rocsparseL19gebsrmvn_2xn_kernelILj128ELj12ELj4E21rocsparse_complex_numIdEEEvi20rocsparse_direction_NS_24const_host_device_scalarIT2_EEPKiS8_PKS5_SA_S6_PS5_21rocsparse_index_base_b,"axG",@progbits,_ZN9rocsparseL19gebsrmvn_2xn_kernelILj128ELj12ELj4E21rocsparse_complex_numIdEEEvi20rocsparse_direction_NS_24const_host_device_scalarIT2_EEPKiS8_PKS5_SA_S6_PS5_21rocsparse_index_base_b,comdat
.Lfunc_end278:
	.size	_ZN9rocsparseL19gebsrmvn_2xn_kernelILj128ELj12ELj4E21rocsparse_complex_numIdEEEvi20rocsparse_direction_NS_24const_host_device_scalarIT2_EEPKiS8_PKS5_SA_S6_PS5_21rocsparse_index_base_b, .Lfunc_end278-_ZN9rocsparseL19gebsrmvn_2xn_kernelILj128ELj12ELj4E21rocsparse_complex_numIdEEEvi20rocsparse_direction_NS_24const_host_device_scalarIT2_EEPKiS8_PKS5_SA_S6_PS5_21rocsparse_index_base_b
                                        ; -- End function
	.set _ZN9rocsparseL19gebsrmvn_2xn_kernelILj128ELj12ELj4E21rocsparse_complex_numIdEEEvi20rocsparse_direction_NS_24const_host_device_scalarIT2_EEPKiS8_PKS5_SA_S6_PS5_21rocsparse_index_base_b.num_vgpr, 56
	.set _ZN9rocsparseL19gebsrmvn_2xn_kernelILj128ELj12ELj4E21rocsparse_complex_numIdEEEvi20rocsparse_direction_NS_24const_host_device_scalarIT2_EEPKiS8_PKS5_SA_S6_PS5_21rocsparse_index_base_b.num_agpr, 0
	.set _ZN9rocsparseL19gebsrmvn_2xn_kernelILj128ELj12ELj4E21rocsparse_complex_numIdEEEvi20rocsparse_direction_NS_24const_host_device_scalarIT2_EEPKiS8_PKS5_SA_S6_PS5_21rocsparse_index_base_b.numbered_sgpr, 18
	.set _ZN9rocsparseL19gebsrmvn_2xn_kernelILj128ELj12ELj4E21rocsparse_complex_numIdEEEvi20rocsparse_direction_NS_24const_host_device_scalarIT2_EEPKiS8_PKS5_SA_S6_PS5_21rocsparse_index_base_b.num_named_barrier, 0
	.set _ZN9rocsparseL19gebsrmvn_2xn_kernelILj128ELj12ELj4E21rocsparse_complex_numIdEEEvi20rocsparse_direction_NS_24const_host_device_scalarIT2_EEPKiS8_PKS5_SA_S6_PS5_21rocsparse_index_base_b.private_seg_size, 0
	.set _ZN9rocsparseL19gebsrmvn_2xn_kernelILj128ELj12ELj4E21rocsparse_complex_numIdEEEvi20rocsparse_direction_NS_24const_host_device_scalarIT2_EEPKiS8_PKS5_SA_S6_PS5_21rocsparse_index_base_b.uses_vcc, 1
	.set _ZN9rocsparseL19gebsrmvn_2xn_kernelILj128ELj12ELj4E21rocsparse_complex_numIdEEEvi20rocsparse_direction_NS_24const_host_device_scalarIT2_EEPKiS8_PKS5_SA_S6_PS5_21rocsparse_index_base_b.uses_flat_scratch, 0
	.set _ZN9rocsparseL19gebsrmvn_2xn_kernelILj128ELj12ELj4E21rocsparse_complex_numIdEEEvi20rocsparse_direction_NS_24const_host_device_scalarIT2_EEPKiS8_PKS5_SA_S6_PS5_21rocsparse_index_base_b.has_dyn_sized_stack, 0
	.set _ZN9rocsparseL19gebsrmvn_2xn_kernelILj128ELj12ELj4E21rocsparse_complex_numIdEEEvi20rocsparse_direction_NS_24const_host_device_scalarIT2_EEPKiS8_PKS5_SA_S6_PS5_21rocsparse_index_base_b.has_recursion, 0
	.set _ZN9rocsparseL19gebsrmvn_2xn_kernelILj128ELj12ELj4E21rocsparse_complex_numIdEEEvi20rocsparse_direction_NS_24const_host_device_scalarIT2_EEPKiS8_PKS5_SA_S6_PS5_21rocsparse_index_base_b.has_indirect_call, 0
	.section	.AMDGPU.csdata,"",@progbits
; Kernel info:
; codeLenInByte = 2216
; TotalNumSgprs: 22
; NumVgprs: 56
; ScratchSize: 0
; MemoryBound: 1
; FloatMode: 240
; IeeeMode: 1
; LDSByteSize: 0 bytes/workgroup (compile time only)
; SGPRBlocks: 2
; VGPRBlocks: 13
; NumSGPRsForWavesPerEU: 22
; NumVGPRsForWavesPerEU: 56
; Occupancy: 4
; WaveLimiterHint : 1
; COMPUTE_PGM_RSRC2:SCRATCH_EN: 0
; COMPUTE_PGM_RSRC2:USER_SGPR: 6
; COMPUTE_PGM_RSRC2:TRAP_HANDLER: 0
; COMPUTE_PGM_RSRC2:TGID_X_EN: 1
; COMPUTE_PGM_RSRC2:TGID_Y_EN: 0
; COMPUTE_PGM_RSRC2:TGID_Z_EN: 0
; COMPUTE_PGM_RSRC2:TIDIG_COMP_CNT: 0
	.section	.text._ZN9rocsparseL19gebsrmvn_2xn_kernelILj128ELj12ELj8E21rocsparse_complex_numIdEEEvi20rocsparse_direction_NS_24const_host_device_scalarIT2_EEPKiS8_PKS5_SA_S6_PS5_21rocsparse_index_base_b,"axG",@progbits,_ZN9rocsparseL19gebsrmvn_2xn_kernelILj128ELj12ELj8E21rocsparse_complex_numIdEEEvi20rocsparse_direction_NS_24const_host_device_scalarIT2_EEPKiS8_PKS5_SA_S6_PS5_21rocsparse_index_base_b,comdat
	.globl	_ZN9rocsparseL19gebsrmvn_2xn_kernelILj128ELj12ELj8E21rocsparse_complex_numIdEEEvi20rocsparse_direction_NS_24const_host_device_scalarIT2_EEPKiS8_PKS5_SA_S6_PS5_21rocsparse_index_base_b ; -- Begin function _ZN9rocsparseL19gebsrmvn_2xn_kernelILj128ELj12ELj8E21rocsparse_complex_numIdEEEvi20rocsparse_direction_NS_24const_host_device_scalarIT2_EEPKiS8_PKS5_SA_S6_PS5_21rocsparse_index_base_b
	.p2align	8
	.type	_ZN9rocsparseL19gebsrmvn_2xn_kernelILj128ELj12ELj8E21rocsparse_complex_numIdEEEvi20rocsparse_direction_NS_24const_host_device_scalarIT2_EEPKiS8_PKS5_SA_S6_PS5_21rocsparse_index_base_b,@function
_ZN9rocsparseL19gebsrmvn_2xn_kernelILj128ELj12ELj8E21rocsparse_complex_numIdEEEvi20rocsparse_direction_NS_24const_host_device_scalarIT2_EEPKiS8_PKS5_SA_S6_PS5_21rocsparse_index_base_b: ; @_ZN9rocsparseL19gebsrmvn_2xn_kernelILj128ELj12ELj8E21rocsparse_complex_numIdEEEvi20rocsparse_direction_NS_24const_host_device_scalarIT2_EEPKiS8_PKS5_SA_S6_PS5_21rocsparse_index_base_b
; %bb.0:
	s_load_dwordx2 s[0:1], s[4:5], 0x8
	s_load_dwordx2 s[2:3], s[4:5], 0x38
	;; [unrolled: 1-line block ×3, first 2 shown]
	s_add_u32 s7, s4, 8
	s_addc_u32 s8, s5, 0
	s_add_u32 s9, s4, 56
	s_addc_u32 s10, s5, 0
	s_waitcnt lgkmcnt(0)
	s_bitcmp1_b32 s17, 0
	s_cselect_b32 s1, s8, s1
	s_cselect_b32 s0, s7, s0
	v_mov_b32_e32 v1, s0
	v_mov_b32_e32 v2, s1
	flat_load_dwordx4 v[1:4], v[1:2]
	s_cselect_b32 s0, s10, s3
	s_cselect_b32 s1, s9, s2
	v_mov_b32_e32 v5, s1
	v_mov_b32_e32 v6, s0
	flat_load_dwordx4 v[5:8], v[5:6]
	s_waitcnt vmcnt(0) lgkmcnt(0)
	v_cmp_eq_f64_e32 vcc, 0, v[1:2]
	v_cmp_eq_f64_e64 s[0:1], 0, v[3:4]
	s_and_b64 s[8:9], vcc, s[0:1]
	s_mov_b64 s[0:1], -1
	s_and_saveexec_b64 s[2:3], s[8:9]
	s_cbranch_execz .LBB279_2
; %bb.1:
	v_cmp_neq_f64_e32 vcc, 1.0, v[5:6]
	v_cmp_neq_f64_e64 s[0:1], 0, v[7:8]
	s_or_b64 s[0:1], vcc, s[0:1]
	s_orn2_b64 s[0:1], s[0:1], exec
.LBB279_2:
	s_or_b64 exec, exec, s[2:3]
	s_and_saveexec_b64 s[2:3], s[0:1]
	s_cbranch_execz .LBB279_25
; %bb.3:
	s_load_dwordx2 s[0:1], s[4:5], 0x0
	v_lshrrev_b32_e32 v9, 3, v0
	v_lshl_or_b32 v9, s6, 4, v9
	s_waitcnt lgkmcnt(0)
	v_cmp_gt_i32_e32 vcc, s0, v9
	s_and_b64 exec, exec, vcc
	s_cbranch_execz .LBB279_25
; %bb.4:
	s_load_dwordx8 s[8:15], s[4:5], 0x18
	v_ashrrev_i32_e32 v10, 31, v9
	v_lshlrev_b64 v[10:11], 2, v[9:10]
	v_and_b32_e32 v0, 7, v0
	s_cmp_lg_u32 s1, 0
	s_waitcnt lgkmcnt(0)
	v_mov_b32_e32 v12, s9
	v_add_co_u32_e32 v10, vcc, s8, v10
	v_addc_co_u32_e32 v11, vcc, v12, v11, vcc
	global_load_dwordx2 v[11:12], v[10:11], off
	s_waitcnt vmcnt(0)
	v_subrev_u32_e32 v10, s16, v11
	v_subrev_u32_e32 v25, s16, v12
	v_add_u32_e32 v10, v10, v0
	v_cmp_lt_i32_e64 s[0:1], v10, v25
	s_cbranch_scc0 .LBB279_12
; %bb.5:
	v_mov_b32_e32 v16, 0
	v_mov_b32_e32 v18, 0
	;; [unrolled: 1-line block ×8, first 2 shown]
	s_and_saveexec_b64 s[6:7], s[0:1]
	s_cbranch_execz .LBB279_11
; %bb.6:
	v_mul_lo_u32 v12, v11, 24
	v_mul_lo_u32 v26, v10, 24
	s_mul_i32 s2, s16, 24
	v_mov_b32_e32 v16, 0
	v_mad_u32_u24 v12, v0, 24, v12
	v_subrev_u32_e32 v27, s2, v12
	v_mov_b32_e32 v18, 0
	v_mov_b32_e32 v14, 0
	;; [unrolled: 1-line block ×4, first 2 shown]
	s_mov_b64 s[8:9], 0
	v_mov_b32_e32 v28, s11
	v_mov_b32_e32 v21, 0
	;; [unrolled: 1-line block ×8, first 2 shown]
.LBB279_7:                              ; =>This Loop Header: Depth=1
                                        ;     Child Loop BB279_8 Depth 2
	v_ashrrev_i32_e32 v23, 31, v22
	v_lshlrev_b64 v[23:24], 2, v[22:23]
	s_mov_b32 s17, 0
	v_add_co_u32_e32 v23, vcc, s10, v23
	v_addc_co_u32_e32 v24, vcc, v28, v24, vcc
	global_load_dword v20, v[23:24], off
	s_waitcnt vmcnt(0)
	v_subrev_u32_e32 v20, s16, v20
	v_mul_lo_u32 v23, v20, 12
.LBB279_8:                              ;   Parent Loop BB279_7 Depth=1
                                        ; =>  This Inner Loop Header: Depth=2
	v_add_u32_e32 v20, s17, v27
	v_mov_b32_e32 v24, v21
	v_lshlrev_b64 v[31:32], 4, v[20:21]
	v_lshlrev_b64 v[33:34], 4, v[23:24]
	v_add3_u32 v20, v26, s17, 4
	v_lshlrev_b64 v[42:43], 4, v[20:21]
	v_add_co_u32_e32 v44, vcc, s12, v31
	v_add_co_u32_e64 v46, s[2:3], s14, v33
	v_addc_co_u32_e32 v45, vcc, v29, v32, vcc
	v_addc_co_u32_e64 v47, vcc, v30, v34, s[2:3]
	v_add_co_u32_e32 v48, vcc, s12, v42
	global_load_dwordx4 v[31:34], v[46:47], off
	global_load_dwordx4 v[35:38], v[44:45], off
	global_load_dwordx4 v[39:42], v[44:45], off offset:16
	v_addc_co_u32_e32 v49, vcc, v29, v43, vcc
	s_add_i32 s17, s17, 8
	s_cmp_eq_u32 s17, 24
	v_add_u32_e32 v23, 4, v23
	s_waitcnt vmcnt(1)
	v_fma_f64 v[18:19], v[35:36], v[31:32], v[18:19]
	v_fma_f64 v[16:17], v[37:38], v[31:32], v[16:17]
	s_waitcnt vmcnt(0)
	v_fma_f64 v[14:15], v[39:40], v[31:32], v[14:15]
	v_fma_f64 v[12:13], v[41:42], v[31:32], v[12:13]
	v_fma_f64 v[50:51], -v[37:38], v[33:34], v[18:19]
	v_fma_f64 v[52:53], v[35:36], v[33:34], v[16:17]
	global_load_dwordx4 v[16:19], v[46:47], off offset:16
	v_fma_f64 v[41:42], -v[41:42], v[33:34], v[14:15]
	v_fma_f64 v[39:40], v[39:40], v[33:34], v[12:13]
	global_load_dwordx4 v[12:15], v[44:45], off offset:32
	global_load_dwordx4 v[31:34], v[44:45], off offset:48
	;; [unrolled: 1-line block ×3, first 2 shown]
	s_waitcnt vmcnt(2)
	v_fma_f64 v[43:44], v[12:13], v[16:17], v[50:51]
	v_fma_f64 v[50:51], v[14:15], v[16:17], v[52:53]
	s_waitcnt vmcnt(1)
	v_fma_f64 v[41:42], v[31:32], v[16:17], v[41:42]
	v_fma_f64 v[16:17], v[33:34], v[16:17], v[39:40]
	v_fma_f64 v[43:44], -v[14:15], v[18:19], v[43:44]
	v_fma_f64 v[50:51], v[12:13], v[18:19], v[50:51]
	global_load_dwordx4 v[12:15], v[48:49], off
	v_fma_f64 v[52:53], -v[33:34], v[18:19], v[41:42]
	v_fma_f64 v[54:55], v[31:32], v[18:19], v[16:17]
	global_load_dwordx4 v[16:19], v[48:49], off offset:16
	global_load_dwordx4 v[31:34], v[46:47], off offset:48
	s_waitcnt vmcnt(2)
	v_fma_f64 v[39:40], v[12:13], v[35:36], v[43:44]
	v_fma_f64 v[41:42], v[14:15], v[35:36], v[50:51]
	v_fma_f64 v[43:44], -v[14:15], v[37:38], v[39:40]
	v_fma_f64 v[45:46], v[12:13], v[37:38], v[41:42]
	global_load_dwordx4 v[12:15], v[48:49], off offset:32
	global_load_dwordx4 v[39:42], v[48:49], off offset:48
	s_waitcnt vmcnt(3)
	v_fma_f64 v[47:48], v[16:17], v[35:36], v[52:53]
	v_fma_f64 v[35:36], v[18:19], v[35:36], v[54:55]
	v_fma_f64 v[18:19], -v[18:19], v[37:38], v[47:48]
	v_fma_f64 v[16:17], v[16:17], v[37:38], v[35:36]
	s_waitcnt vmcnt(1)
	v_fma_f64 v[35:36], v[12:13], v[31:32], v[43:44]
	v_fma_f64 v[37:38], v[14:15], v[31:32], v[45:46]
	s_waitcnt vmcnt(0)
	v_fma_f64 v[43:44], v[39:40], v[31:32], v[18:19]
	v_fma_f64 v[31:32], v[41:42], v[31:32], v[16:17]
	v_fma_f64 v[18:19], -v[14:15], v[33:34], v[35:36]
	v_fma_f64 v[16:17], v[12:13], v[33:34], v[37:38]
	v_fma_f64 v[14:15], -v[41:42], v[33:34], v[43:44]
	v_fma_f64 v[12:13], v[39:40], v[33:34], v[31:32]
	s_cbranch_scc0 .LBB279_8
; %bb.9:                                ;   in Loop: Header=BB279_7 Depth=1
	v_add_u32_e32 v22, 8, v22
	v_cmp_ge_i32_e32 vcc, v22, v25
	v_add_u32_e32 v26, 0xc0, v26
	s_or_b64 s[8:9], vcc, s[8:9]
	v_add_u32_e32 v27, 0xc0, v27
	s_andn2_b64 exec, exec, s[8:9]
	s_cbranch_execnz .LBB279_7
; %bb.10:
	s_or_b64 exec, exec, s[8:9]
.LBB279_11:
	s_or_b64 exec, exec, s[6:7]
	s_cbranch_execz .LBB279_13
	s_branch .LBB279_20
.LBB279_12:
                                        ; implicit-def: $vgpr16_vgpr17
                                        ; implicit-def: $vgpr18_vgpr19
                                        ; implicit-def: $vgpr14_vgpr15
                                        ; implicit-def: $vgpr12_vgpr13
.LBB279_13:
	v_mov_b32_e32 v16, 0
	v_mov_b32_e32 v18, 0
	;; [unrolled: 1-line block ×8, first 2 shown]
	s_and_saveexec_b64 s[2:3], s[0:1]
	s_cbranch_execz .LBB279_19
; %bb.14:
	v_mul_lo_u32 v11, v11, 24
	v_mul_lo_u32 v22, v10, 24
	s_mul_i32 s0, s16, 24
	v_mov_b32_e32 v16, 0
	v_mad_u32_u24 v11, v0, 24, v11
	v_mov_b32_e32 v18, 0
	v_mov_b32_e32 v14, 0
	;; [unrolled: 1-line block ×4, first 2 shown]
	v_subrev_u32_e32 v23, s0, v11
	s_mov_b64 s[0:1], 0
	v_mov_b32_e32 v24, s11
	v_mov_b32_e32 v21, 0
	;; [unrolled: 1-line block ×7, first 2 shown]
.LBB279_15:                             ; =>This Loop Header: Depth=1
                                        ;     Child Loop BB279_16 Depth 2
	v_ashrrev_i32_e32 v11, 31, v10
	v_lshlrev_b64 v[28:29], 2, v[10:11]
	s_mov_b32 s6, 0
	v_add_co_u32_e32 v28, vcc, s10, v28
	v_addc_co_u32_e32 v29, vcc, v24, v29, vcc
	global_load_dword v11, v[28:29], off
	s_waitcnt vmcnt(0)
	v_subrev_u32_e32 v11, s16, v11
	v_mul_lo_u32 v11, v11, 12
.LBB279_16:                             ;   Parent Loop BB279_15 Depth=1
                                        ; =>  This Inner Loop Header: Depth=2
	v_add_u32_e32 v20, s6, v23
	v_lshlrev_b64 v[28:29], 4, v[20:21]
	v_add_u32_e32 v20, s6, v11
	v_lshlrev_b64 v[32:33], 4, v[20:21]
	v_add_co_u32_e32 v36, vcc, s12, v28
	v_addc_co_u32_e32 v37, vcc, v26, v29, vcc
	v_add_co_u32_e32 v38, vcc, s14, v32
	v_addc_co_u32_e32 v39, vcc, v27, v33, vcc
	global_load_dwordx4 v[28:31], v[36:37], off
	global_load_dwordx4 v[32:35], v[38:39], off
	v_add3_u32 v20, v22, s6, 12
	s_add_i32 s6, s6, 4
	s_cmp_eq_u32 s6, 12
	s_waitcnt vmcnt(0)
	v_fma_f64 v[16:17], v[30:31], v[32:33], v[16:17]
	v_fma_f64 v[18:19], v[28:29], v[32:33], v[18:19]
	;; [unrolled: 1-line block ×3, first 2 shown]
	v_lshlrev_b64 v[16:17], 4, v[20:21]
	v_fma_f64 v[30:31], -v[30:31], v[34:35], v[18:19]
	v_add_co_u32_e32 v40, vcc, s12, v16
	v_addc_co_u32_e32 v41, vcc, v26, v17, vcc
	global_load_dwordx4 v[16:19], v[40:41], off
	s_waitcnt vmcnt(0)
	v_fma_f64 v[14:15], v[16:17], v[32:33], v[14:15]
	v_fma_f64 v[12:13], v[18:19], v[32:33], v[12:13]
	v_fma_f64 v[32:33], -v[18:19], v[34:35], v[14:15]
	v_fma_f64 v[34:35], v[16:17], v[34:35], v[12:13]
	global_load_dwordx4 v[12:15], v[36:37], off offset:16
	global_load_dwordx4 v[16:19], v[38:39], off offset:16
	s_waitcnt vmcnt(0)
	v_fma_f64 v[30:31], v[12:13], v[16:17], v[30:31]
	v_fma_f64 v[28:29], v[14:15], v[16:17], v[28:29]
	v_fma_f64 v[30:31], -v[14:15], v[18:19], v[30:31]
	v_fma_f64 v[28:29], v[12:13], v[18:19], v[28:29]
	global_load_dwordx4 v[12:15], v[40:41], off offset:16
	s_waitcnt vmcnt(0)
	v_fma_f64 v[32:33], v[12:13], v[16:17], v[32:33]
	v_fma_f64 v[16:17], v[14:15], v[16:17], v[34:35]
	v_fma_f64 v[32:33], -v[14:15], v[18:19], v[32:33]
	v_fma_f64 v[34:35], v[12:13], v[18:19], v[16:17]
	global_load_dwordx4 v[12:15], v[36:37], off offset:32
	global_load_dwordx4 v[16:19], v[38:39], off offset:32
	s_waitcnt vmcnt(0)
	v_fma_f64 v[30:31], v[12:13], v[16:17], v[30:31]
	v_fma_f64 v[28:29], v[14:15], v[16:17], v[28:29]
	v_fma_f64 v[42:43], -v[14:15], v[18:19], v[30:31]
	v_fma_f64 v[44:45], v[12:13], v[18:19], v[28:29]
	global_load_dwordx4 v[12:15], v[40:41], off offset:32
	s_waitcnt vmcnt(0)
	v_fma_f64 v[28:29], v[12:13], v[16:17], v[32:33]
	v_fma_f64 v[16:17], v[14:15], v[16:17], v[34:35]
	v_fma_f64 v[46:47], -v[14:15], v[18:19], v[28:29]
	v_fma_f64 v[16:17], v[12:13], v[18:19], v[16:17]
	global_load_dwordx4 v[12:15], v[36:37], off offset:48
	global_load_dwordx4 v[28:31], v[38:39], off offset:48
	;; [unrolled: 1-line block ×3, first 2 shown]
	s_waitcnt vmcnt(1)
	v_fma_f64 v[18:19], v[12:13], v[28:29], v[42:43]
	v_fma_f64 v[36:37], v[14:15], v[28:29], v[44:45]
	s_waitcnt vmcnt(0)
	v_fma_f64 v[38:39], v[32:33], v[28:29], v[46:47]
	v_fma_f64 v[28:29], v[34:35], v[28:29], v[16:17]
	v_fma_f64 v[18:19], -v[14:15], v[30:31], v[18:19]
	v_fma_f64 v[16:17], v[12:13], v[30:31], v[36:37]
	v_fma_f64 v[14:15], -v[34:35], v[30:31], v[38:39]
	v_fma_f64 v[12:13], v[32:33], v[30:31], v[28:29]
	s_cbranch_scc0 .LBB279_16
; %bb.17:                               ;   in Loop: Header=BB279_15 Depth=1
	v_add_u32_e32 v10, 8, v10
	v_cmp_ge_i32_e32 vcc, v10, v25
	v_add_u32_e32 v22, 0xc0, v22
	s_or_b64 s[0:1], vcc, s[0:1]
	v_add_u32_e32 v23, 0xc0, v23
	s_andn2_b64 exec, exec, s[0:1]
	s_cbranch_execnz .LBB279_15
; %bb.18:
	s_or_b64 exec, exec, s[0:1]
.LBB279_19:
	s_or_b64 exec, exec, s[2:3]
.LBB279_20:
	v_mov_b32_dpp v10, v18 row_shr:1 row_mask:0xf bank_mask:0xf
	v_mov_b32_dpp v11, v19 row_shr:1 row_mask:0xf bank_mask:0xf
	v_add_f64 v[10:11], v[18:19], v[10:11]
	v_mov_b32_dpp v18, v16 row_shr:1 row_mask:0xf bank_mask:0xf
	v_mov_b32_dpp v19, v17 row_shr:1 row_mask:0xf bank_mask:0xf
	;; [unrolled: 1-line block ×4, first 2 shown]
	v_add_f64 v[16:17], v[16:17], v[18:19]
	v_add_f64 v[14:15], v[14:15], v[20:21]
	v_mov_b32_dpp v20, v12 row_shr:1 row_mask:0xf bank_mask:0xf
	v_mov_b32_dpp v21, v13 row_shr:1 row_mask:0xf bank_mask:0xf
	v_add_f64 v[20:21], v[12:13], v[20:21]
	v_mov_b32_dpp v18, v10 row_shr:2 row_mask:0xf bank_mask:0xf
	v_mov_b32_dpp v19, v11 row_shr:2 row_mask:0xf bank_mask:0xf
	;; [unrolled: 3-line block ×6, first 2 shown]
	v_mov_b32_dpp v16, v12 row_shr:4 row_mask:0xf bank_mask:0xe
	v_mov_b32_dpp v17, v13 row_shr:4 row_mask:0xf bank_mask:0xe
	;; [unrolled: 1-line block ×4, first 2 shown]
	v_cmp_eq_u32_e32 vcc, 7, v0
	v_mov_b32_dpp v20, v14 row_shr:4 row_mask:0xf bank_mask:0xe
	v_mov_b32_dpp v21, v15 row_shr:4 row_mask:0xf bank_mask:0xe
	s_and_b64 exec, exec, vcc
	s_cbranch_execz .LBB279_25
; %bb.21:
	v_cmp_eq_f64_e32 vcc, 0, v[5:6]
	v_cmp_eq_f64_e64 s[0:1], 0, v[7:8]
	v_add_f64 v[10:11], v[10:11], v[24:25]
	v_add_f64 v[16:17], v[12:13], v[16:17]
	;; [unrolled: 1-line block ×4, first 2 shown]
	s_load_dwordx2 s[2:3], s[4:5], 0x48
	s_and_b64 s[0:1], vcc, s[0:1]
	s_and_saveexec_b64 s[4:5], s[0:1]
	s_xor_b64 s[0:1], exec, s[4:5]
	s_cbranch_execz .LBB279_23
; %bb.22:
	v_mul_f64 v[5:6], v[16:17], -v[3:4]
	v_mul_f64 v[7:8], v[1:2], v[16:17]
	v_mul_f64 v[16:17], v[14:15], -v[3:4]
	v_mul_f64 v[14:15], v[1:2], v[14:15]
	v_lshlrev_b32_e32 v9, 1, v9
	s_waitcnt lgkmcnt(0)
	v_mov_b32_e32 v18, s3
	v_fma_f64 v[5:6], v[1:2], v[10:11], v[5:6]
	v_fma_f64 v[7:8], v[3:4], v[10:11], v[7:8]
	;; [unrolled: 1-line block ×4, first 2 shown]
	v_ashrrev_i32_e32 v10, 31, v9
	v_lshlrev_b64 v[9:10], 4, v[9:10]
                                        ; implicit-def: $vgpr16_vgpr17
                                        ; implicit-def: $vgpr12_vgpr13
                                        ; implicit-def: $vgpr14_vgpr15
	v_add_co_u32_e32 v9, vcc, s2, v9
	v_addc_co_u32_e32 v10, vcc, v18, v10, vcc
	global_store_dwordx4 v[9:10], v[5:8], off
	global_store_dwordx4 v[9:10], v[0:3], off offset:16
                                        ; implicit-def: $vgpr9
                                        ; implicit-def: $vgpr10_vgpr11
                                        ; implicit-def: $vgpr7_vgpr8
                                        ; implicit-def: $vgpr3_vgpr4
.LBB279_23:
	s_andn2_saveexec_b64 s[0:1], s[0:1]
	s_cbranch_execz .LBB279_25
; %bb.24:
	v_lshlrev_b32_e32 v18, 1, v9
	v_ashrrev_i32_e32 v19, 31, v18
	v_lshlrev_b64 v[18:19], 4, v[18:19]
	s_waitcnt lgkmcnt(0)
	v_mov_b32_e32 v0, s3
	v_add_co_u32_e32 v26, vcc, s2, v18
	v_addc_co_u32_e32 v27, vcc, v0, v19, vcc
	global_load_dwordx4 v[18:21], v[26:27], off
	global_load_dwordx4 v[22:25], v[26:27], off offset:16
	v_mul_f64 v[28:29], v[16:17], -v[3:4]
	v_mul_f64 v[16:17], v[1:2], v[16:17]
	v_mul_f64 v[30:31], v[14:15], -v[3:4]
	v_mul_f64 v[14:15], v[1:2], v[14:15]
	v_fma_f64 v[28:29], v[1:2], v[10:11], v[28:29]
	v_fma_f64 v[9:10], v[3:4], v[10:11], v[16:17]
	;; [unrolled: 1-line block ×4, first 2 shown]
	s_waitcnt vmcnt(1)
	v_fma_f64 v[11:12], v[5:6], v[18:19], v[28:29]
	v_fma_f64 v[9:10], v[7:8], v[18:19], v[9:10]
	s_waitcnt vmcnt(0)
	v_fma_f64 v[13:14], v[5:6], v[22:23], v[0:1]
	v_fma_f64 v[15:16], v[7:8], v[22:23], v[2:3]
	v_fma_f64 v[0:1], -v[7:8], v[20:21], v[11:12]
	v_fma_f64 v[2:3], v[5:6], v[20:21], v[9:10]
	v_fma_f64 v[7:8], -v[7:8], v[24:25], v[13:14]
	v_fma_f64 v[9:10], v[5:6], v[24:25], v[15:16]
	global_store_dwordx4 v[26:27], v[0:3], off
	global_store_dwordx4 v[26:27], v[7:10], off offset:16
.LBB279_25:
	s_endpgm
	.section	.rodata,"a",@progbits
	.p2align	6, 0x0
	.amdhsa_kernel _ZN9rocsparseL19gebsrmvn_2xn_kernelILj128ELj12ELj8E21rocsparse_complex_numIdEEEvi20rocsparse_direction_NS_24const_host_device_scalarIT2_EEPKiS8_PKS5_SA_S6_PS5_21rocsparse_index_base_b
		.amdhsa_group_segment_fixed_size 0
		.amdhsa_private_segment_fixed_size 0
		.amdhsa_kernarg_size 88
		.amdhsa_user_sgpr_count 6
		.amdhsa_user_sgpr_private_segment_buffer 1
		.amdhsa_user_sgpr_dispatch_ptr 0
		.amdhsa_user_sgpr_queue_ptr 0
		.amdhsa_user_sgpr_kernarg_segment_ptr 1
		.amdhsa_user_sgpr_dispatch_id 0
		.amdhsa_user_sgpr_flat_scratch_init 0
		.amdhsa_user_sgpr_private_segment_size 0
		.amdhsa_uses_dynamic_stack 0
		.amdhsa_system_sgpr_private_segment_wavefront_offset 0
		.amdhsa_system_sgpr_workgroup_id_x 1
		.amdhsa_system_sgpr_workgroup_id_y 0
		.amdhsa_system_sgpr_workgroup_id_z 0
		.amdhsa_system_sgpr_workgroup_info 0
		.amdhsa_system_vgpr_workitem_id 0
		.amdhsa_next_free_vgpr 56
		.amdhsa_next_free_sgpr 18
		.amdhsa_reserve_vcc 1
		.amdhsa_reserve_flat_scratch 0
		.amdhsa_float_round_mode_32 0
		.amdhsa_float_round_mode_16_64 0
		.amdhsa_float_denorm_mode_32 3
		.amdhsa_float_denorm_mode_16_64 3
		.amdhsa_dx10_clamp 1
		.amdhsa_ieee_mode 1
		.amdhsa_fp16_overflow 0
		.amdhsa_exception_fp_ieee_invalid_op 0
		.amdhsa_exception_fp_denorm_src 0
		.amdhsa_exception_fp_ieee_div_zero 0
		.amdhsa_exception_fp_ieee_overflow 0
		.amdhsa_exception_fp_ieee_underflow 0
		.amdhsa_exception_fp_ieee_inexact 0
		.amdhsa_exception_int_div_zero 0
	.end_amdhsa_kernel
	.section	.text._ZN9rocsparseL19gebsrmvn_2xn_kernelILj128ELj12ELj8E21rocsparse_complex_numIdEEEvi20rocsparse_direction_NS_24const_host_device_scalarIT2_EEPKiS8_PKS5_SA_S6_PS5_21rocsparse_index_base_b,"axG",@progbits,_ZN9rocsparseL19gebsrmvn_2xn_kernelILj128ELj12ELj8E21rocsparse_complex_numIdEEEvi20rocsparse_direction_NS_24const_host_device_scalarIT2_EEPKiS8_PKS5_SA_S6_PS5_21rocsparse_index_base_b,comdat
.Lfunc_end279:
	.size	_ZN9rocsparseL19gebsrmvn_2xn_kernelILj128ELj12ELj8E21rocsparse_complex_numIdEEEvi20rocsparse_direction_NS_24const_host_device_scalarIT2_EEPKiS8_PKS5_SA_S6_PS5_21rocsparse_index_base_b, .Lfunc_end279-_ZN9rocsparseL19gebsrmvn_2xn_kernelILj128ELj12ELj8E21rocsparse_complex_numIdEEEvi20rocsparse_direction_NS_24const_host_device_scalarIT2_EEPKiS8_PKS5_SA_S6_PS5_21rocsparse_index_base_b
                                        ; -- End function
	.set _ZN9rocsparseL19gebsrmvn_2xn_kernelILj128ELj12ELj8E21rocsparse_complex_numIdEEEvi20rocsparse_direction_NS_24const_host_device_scalarIT2_EEPKiS8_PKS5_SA_S6_PS5_21rocsparse_index_base_b.num_vgpr, 56
	.set _ZN9rocsparseL19gebsrmvn_2xn_kernelILj128ELj12ELj8E21rocsparse_complex_numIdEEEvi20rocsparse_direction_NS_24const_host_device_scalarIT2_EEPKiS8_PKS5_SA_S6_PS5_21rocsparse_index_base_b.num_agpr, 0
	.set _ZN9rocsparseL19gebsrmvn_2xn_kernelILj128ELj12ELj8E21rocsparse_complex_numIdEEEvi20rocsparse_direction_NS_24const_host_device_scalarIT2_EEPKiS8_PKS5_SA_S6_PS5_21rocsparse_index_base_b.numbered_sgpr, 18
	.set _ZN9rocsparseL19gebsrmvn_2xn_kernelILj128ELj12ELj8E21rocsparse_complex_numIdEEEvi20rocsparse_direction_NS_24const_host_device_scalarIT2_EEPKiS8_PKS5_SA_S6_PS5_21rocsparse_index_base_b.num_named_barrier, 0
	.set _ZN9rocsparseL19gebsrmvn_2xn_kernelILj128ELj12ELj8E21rocsparse_complex_numIdEEEvi20rocsparse_direction_NS_24const_host_device_scalarIT2_EEPKiS8_PKS5_SA_S6_PS5_21rocsparse_index_base_b.private_seg_size, 0
	.set _ZN9rocsparseL19gebsrmvn_2xn_kernelILj128ELj12ELj8E21rocsparse_complex_numIdEEEvi20rocsparse_direction_NS_24const_host_device_scalarIT2_EEPKiS8_PKS5_SA_S6_PS5_21rocsparse_index_base_b.uses_vcc, 1
	.set _ZN9rocsparseL19gebsrmvn_2xn_kernelILj128ELj12ELj8E21rocsparse_complex_numIdEEEvi20rocsparse_direction_NS_24const_host_device_scalarIT2_EEPKiS8_PKS5_SA_S6_PS5_21rocsparse_index_base_b.uses_flat_scratch, 0
	.set _ZN9rocsparseL19gebsrmvn_2xn_kernelILj128ELj12ELj8E21rocsparse_complex_numIdEEEvi20rocsparse_direction_NS_24const_host_device_scalarIT2_EEPKiS8_PKS5_SA_S6_PS5_21rocsparse_index_base_b.has_dyn_sized_stack, 0
	.set _ZN9rocsparseL19gebsrmvn_2xn_kernelILj128ELj12ELj8E21rocsparse_complex_numIdEEEvi20rocsparse_direction_NS_24const_host_device_scalarIT2_EEPKiS8_PKS5_SA_S6_PS5_21rocsparse_index_base_b.has_recursion, 0
	.set _ZN9rocsparseL19gebsrmvn_2xn_kernelILj128ELj12ELj8E21rocsparse_complex_numIdEEEvi20rocsparse_direction_NS_24const_host_device_scalarIT2_EEPKiS8_PKS5_SA_S6_PS5_21rocsparse_index_base_b.has_indirect_call, 0
	.section	.AMDGPU.csdata,"",@progbits
; Kernel info:
; codeLenInByte = 2312
; TotalNumSgprs: 22
; NumVgprs: 56
; ScratchSize: 0
; MemoryBound: 1
; FloatMode: 240
; IeeeMode: 1
; LDSByteSize: 0 bytes/workgroup (compile time only)
; SGPRBlocks: 2
; VGPRBlocks: 13
; NumSGPRsForWavesPerEU: 22
; NumVGPRsForWavesPerEU: 56
; Occupancy: 4
; WaveLimiterHint : 1
; COMPUTE_PGM_RSRC2:SCRATCH_EN: 0
; COMPUTE_PGM_RSRC2:USER_SGPR: 6
; COMPUTE_PGM_RSRC2:TRAP_HANDLER: 0
; COMPUTE_PGM_RSRC2:TGID_X_EN: 1
; COMPUTE_PGM_RSRC2:TGID_Y_EN: 0
; COMPUTE_PGM_RSRC2:TGID_Z_EN: 0
; COMPUTE_PGM_RSRC2:TIDIG_COMP_CNT: 0
	.section	.text._ZN9rocsparseL19gebsrmvn_2xn_kernelILj128ELj12ELj16E21rocsparse_complex_numIdEEEvi20rocsparse_direction_NS_24const_host_device_scalarIT2_EEPKiS8_PKS5_SA_S6_PS5_21rocsparse_index_base_b,"axG",@progbits,_ZN9rocsparseL19gebsrmvn_2xn_kernelILj128ELj12ELj16E21rocsparse_complex_numIdEEEvi20rocsparse_direction_NS_24const_host_device_scalarIT2_EEPKiS8_PKS5_SA_S6_PS5_21rocsparse_index_base_b,comdat
	.globl	_ZN9rocsparseL19gebsrmvn_2xn_kernelILj128ELj12ELj16E21rocsparse_complex_numIdEEEvi20rocsparse_direction_NS_24const_host_device_scalarIT2_EEPKiS8_PKS5_SA_S6_PS5_21rocsparse_index_base_b ; -- Begin function _ZN9rocsparseL19gebsrmvn_2xn_kernelILj128ELj12ELj16E21rocsparse_complex_numIdEEEvi20rocsparse_direction_NS_24const_host_device_scalarIT2_EEPKiS8_PKS5_SA_S6_PS5_21rocsparse_index_base_b
	.p2align	8
	.type	_ZN9rocsparseL19gebsrmvn_2xn_kernelILj128ELj12ELj16E21rocsparse_complex_numIdEEEvi20rocsparse_direction_NS_24const_host_device_scalarIT2_EEPKiS8_PKS5_SA_S6_PS5_21rocsparse_index_base_b,@function
_ZN9rocsparseL19gebsrmvn_2xn_kernelILj128ELj12ELj16E21rocsparse_complex_numIdEEEvi20rocsparse_direction_NS_24const_host_device_scalarIT2_EEPKiS8_PKS5_SA_S6_PS5_21rocsparse_index_base_b: ; @_ZN9rocsparseL19gebsrmvn_2xn_kernelILj128ELj12ELj16E21rocsparse_complex_numIdEEEvi20rocsparse_direction_NS_24const_host_device_scalarIT2_EEPKiS8_PKS5_SA_S6_PS5_21rocsparse_index_base_b
; %bb.0:
	s_load_dwordx2 s[0:1], s[4:5], 0x8
	s_load_dwordx2 s[2:3], s[4:5], 0x38
	;; [unrolled: 1-line block ×3, first 2 shown]
	s_add_u32 s7, s4, 8
	s_addc_u32 s8, s5, 0
	s_add_u32 s9, s4, 56
	s_addc_u32 s10, s5, 0
	s_waitcnt lgkmcnt(0)
	s_bitcmp1_b32 s17, 0
	s_cselect_b32 s1, s8, s1
	s_cselect_b32 s0, s7, s0
	v_mov_b32_e32 v1, s0
	v_mov_b32_e32 v2, s1
	flat_load_dwordx4 v[1:4], v[1:2]
	s_cselect_b32 s0, s10, s3
	s_cselect_b32 s1, s9, s2
	v_mov_b32_e32 v5, s1
	v_mov_b32_e32 v6, s0
	flat_load_dwordx4 v[5:8], v[5:6]
	s_waitcnt vmcnt(0) lgkmcnt(0)
	v_cmp_eq_f64_e32 vcc, 0, v[1:2]
	v_cmp_eq_f64_e64 s[0:1], 0, v[3:4]
	s_and_b64 s[8:9], vcc, s[0:1]
	s_mov_b64 s[0:1], -1
	s_and_saveexec_b64 s[2:3], s[8:9]
	s_cbranch_execz .LBB280_2
; %bb.1:
	v_cmp_neq_f64_e32 vcc, 1.0, v[5:6]
	v_cmp_neq_f64_e64 s[0:1], 0, v[7:8]
	s_or_b64 s[0:1], vcc, s[0:1]
	s_orn2_b64 s[0:1], s[0:1], exec
.LBB280_2:
	s_or_b64 exec, exec, s[2:3]
	s_and_saveexec_b64 s[2:3], s[0:1]
	s_cbranch_execz .LBB280_25
; %bb.3:
	s_load_dwordx2 s[0:1], s[4:5], 0x0
	v_lshrrev_b32_e32 v9, 4, v0
	v_lshl_or_b32 v9, s6, 3, v9
	s_waitcnt lgkmcnt(0)
	v_cmp_gt_i32_e32 vcc, s0, v9
	s_and_b64 exec, exec, vcc
	s_cbranch_execz .LBB280_25
; %bb.4:
	s_load_dwordx8 s[8:15], s[4:5], 0x18
	v_ashrrev_i32_e32 v10, 31, v9
	v_lshlrev_b64 v[10:11], 2, v[9:10]
	v_and_b32_e32 v0, 15, v0
	s_cmp_lg_u32 s1, 0
	s_waitcnt lgkmcnt(0)
	v_mov_b32_e32 v12, s9
	v_add_co_u32_e32 v10, vcc, s8, v10
	v_addc_co_u32_e32 v11, vcc, v12, v11, vcc
	global_load_dwordx2 v[11:12], v[10:11], off
	s_waitcnt vmcnt(0)
	v_subrev_u32_e32 v10, s16, v11
	v_subrev_u32_e32 v25, s16, v12
	v_add_u32_e32 v10, v10, v0
	v_cmp_lt_i32_e64 s[0:1], v10, v25
	s_cbranch_scc0 .LBB280_12
; %bb.5:
	v_mov_b32_e32 v16, 0
	v_mov_b32_e32 v18, 0
	;; [unrolled: 1-line block ×8, first 2 shown]
	s_and_saveexec_b64 s[6:7], s[0:1]
	s_cbranch_execz .LBB280_11
; %bb.6:
	v_mul_lo_u32 v12, v11, 24
	v_mul_lo_u32 v26, v10, 24
	s_mul_i32 s2, s16, 24
	v_mov_b32_e32 v16, 0
	v_mad_u32_u24 v12, v0, 24, v12
	v_subrev_u32_e32 v27, s2, v12
	v_mov_b32_e32 v18, 0
	v_mov_b32_e32 v12, 0
	;; [unrolled: 1-line block ×4, first 2 shown]
	s_mov_b64 s[8:9], 0
	v_mov_b32_e32 v28, s11
	v_mov_b32_e32 v21, 0
	;; [unrolled: 1-line block ×8, first 2 shown]
.LBB280_7:                              ; =>This Loop Header: Depth=1
                                        ;     Child Loop BB280_8 Depth 2
	v_ashrrev_i32_e32 v23, 31, v22
	v_lshlrev_b64 v[23:24], 2, v[22:23]
	s_mov_b32 s17, 0
	v_add_co_u32_e32 v23, vcc, s10, v23
	v_addc_co_u32_e32 v24, vcc, v28, v24, vcc
	global_load_dword v20, v[23:24], off
	s_waitcnt vmcnt(0)
	v_subrev_u32_e32 v20, s16, v20
	v_mul_lo_u32 v23, v20, 12
.LBB280_8:                              ;   Parent Loop BB280_7 Depth=1
                                        ; =>  This Inner Loop Header: Depth=2
	v_add_u32_e32 v20, s17, v27
	v_mov_b32_e32 v24, v21
	v_lshlrev_b64 v[31:32], 4, v[20:21]
	v_lshlrev_b64 v[33:34], 4, v[23:24]
	v_add3_u32 v20, v26, s17, 4
	v_lshlrev_b64 v[42:43], 4, v[20:21]
	v_add_co_u32_e32 v44, vcc, s12, v31
	v_add_co_u32_e64 v46, s[2:3], s14, v33
	v_addc_co_u32_e32 v45, vcc, v29, v32, vcc
	v_addc_co_u32_e64 v47, vcc, v30, v34, s[2:3]
	v_add_co_u32_e32 v48, vcc, s12, v42
	global_load_dwordx4 v[31:34], v[46:47], off
	global_load_dwordx4 v[35:38], v[44:45], off
	global_load_dwordx4 v[39:42], v[44:45], off offset:16
	v_addc_co_u32_e32 v49, vcc, v29, v43, vcc
	s_add_i32 s17, s17, 8
	s_cmp_eq_u32 s17, 24
	v_add_u32_e32 v23, 4, v23
	s_waitcnt vmcnt(1)
	v_fma_f64 v[18:19], v[35:36], v[31:32], v[18:19]
	v_fma_f64 v[16:17], v[37:38], v[31:32], v[16:17]
	s_waitcnt vmcnt(0)
	v_fma_f64 v[12:13], v[39:40], v[31:32], v[12:13]
	v_fma_f64 v[14:15], v[41:42], v[31:32], v[14:15]
	v_fma_f64 v[50:51], -v[37:38], v[33:34], v[18:19]
	v_fma_f64 v[52:53], v[35:36], v[33:34], v[16:17]
	global_load_dwordx4 v[16:19], v[46:47], off offset:16
	v_fma_f64 v[41:42], -v[41:42], v[33:34], v[12:13]
	v_fma_f64 v[39:40], v[39:40], v[33:34], v[14:15]
	global_load_dwordx4 v[12:15], v[44:45], off offset:32
	global_load_dwordx4 v[31:34], v[44:45], off offset:48
	;; [unrolled: 1-line block ×3, first 2 shown]
	s_waitcnt vmcnt(2)
	v_fma_f64 v[43:44], v[12:13], v[16:17], v[50:51]
	v_fma_f64 v[50:51], v[14:15], v[16:17], v[52:53]
	s_waitcnt vmcnt(1)
	v_fma_f64 v[41:42], v[31:32], v[16:17], v[41:42]
	v_fma_f64 v[16:17], v[33:34], v[16:17], v[39:40]
	v_fma_f64 v[43:44], -v[14:15], v[18:19], v[43:44]
	v_fma_f64 v[50:51], v[12:13], v[18:19], v[50:51]
	global_load_dwordx4 v[12:15], v[48:49], off
	v_fma_f64 v[52:53], -v[33:34], v[18:19], v[41:42]
	v_fma_f64 v[54:55], v[31:32], v[18:19], v[16:17]
	global_load_dwordx4 v[16:19], v[48:49], off offset:16
	global_load_dwordx4 v[31:34], v[46:47], off offset:48
	s_waitcnt vmcnt(2)
	v_fma_f64 v[39:40], v[12:13], v[35:36], v[43:44]
	v_fma_f64 v[41:42], v[14:15], v[35:36], v[50:51]
	v_fma_f64 v[43:44], -v[14:15], v[37:38], v[39:40]
	v_fma_f64 v[45:46], v[12:13], v[37:38], v[41:42]
	global_load_dwordx4 v[12:15], v[48:49], off offset:32
	global_load_dwordx4 v[39:42], v[48:49], off offset:48
	s_waitcnt vmcnt(3)
	v_fma_f64 v[47:48], v[16:17], v[35:36], v[52:53]
	v_fma_f64 v[35:36], v[18:19], v[35:36], v[54:55]
	v_fma_f64 v[18:19], -v[18:19], v[37:38], v[47:48]
	v_fma_f64 v[16:17], v[16:17], v[37:38], v[35:36]
	s_waitcnt vmcnt(1)
	v_fma_f64 v[35:36], v[12:13], v[31:32], v[43:44]
	v_fma_f64 v[37:38], v[14:15], v[31:32], v[45:46]
	s_waitcnt vmcnt(0)
	v_fma_f64 v[43:44], v[39:40], v[31:32], v[18:19]
	v_fma_f64 v[31:32], v[41:42], v[31:32], v[16:17]
	v_fma_f64 v[18:19], -v[14:15], v[33:34], v[35:36]
	v_fma_f64 v[16:17], v[12:13], v[33:34], v[37:38]
	v_fma_f64 v[12:13], -v[41:42], v[33:34], v[43:44]
	v_fma_f64 v[14:15], v[39:40], v[33:34], v[31:32]
	s_cbranch_scc0 .LBB280_8
; %bb.9:                                ;   in Loop: Header=BB280_7 Depth=1
	v_add_u32_e32 v22, 16, v22
	v_cmp_ge_i32_e32 vcc, v22, v25
	v_add_u32_e32 v26, 0x180, v26
	s_or_b64 s[8:9], vcc, s[8:9]
	v_add_u32_e32 v27, 0x180, v27
	s_andn2_b64 exec, exec, s[8:9]
	s_cbranch_execnz .LBB280_7
; %bb.10:
	s_or_b64 exec, exec, s[8:9]
.LBB280_11:
	s_or_b64 exec, exec, s[6:7]
	s_cbranch_execz .LBB280_13
	s_branch .LBB280_20
.LBB280_12:
                                        ; implicit-def: $vgpr16_vgpr17
                                        ; implicit-def: $vgpr18_vgpr19
                                        ; implicit-def: $vgpr12_vgpr13
                                        ; implicit-def: $vgpr14_vgpr15
.LBB280_13:
	v_mov_b32_e32 v16, 0
	v_mov_b32_e32 v18, 0
	;; [unrolled: 1-line block ×8, first 2 shown]
	s_and_saveexec_b64 s[2:3], s[0:1]
	s_cbranch_execz .LBB280_19
; %bb.14:
	v_mul_lo_u32 v11, v11, 24
	v_mul_lo_u32 v22, v10, 24
	s_mul_i32 s0, s16, 24
	v_mov_b32_e32 v16, 0
	v_mad_u32_u24 v11, v0, 24, v11
	v_mov_b32_e32 v18, 0
	v_mov_b32_e32 v12, 0
	;; [unrolled: 1-line block ×4, first 2 shown]
	v_subrev_u32_e32 v23, s0, v11
	s_mov_b64 s[0:1], 0
	v_mov_b32_e32 v24, s11
	v_mov_b32_e32 v21, 0
	;; [unrolled: 1-line block ×7, first 2 shown]
.LBB280_15:                             ; =>This Loop Header: Depth=1
                                        ;     Child Loop BB280_16 Depth 2
	v_ashrrev_i32_e32 v11, 31, v10
	v_lshlrev_b64 v[28:29], 2, v[10:11]
	s_mov_b32 s6, 0
	v_add_co_u32_e32 v28, vcc, s10, v28
	v_addc_co_u32_e32 v29, vcc, v24, v29, vcc
	global_load_dword v11, v[28:29], off
	s_waitcnt vmcnt(0)
	v_subrev_u32_e32 v11, s16, v11
	v_mul_lo_u32 v11, v11, 12
.LBB280_16:                             ;   Parent Loop BB280_15 Depth=1
                                        ; =>  This Inner Loop Header: Depth=2
	v_add_u32_e32 v20, s6, v23
	v_lshlrev_b64 v[28:29], 4, v[20:21]
	v_add_u32_e32 v20, s6, v11
	v_lshlrev_b64 v[32:33], 4, v[20:21]
	v_add_co_u32_e32 v36, vcc, s12, v28
	v_addc_co_u32_e32 v37, vcc, v26, v29, vcc
	v_add_co_u32_e32 v38, vcc, s14, v32
	v_addc_co_u32_e32 v39, vcc, v27, v33, vcc
	global_load_dwordx4 v[28:31], v[36:37], off
	global_load_dwordx4 v[32:35], v[38:39], off
	v_add3_u32 v20, v22, s6, 12
	s_add_i32 s6, s6, 4
	s_cmp_eq_u32 s6, 12
	s_waitcnt vmcnt(0)
	v_fma_f64 v[16:17], v[30:31], v[32:33], v[16:17]
	v_fma_f64 v[18:19], v[28:29], v[32:33], v[18:19]
	;; [unrolled: 1-line block ×3, first 2 shown]
	v_lshlrev_b64 v[16:17], 4, v[20:21]
	v_fma_f64 v[30:31], -v[30:31], v[34:35], v[18:19]
	v_add_co_u32_e32 v40, vcc, s12, v16
	v_addc_co_u32_e32 v41, vcc, v26, v17, vcc
	global_load_dwordx4 v[16:19], v[40:41], off
	s_waitcnt vmcnt(0)
	v_fma_f64 v[12:13], v[16:17], v[32:33], v[12:13]
	v_fma_f64 v[14:15], v[18:19], v[32:33], v[14:15]
	v_fma_f64 v[32:33], -v[18:19], v[34:35], v[12:13]
	v_fma_f64 v[34:35], v[16:17], v[34:35], v[14:15]
	global_load_dwordx4 v[12:15], v[36:37], off offset:16
	global_load_dwordx4 v[16:19], v[38:39], off offset:16
	s_waitcnt vmcnt(0)
	v_fma_f64 v[30:31], v[12:13], v[16:17], v[30:31]
	v_fma_f64 v[28:29], v[14:15], v[16:17], v[28:29]
	v_fma_f64 v[30:31], -v[14:15], v[18:19], v[30:31]
	v_fma_f64 v[28:29], v[12:13], v[18:19], v[28:29]
	global_load_dwordx4 v[12:15], v[40:41], off offset:16
	s_waitcnt vmcnt(0)
	v_fma_f64 v[32:33], v[12:13], v[16:17], v[32:33]
	v_fma_f64 v[16:17], v[14:15], v[16:17], v[34:35]
	v_fma_f64 v[32:33], -v[14:15], v[18:19], v[32:33]
	v_fma_f64 v[34:35], v[12:13], v[18:19], v[16:17]
	global_load_dwordx4 v[12:15], v[36:37], off offset:32
	global_load_dwordx4 v[16:19], v[38:39], off offset:32
	s_waitcnt vmcnt(0)
	v_fma_f64 v[30:31], v[12:13], v[16:17], v[30:31]
	v_fma_f64 v[28:29], v[14:15], v[16:17], v[28:29]
	v_fma_f64 v[42:43], -v[14:15], v[18:19], v[30:31]
	v_fma_f64 v[44:45], v[12:13], v[18:19], v[28:29]
	global_load_dwordx4 v[12:15], v[40:41], off offset:32
	s_waitcnt vmcnt(0)
	v_fma_f64 v[28:29], v[12:13], v[16:17], v[32:33]
	v_fma_f64 v[16:17], v[14:15], v[16:17], v[34:35]
	v_fma_f64 v[46:47], -v[14:15], v[18:19], v[28:29]
	v_fma_f64 v[16:17], v[12:13], v[18:19], v[16:17]
	global_load_dwordx4 v[12:15], v[36:37], off offset:48
	global_load_dwordx4 v[28:31], v[38:39], off offset:48
	;; [unrolled: 1-line block ×3, first 2 shown]
	s_waitcnt vmcnt(1)
	v_fma_f64 v[18:19], v[12:13], v[28:29], v[42:43]
	v_fma_f64 v[36:37], v[14:15], v[28:29], v[44:45]
	s_waitcnt vmcnt(0)
	v_fma_f64 v[38:39], v[32:33], v[28:29], v[46:47]
	v_fma_f64 v[28:29], v[34:35], v[28:29], v[16:17]
	v_fma_f64 v[18:19], -v[14:15], v[30:31], v[18:19]
	v_fma_f64 v[16:17], v[12:13], v[30:31], v[36:37]
	v_fma_f64 v[12:13], -v[34:35], v[30:31], v[38:39]
	v_fma_f64 v[14:15], v[32:33], v[30:31], v[28:29]
	s_cbranch_scc0 .LBB280_16
; %bb.17:                               ;   in Loop: Header=BB280_15 Depth=1
	v_add_u32_e32 v10, 16, v10
	v_cmp_ge_i32_e32 vcc, v10, v25
	v_add_u32_e32 v22, 0x180, v22
	s_or_b64 s[0:1], vcc, s[0:1]
	v_add_u32_e32 v23, 0x180, v23
	s_andn2_b64 exec, exec, s[0:1]
	s_cbranch_execnz .LBB280_15
; %bb.18:
	s_or_b64 exec, exec, s[0:1]
.LBB280_19:
	s_or_b64 exec, exec, s[2:3]
.LBB280_20:
	v_mov_b32_dpp v10, v18 row_shr:1 row_mask:0xf bank_mask:0xf
	v_mov_b32_dpp v11, v19 row_shr:1 row_mask:0xf bank_mask:0xf
	v_add_f64 v[10:11], v[18:19], v[10:11]
	v_mov_b32_dpp v18, v16 row_shr:1 row_mask:0xf bank_mask:0xf
	v_mov_b32_dpp v19, v17 row_shr:1 row_mask:0xf bank_mask:0xf
	;; [unrolled: 1-line block ×3, first 2 shown]
	v_add_f64 v[16:17], v[16:17], v[18:19]
	v_mov_b32_dpp v21, v13 row_shr:1 row_mask:0xf bank_mask:0xf
	v_add_f64 v[12:13], v[12:13], v[20:21]
	v_cmp_eq_u32_e32 vcc, 15, v0
	v_mov_b32_dpp v18, v10 row_shr:2 row_mask:0xf bank_mask:0xf
	v_mov_b32_dpp v19, v11 row_shr:2 row_mask:0xf bank_mask:0xf
	v_add_f64 v[10:11], v[10:11], v[18:19]
	v_mov_b32_dpp v18, v14 row_shr:1 row_mask:0xf bank_mask:0xf
	v_mov_b32_dpp v19, v15 row_shr:1 row_mask:0xf bank_mask:0xf
	v_add_f64 v[14:15], v[14:15], v[18:19]
	v_mov_b32_dpp v18, v16 row_shr:2 row_mask:0xf bank_mask:0xf
	v_mov_b32_dpp v19, v17 row_shr:2 row_mask:0xf bank_mask:0xf
	v_add_f64 v[16:17], v[16:17], v[18:19]
	v_mov_b32_dpp v18, v12 row_shr:2 row_mask:0xf bank_mask:0xf
	v_mov_b32_dpp v19, v13 row_shr:2 row_mask:0xf bank_mask:0xf
	v_add_f64 v[18:19], v[12:13], v[18:19]
	v_mov_b32_dpp v20, v10 row_shr:4 row_mask:0xf bank_mask:0xe
	v_mov_b32_dpp v12, v14 row_shr:2 row_mask:0xf bank_mask:0xf
	;; [unrolled: 1-line block ×3, first 2 shown]
	v_add_f64 v[14:15], v[14:15], v[12:13]
	v_mov_b32_dpp v12, v16 row_shr:4 row_mask:0xf bank_mask:0xe
	v_mov_b32_dpp v13, v17 row_shr:4 row_mask:0xf bank_mask:0xe
	v_add_f64 v[12:13], v[16:17], v[12:13]
	v_mov_b32_dpp v16, v18 row_shr:4 row_mask:0xf bank_mask:0xe
	v_mov_b32_dpp v17, v19 row_shr:4 row_mask:0xf bank_mask:0xe
	;; [unrolled: 1-line block ×3, first 2 shown]
	v_add_f64 v[18:19], v[18:19], v[16:17]
	v_mov_b32_dpp v16, v14 row_shr:4 row_mask:0xf bank_mask:0xe
	v_mov_b32_dpp v17, v15 row_shr:4 row_mask:0xf bank_mask:0xe
	v_add_f64 v[10:11], v[10:11], v[20:21]
	v_add_f64 v[14:15], v[14:15], v[16:17]
	v_mov_b32_dpp v16, v12 row_shr:8 row_mask:0xf bank_mask:0xc
	v_mov_b32_dpp v17, v13 row_shr:8 row_mask:0xf bank_mask:0xc
	;; [unrolled: 1-line block ×8, first 2 shown]
	s_and_b64 exec, exec, vcc
	s_cbranch_execz .LBB280_25
; %bb.21:
	v_cmp_eq_f64_e32 vcc, 0, v[5:6]
	v_cmp_eq_f64_e64 s[0:1], 0, v[7:8]
	v_add_f64 v[10:11], v[10:11], v[24:25]
	v_add_f64 v[16:17], v[12:13], v[16:17]
	;; [unrolled: 1-line block ×4, first 2 shown]
	s_load_dwordx2 s[2:3], s[4:5], 0x48
	s_and_b64 s[0:1], vcc, s[0:1]
	s_and_saveexec_b64 s[4:5], s[0:1]
	s_xor_b64 s[0:1], exec, s[4:5]
	s_cbranch_execz .LBB280_23
; %bb.22:
	v_mul_f64 v[5:6], v[16:17], -v[3:4]
	v_mul_f64 v[7:8], v[1:2], v[16:17]
	v_mul_f64 v[16:17], v[14:15], -v[3:4]
	v_mul_f64 v[14:15], v[1:2], v[14:15]
	v_lshlrev_b32_e32 v9, 1, v9
	s_waitcnt lgkmcnt(0)
	v_mov_b32_e32 v18, s3
	v_fma_f64 v[5:6], v[1:2], v[10:11], v[5:6]
	v_fma_f64 v[7:8], v[3:4], v[10:11], v[7:8]
	;; [unrolled: 1-line block ×4, first 2 shown]
	v_ashrrev_i32_e32 v10, 31, v9
	v_lshlrev_b64 v[9:10], 4, v[9:10]
                                        ; implicit-def: $vgpr16_vgpr17
                                        ; implicit-def: $vgpr12_vgpr13
                                        ; implicit-def: $vgpr14_vgpr15
	v_add_co_u32_e32 v9, vcc, s2, v9
	v_addc_co_u32_e32 v10, vcc, v18, v10, vcc
	global_store_dwordx4 v[9:10], v[5:8], off
	global_store_dwordx4 v[9:10], v[0:3], off offset:16
                                        ; implicit-def: $vgpr9
                                        ; implicit-def: $vgpr10_vgpr11
                                        ; implicit-def: $vgpr7_vgpr8
                                        ; implicit-def: $vgpr3_vgpr4
.LBB280_23:
	s_andn2_saveexec_b64 s[0:1], s[0:1]
	s_cbranch_execz .LBB280_25
; %bb.24:
	v_lshlrev_b32_e32 v18, 1, v9
	v_ashrrev_i32_e32 v19, 31, v18
	v_lshlrev_b64 v[18:19], 4, v[18:19]
	s_waitcnt lgkmcnt(0)
	v_mov_b32_e32 v0, s3
	v_add_co_u32_e32 v26, vcc, s2, v18
	v_addc_co_u32_e32 v27, vcc, v0, v19, vcc
	global_load_dwordx4 v[18:21], v[26:27], off
	global_load_dwordx4 v[22:25], v[26:27], off offset:16
	v_mul_f64 v[28:29], v[16:17], -v[3:4]
	v_mul_f64 v[16:17], v[1:2], v[16:17]
	v_mul_f64 v[30:31], v[14:15], -v[3:4]
	v_mul_f64 v[14:15], v[1:2], v[14:15]
	v_fma_f64 v[28:29], v[1:2], v[10:11], v[28:29]
	v_fma_f64 v[9:10], v[3:4], v[10:11], v[16:17]
	;; [unrolled: 1-line block ×4, first 2 shown]
	s_waitcnt vmcnt(1)
	v_fma_f64 v[11:12], v[5:6], v[18:19], v[28:29]
	v_fma_f64 v[9:10], v[7:8], v[18:19], v[9:10]
	s_waitcnt vmcnt(0)
	v_fma_f64 v[13:14], v[5:6], v[22:23], v[0:1]
	v_fma_f64 v[15:16], v[7:8], v[22:23], v[2:3]
	v_fma_f64 v[0:1], -v[7:8], v[20:21], v[11:12]
	v_fma_f64 v[2:3], v[5:6], v[20:21], v[9:10]
	v_fma_f64 v[7:8], -v[7:8], v[24:25], v[13:14]
	v_fma_f64 v[9:10], v[5:6], v[24:25], v[15:16]
	global_store_dwordx4 v[26:27], v[0:3], off
	global_store_dwordx4 v[26:27], v[7:10], off offset:16
.LBB280_25:
	s_endpgm
	.section	.rodata,"a",@progbits
	.p2align	6, 0x0
	.amdhsa_kernel _ZN9rocsparseL19gebsrmvn_2xn_kernelILj128ELj12ELj16E21rocsparse_complex_numIdEEEvi20rocsparse_direction_NS_24const_host_device_scalarIT2_EEPKiS8_PKS5_SA_S6_PS5_21rocsparse_index_base_b
		.amdhsa_group_segment_fixed_size 0
		.amdhsa_private_segment_fixed_size 0
		.amdhsa_kernarg_size 88
		.amdhsa_user_sgpr_count 6
		.amdhsa_user_sgpr_private_segment_buffer 1
		.amdhsa_user_sgpr_dispatch_ptr 0
		.amdhsa_user_sgpr_queue_ptr 0
		.amdhsa_user_sgpr_kernarg_segment_ptr 1
		.amdhsa_user_sgpr_dispatch_id 0
		.amdhsa_user_sgpr_flat_scratch_init 0
		.amdhsa_user_sgpr_private_segment_size 0
		.amdhsa_uses_dynamic_stack 0
		.amdhsa_system_sgpr_private_segment_wavefront_offset 0
		.amdhsa_system_sgpr_workgroup_id_x 1
		.amdhsa_system_sgpr_workgroup_id_y 0
		.amdhsa_system_sgpr_workgroup_id_z 0
		.amdhsa_system_sgpr_workgroup_info 0
		.amdhsa_system_vgpr_workitem_id 0
		.amdhsa_next_free_vgpr 56
		.amdhsa_next_free_sgpr 18
		.amdhsa_reserve_vcc 1
		.amdhsa_reserve_flat_scratch 0
		.amdhsa_float_round_mode_32 0
		.amdhsa_float_round_mode_16_64 0
		.amdhsa_float_denorm_mode_32 3
		.amdhsa_float_denorm_mode_16_64 3
		.amdhsa_dx10_clamp 1
		.amdhsa_ieee_mode 1
		.amdhsa_fp16_overflow 0
		.amdhsa_exception_fp_ieee_invalid_op 0
		.amdhsa_exception_fp_denorm_src 0
		.amdhsa_exception_fp_ieee_div_zero 0
		.amdhsa_exception_fp_ieee_overflow 0
		.amdhsa_exception_fp_ieee_underflow 0
		.amdhsa_exception_fp_ieee_inexact 0
		.amdhsa_exception_int_div_zero 0
	.end_amdhsa_kernel
	.section	.text._ZN9rocsparseL19gebsrmvn_2xn_kernelILj128ELj12ELj16E21rocsparse_complex_numIdEEEvi20rocsparse_direction_NS_24const_host_device_scalarIT2_EEPKiS8_PKS5_SA_S6_PS5_21rocsparse_index_base_b,"axG",@progbits,_ZN9rocsparseL19gebsrmvn_2xn_kernelILj128ELj12ELj16E21rocsparse_complex_numIdEEEvi20rocsparse_direction_NS_24const_host_device_scalarIT2_EEPKiS8_PKS5_SA_S6_PS5_21rocsparse_index_base_b,comdat
.Lfunc_end280:
	.size	_ZN9rocsparseL19gebsrmvn_2xn_kernelILj128ELj12ELj16E21rocsparse_complex_numIdEEEvi20rocsparse_direction_NS_24const_host_device_scalarIT2_EEPKiS8_PKS5_SA_S6_PS5_21rocsparse_index_base_b, .Lfunc_end280-_ZN9rocsparseL19gebsrmvn_2xn_kernelILj128ELj12ELj16E21rocsparse_complex_numIdEEEvi20rocsparse_direction_NS_24const_host_device_scalarIT2_EEPKiS8_PKS5_SA_S6_PS5_21rocsparse_index_base_b
                                        ; -- End function
	.set _ZN9rocsparseL19gebsrmvn_2xn_kernelILj128ELj12ELj16E21rocsparse_complex_numIdEEEvi20rocsparse_direction_NS_24const_host_device_scalarIT2_EEPKiS8_PKS5_SA_S6_PS5_21rocsparse_index_base_b.num_vgpr, 56
	.set _ZN9rocsparseL19gebsrmvn_2xn_kernelILj128ELj12ELj16E21rocsparse_complex_numIdEEEvi20rocsparse_direction_NS_24const_host_device_scalarIT2_EEPKiS8_PKS5_SA_S6_PS5_21rocsparse_index_base_b.num_agpr, 0
	.set _ZN9rocsparseL19gebsrmvn_2xn_kernelILj128ELj12ELj16E21rocsparse_complex_numIdEEEvi20rocsparse_direction_NS_24const_host_device_scalarIT2_EEPKiS8_PKS5_SA_S6_PS5_21rocsparse_index_base_b.numbered_sgpr, 18
	.set _ZN9rocsparseL19gebsrmvn_2xn_kernelILj128ELj12ELj16E21rocsparse_complex_numIdEEEvi20rocsparse_direction_NS_24const_host_device_scalarIT2_EEPKiS8_PKS5_SA_S6_PS5_21rocsparse_index_base_b.num_named_barrier, 0
	.set _ZN9rocsparseL19gebsrmvn_2xn_kernelILj128ELj12ELj16E21rocsparse_complex_numIdEEEvi20rocsparse_direction_NS_24const_host_device_scalarIT2_EEPKiS8_PKS5_SA_S6_PS5_21rocsparse_index_base_b.private_seg_size, 0
	.set _ZN9rocsparseL19gebsrmvn_2xn_kernelILj128ELj12ELj16E21rocsparse_complex_numIdEEEvi20rocsparse_direction_NS_24const_host_device_scalarIT2_EEPKiS8_PKS5_SA_S6_PS5_21rocsparse_index_base_b.uses_vcc, 1
	.set _ZN9rocsparseL19gebsrmvn_2xn_kernelILj128ELj12ELj16E21rocsparse_complex_numIdEEEvi20rocsparse_direction_NS_24const_host_device_scalarIT2_EEPKiS8_PKS5_SA_S6_PS5_21rocsparse_index_base_b.uses_flat_scratch, 0
	.set _ZN9rocsparseL19gebsrmvn_2xn_kernelILj128ELj12ELj16E21rocsparse_complex_numIdEEEvi20rocsparse_direction_NS_24const_host_device_scalarIT2_EEPKiS8_PKS5_SA_S6_PS5_21rocsparse_index_base_b.has_dyn_sized_stack, 0
	.set _ZN9rocsparseL19gebsrmvn_2xn_kernelILj128ELj12ELj16E21rocsparse_complex_numIdEEEvi20rocsparse_direction_NS_24const_host_device_scalarIT2_EEPKiS8_PKS5_SA_S6_PS5_21rocsparse_index_base_b.has_recursion, 0
	.set _ZN9rocsparseL19gebsrmvn_2xn_kernelILj128ELj12ELj16E21rocsparse_complex_numIdEEEvi20rocsparse_direction_NS_24const_host_device_scalarIT2_EEPKiS8_PKS5_SA_S6_PS5_21rocsparse_index_base_b.has_indirect_call, 0
	.section	.AMDGPU.csdata,"",@progbits
; Kernel info:
; codeLenInByte = 2408
; TotalNumSgprs: 22
; NumVgprs: 56
; ScratchSize: 0
; MemoryBound: 1
; FloatMode: 240
; IeeeMode: 1
; LDSByteSize: 0 bytes/workgroup (compile time only)
; SGPRBlocks: 2
; VGPRBlocks: 13
; NumSGPRsForWavesPerEU: 22
; NumVGPRsForWavesPerEU: 56
; Occupancy: 4
; WaveLimiterHint : 1
; COMPUTE_PGM_RSRC2:SCRATCH_EN: 0
; COMPUTE_PGM_RSRC2:USER_SGPR: 6
; COMPUTE_PGM_RSRC2:TRAP_HANDLER: 0
; COMPUTE_PGM_RSRC2:TGID_X_EN: 1
; COMPUTE_PGM_RSRC2:TGID_Y_EN: 0
; COMPUTE_PGM_RSRC2:TGID_Z_EN: 0
; COMPUTE_PGM_RSRC2:TIDIG_COMP_CNT: 0
	.section	.text._ZN9rocsparseL19gebsrmvn_2xn_kernelILj128ELj12ELj32E21rocsparse_complex_numIdEEEvi20rocsparse_direction_NS_24const_host_device_scalarIT2_EEPKiS8_PKS5_SA_S6_PS5_21rocsparse_index_base_b,"axG",@progbits,_ZN9rocsparseL19gebsrmvn_2xn_kernelILj128ELj12ELj32E21rocsparse_complex_numIdEEEvi20rocsparse_direction_NS_24const_host_device_scalarIT2_EEPKiS8_PKS5_SA_S6_PS5_21rocsparse_index_base_b,comdat
	.globl	_ZN9rocsparseL19gebsrmvn_2xn_kernelILj128ELj12ELj32E21rocsparse_complex_numIdEEEvi20rocsparse_direction_NS_24const_host_device_scalarIT2_EEPKiS8_PKS5_SA_S6_PS5_21rocsparse_index_base_b ; -- Begin function _ZN9rocsparseL19gebsrmvn_2xn_kernelILj128ELj12ELj32E21rocsparse_complex_numIdEEEvi20rocsparse_direction_NS_24const_host_device_scalarIT2_EEPKiS8_PKS5_SA_S6_PS5_21rocsparse_index_base_b
	.p2align	8
	.type	_ZN9rocsparseL19gebsrmvn_2xn_kernelILj128ELj12ELj32E21rocsparse_complex_numIdEEEvi20rocsparse_direction_NS_24const_host_device_scalarIT2_EEPKiS8_PKS5_SA_S6_PS5_21rocsparse_index_base_b,@function
_ZN9rocsparseL19gebsrmvn_2xn_kernelILj128ELj12ELj32E21rocsparse_complex_numIdEEEvi20rocsparse_direction_NS_24const_host_device_scalarIT2_EEPKiS8_PKS5_SA_S6_PS5_21rocsparse_index_base_b: ; @_ZN9rocsparseL19gebsrmvn_2xn_kernelILj128ELj12ELj32E21rocsparse_complex_numIdEEEvi20rocsparse_direction_NS_24const_host_device_scalarIT2_EEPKiS8_PKS5_SA_S6_PS5_21rocsparse_index_base_b
; %bb.0:
	s_load_dwordx2 s[0:1], s[4:5], 0x8
	s_load_dwordx2 s[2:3], s[4:5], 0x38
	;; [unrolled: 1-line block ×3, first 2 shown]
	s_add_u32 s7, s4, 8
	s_addc_u32 s8, s5, 0
	s_add_u32 s9, s4, 56
	s_addc_u32 s10, s5, 0
	s_waitcnt lgkmcnt(0)
	s_bitcmp1_b32 s17, 0
	s_cselect_b32 s1, s8, s1
	s_cselect_b32 s0, s7, s0
	v_mov_b32_e32 v1, s0
	v_mov_b32_e32 v2, s1
	flat_load_dwordx4 v[1:4], v[1:2]
	s_cselect_b32 s0, s10, s3
	s_cselect_b32 s1, s9, s2
	v_mov_b32_e32 v5, s1
	v_mov_b32_e32 v6, s0
	flat_load_dwordx4 v[5:8], v[5:6]
	s_waitcnt vmcnt(0) lgkmcnt(0)
	v_cmp_eq_f64_e32 vcc, 0, v[1:2]
	v_cmp_eq_f64_e64 s[0:1], 0, v[3:4]
	s_and_b64 s[8:9], vcc, s[0:1]
	s_mov_b64 s[0:1], -1
	s_and_saveexec_b64 s[2:3], s[8:9]
	s_cbranch_execz .LBB281_2
; %bb.1:
	v_cmp_neq_f64_e32 vcc, 1.0, v[5:6]
	v_cmp_neq_f64_e64 s[0:1], 0, v[7:8]
	s_or_b64 s[0:1], vcc, s[0:1]
	s_orn2_b64 s[0:1], s[0:1], exec
.LBB281_2:
	s_or_b64 exec, exec, s[2:3]
	s_and_saveexec_b64 s[2:3], s[0:1]
	s_cbranch_execz .LBB281_25
; %bb.3:
	s_load_dwordx2 s[0:1], s[4:5], 0x0
	v_lshrrev_b32_e32 v9, 5, v0
	v_lshl_or_b32 v9, s6, 2, v9
	s_waitcnt lgkmcnt(0)
	v_cmp_gt_i32_e32 vcc, s0, v9
	s_and_b64 exec, exec, vcc
	s_cbranch_execz .LBB281_25
; %bb.4:
	s_load_dwordx8 s[8:15], s[4:5], 0x18
	v_ashrrev_i32_e32 v10, 31, v9
	v_lshlrev_b64 v[10:11], 2, v[9:10]
	v_and_b32_e32 v0, 31, v0
	s_cmp_lg_u32 s1, 0
	s_waitcnt lgkmcnt(0)
	v_mov_b32_e32 v12, s9
	v_add_co_u32_e32 v10, vcc, s8, v10
	v_addc_co_u32_e32 v11, vcc, v12, v11, vcc
	global_load_dwordx2 v[11:12], v[10:11], off
	s_waitcnt vmcnt(0)
	v_subrev_u32_e32 v10, s16, v11
	v_subrev_u32_e32 v25, s16, v12
	v_add_u32_e32 v10, v10, v0
	v_cmp_lt_i32_e64 s[0:1], v10, v25
	s_cbranch_scc0 .LBB281_12
; %bb.5:
	v_mov_b32_e32 v16, 0
	v_mov_b32_e32 v18, 0
	;; [unrolled: 1-line block ×8, first 2 shown]
	s_and_saveexec_b64 s[6:7], s[0:1]
	s_cbranch_execz .LBB281_11
; %bb.6:
	v_mul_lo_u32 v12, v11, 24
	v_mul_lo_u32 v26, v10, 24
	s_mul_i32 s2, s16, 24
	v_mov_b32_e32 v16, 0
	v_mad_u32_u24 v12, v0, 24, v12
	v_subrev_u32_e32 v27, s2, v12
	v_mov_b32_e32 v18, 0
	v_mov_b32_e32 v12, 0
	;; [unrolled: 1-line block ×4, first 2 shown]
	s_mov_b64 s[8:9], 0
	v_mov_b32_e32 v28, s11
	v_mov_b32_e32 v21, 0
	;; [unrolled: 1-line block ×8, first 2 shown]
.LBB281_7:                              ; =>This Loop Header: Depth=1
                                        ;     Child Loop BB281_8 Depth 2
	v_ashrrev_i32_e32 v23, 31, v22
	v_lshlrev_b64 v[23:24], 2, v[22:23]
	s_mov_b32 s17, 0
	v_add_co_u32_e32 v23, vcc, s10, v23
	v_addc_co_u32_e32 v24, vcc, v28, v24, vcc
	global_load_dword v20, v[23:24], off
	s_waitcnt vmcnt(0)
	v_subrev_u32_e32 v20, s16, v20
	v_mul_lo_u32 v23, v20, 12
.LBB281_8:                              ;   Parent Loop BB281_7 Depth=1
                                        ; =>  This Inner Loop Header: Depth=2
	v_add_u32_e32 v20, s17, v27
	v_mov_b32_e32 v24, v21
	v_lshlrev_b64 v[31:32], 4, v[20:21]
	v_lshlrev_b64 v[33:34], 4, v[23:24]
	v_add3_u32 v20, v26, s17, 4
	v_lshlrev_b64 v[42:43], 4, v[20:21]
	v_add_co_u32_e32 v44, vcc, s12, v31
	v_add_co_u32_e64 v46, s[2:3], s14, v33
	v_addc_co_u32_e32 v45, vcc, v29, v32, vcc
	v_addc_co_u32_e64 v47, vcc, v30, v34, s[2:3]
	v_add_co_u32_e32 v48, vcc, s12, v42
	global_load_dwordx4 v[31:34], v[46:47], off
	global_load_dwordx4 v[35:38], v[44:45], off
	global_load_dwordx4 v[39:42], v[44:45], off offset:16
	v_addc_co_u32_e32 v49, vcc, v29, v43, vcc
	s_add_i32 s17, s17, 8
	s_cmp_eq_u32 s17, 24
	v_add_u32_e32 v23, 4, v23
	s_waitcnt vmcnt(1)
	v_fma_f64 v[18:19], v[35:36], v[31:32], v[18:19]
	v_fma_f64 v[16:17], v[37:38], v[31:32], v[16:17]
	s_waitcnt vmcnt(0)
	v_fma_f64 v[12:13], v[39:40], v[31:32], v[12:13]
	v_fma_f64 v[14:15], v[41:42], v[31:32], v[14:15]
	v_fma_f64 v[50:51], -v[37:38], v[33:34], v[18:19]
	v_fma_f64 v[52:53], v[35:36], v[33:34], v[16:17]
	global_load_dwordx4 v[16:19], v[46:47], off offset:16
	v_fma_f64 v[41:42], -v[41:42], v[33:34], v[12:13]
	v_fma_f64 v[39:40], v[39:40], v[33:34], v[14:15]
	global_load_dwordx4 v[12:15], v[44:45], off offset:32
	global_load_dwordx4 v[31:34], v[44:45], off offset:48
	;; [unrolled: 1-line block ×3, first 2 shown]
	s_waitcnt vmcnt(2)
	v_fma_f64 v[43:44], v[12:13], v[16:17], v[50:51]
	v_fma_f64 v[50:51], v[14:15], v[16:17], v[52:53]
	s_waitcnt vmcnt(1)
	v_fma_f64 v[41:42], v[31:32], v[16:17], v[41:42]
	v_fma_f64 v[16:17], v[33:34], v[16:17], v[39:40]
	v_fma_f64 v[43:44], -v[14:15], v[18:19], v[43:44]
	v_fma_f64 v[50:51], v[12:13], v[18:19], v[50:51]
	global_load_dwordx4 v[12:15], v[48:49], off
	v_fma_f64 v[52:53], -v[33:34], v[18:19], v[41:42]
	v_fma_f64 v[54:55], v[31:32], v[18:19], v[16:17]
	global_load_dwordx4 v[16:19], v[48:49], off offset:16
	global_load_dwordx4 v[31:34], v[46:47], off offset:48
	s_waitcnt vmcnt(2)
	v_fma_f64 v[39:40], v[12:13], v[35:36], v[43:44]
	v_fma_f64 v[41:42], v[14:15], v[35:36], v[50:51]
	v_fma_f64 v[43:44], -v[14:15], v[37:38], v[39:40]
	v_fma_f64 v[45:46], v[12:13], v[37:38], v[41:42]
	global_load_dwordx4 v[12:15], v[48:49], off offset:32
	global_load_dwordx4 v[39:42], v[48:49], off offset:48
	s_waitcnt vmcnt(3)
	v_fma_f64 v[47:48], v[16:17], v[35:36], v[52:53]
	v_fma_f64 v[35:36], v[18:19], v[35:36], v[54:55]
	v_fma_f64 v[18:19], -v[18:19], v[37:38], v[47:48]
	v_fma_f64 v[16:17], v[16:17], v[37:38], v[35:36]
	s_waitcnt vmcnt(1)
	v_fma_f64 v[35:36], v[12:13], v[31:32], v[43:44]
	v_fma_f64 v[37:38], v[14:15], v[31:32], v[45:46]
	s_waitcnt vmcnt(0)
	v_fma_f64 v[43:44], v[39:40], v[31:32], v[18:19]
	v_fma_f64 v[31:32], v[41:42], v[31:32], v[16:17]
	v_fma_f64 v[18:19], -v[14:15], v[33:34], v[35:36]
	v_fma_f64 v[16:17], v[12:13], v[33:34], v[37:38]
	v_fma_f64 v[12:13], -v[41:42], v[33:34], v[43:44]
	v_fma_f64 v[14:15], v[39:40], v[33:34], v[31:32]
	s_cbranch_scc0 .LBB281_8
; %bb.9:                                ;   in Loop: Header=BB281_7 Depth=1
	v_add_u32_e32 v22, 32, v22
	v_cmp_ge_i32_e32 vcc, v22, v25
	v_add_u32_e32 v26, 0x300, v26
	s_or_b64 s[8:9], vcc, s[8:9]
	v_add_u32_e32 v27, 0x300, v27
	s_andn2_b64 exec, exec, s[8:9]
	s_cbranch_execnz .LBB281_7
; %bb.10:
	s_or_b64 exec, exec, s[8:9]
.LBB281_11:
	s_or_b64 exec, exec, s[6:7]
	s_cbranch_execz .LBB281_13
	s_branch .LBB281_20
.LBB281_12:
                                        ; implicit-def: $vgpr16_vgpr17
                                        ; implicit-def: $vgpr18_vgpr19
                                        ; implicit-def: $vgpr12_vgpr13
                                        ; implicit-def: $vgpr14_vgpr15
.LBB281_13:
	v_mov_b32_e32 v16, 0
	v_mov_b32_e32 v18, 0
	;; [unrolled: 1-line block ×8, first 2 shown]
	s_and_saveexec_b64 s[2:3], s[0:1]
	s_cbranch_execz .LBB281_19
; %bb.14:
	v_mul_lo_u32 v11, v11, 24
	v_mul_lo_u32 v22, v10, 24
	s_mul_i32 s0, s16, 24
	v_mov_b32_e32 v16, 0
	v_mad_u32_u24 v11, v0, 24, v11
	v_mov_b32_e32 v18, 0
	v_mov_b32_e32 v12, 0
	;; [unrolled: 1-line block ×4, first 2 shown]
	v_subrev_u32_e32 v23, s0, v11
	s_mov_b64 s[0:1], 0
	v_mov_b32_e32 v24, s11
	v_mov_b32_e32 v21, 0
	;; [unrolled: 1-line block ×7, first 2 shown]
.LBB281_15:                             ; =>This Loop Header: Depth=1
                                        ;     Child Loop BB281_16 Depth 2
	v_ashrrev_i32_e32 v11, 31, v10
	v_lshlrev_b64 v[28:29], 2, v[10:11]
	s_mov_b32 s6, 0
	v_add_co_u32_e32 v28, vcc, s10, v28
	v_addc_co_u32_e32 v29, vcc, v24, v29, vcc
	global_load_dword v11, v[28:29], off
	s_waitcnt vmcnt(0)
	v_subrev_u32_e32 v11, s16, v11
	v_mul_lo_u32 v11, v11, 12
.LBB281_16:                             ;   Parent Loop BB281_15 Depth=1
                                        ; =>  This Inner Loop Header: Depth=2
	v_add_u32_e32 v20, s6, v23
	v_lshlrev_b64 v[28:29], 4, v[20:21]
	v_add_u32_e32 v20, s6, v11
	v_lshlrev_b64 v[32:33], 4, v[20:21]
	v_add_co_u32_e32 v36, vcc, s12, v28
	v_addc_co_u32_e32 v37, vcc, v26, v29, vcc
	v_add_co_u32_e32 v38, vcc, s14, v32
	v_addc_co_u32_e32 v39, vcc, v27, v33, vcc
	global_load_dwordx4 v[28:31], v[36:37], off
	global_load_dwordx4 v[32:35], v[38:39], off
	v_add3_u32 v20, v22, s6, 12
	s_add_i32 s6, s6, 4
	s_cmp_eq_u32 s6, 12
	s_waitcnt vmcnt(0)
	v_fma_f64 v[16:17], v[30:31], v[32:33], v[16:17]
	v_fma_f64 v[18:19], v[28:29], v[32:33], v[18:19]
	;; [unrolled: 1-line block ×3, first 2 shown]
	v_lshlrev_b64 v[16:17], 4, v[20:21]
	v_fma_f64 v[30:31], -v[30:31], v[34:35], v[18:19]
	v_add_co_u32_e32 v40, vcc, s12, v16
	v_addc_co_u32_e32 v41, vcc, v26, v17, vcc
	global_load_dwordx4 v[16:19], v[40:41], off
	s_waitcnt vmcnt(0)
	v_fma_f64 v[12:13], v[16:17], v[32:33], v[12:13]
	v_fma_f64 v[14:15], v[18:19], v[32:33], v[14:15]
	v_fma_f64 v[32:33], -v[18:19], v[34:35], v[12:13]
	v_fma_f64 v[34:35], v[16:17], v[34:35], v[14:15]
	global_load_dwordx4 v[12:15], v[36:37], off offset:16
	global_load_dwordx4 v[16:19], v[38:39], off offset:16
	s_waitcnt vmcnt(0)
	v_fma_f64 v[30:31], v[12:13], v[16:17], v[30:31]
	v_fma_f64 v[28:29], v[14:15], v[16:17], v[28:29]
	v_fma_f64 v[30:31], -v[14:15], v[18:19], v[30:31]
	v_fma_f64 v[28:29], v[12:13], v[18:19], v[28:29]
	global_load_dwordx4 v[12:15], v[40:41], off offset:16
	s_waitcnt vmcnt(0)
	v_fma_f64 v[32:33], v[12:13], v[16:17], v[32:33]
	v_fma_f64 v[16:17], v[14:15], v[16:17], v[34:35]
	v_fma_f64 v[32:33], -v[14:15], v[18:19], v[32:33]
	v_fma_f64 v[34:35], v[12:13], v[18:19], v[16:17]
	global_load_dwordx4 v[12:15], v[36:37], off offset:32
	global_load_dwordx4 v[16:19], v[38:39], off offset:32
	s_waitcnt vmcnt(0)
	v_fma_f64 v[30:31], v[12:13], v[16:17], v[30:31]
	v_fma_f64 v[28:29], v[14:15], v[16:17], v[28:29]
	v_fma_f64 v[42:43], -v[14:15], v[18:19], v[30:31]
	v_fma_f64 v[44:45], v[12:13], v[18:19], v[28:29]
	global_load_dwordx4 v[12:15], v[40:41], off offset:32
	s_waitcnt vmcnt(0)
	v_fma_f64 v[28:29], v[12:13], v[16:17], v[32:33]
	v_fma_f64 v[16:17], v[14:15], v[16:17], v[34:35]
	v_fma_f64 v[46:47], -v[14:15], v[18:19], v[28:29]
	v_fma_f64 v[16:17], v[12:13], v[18:19], v[16:17]
	global_load_dwordx4 v[12:15], v[36:37], off offset:48
	global_load_dwordx4 v[28:31], v[38:39], off offset:48
	;; [unrolled: 1-line block ×3, first 2 shown]
	s_waitcnt vmcnt(1)
	v_fma_f64 v[18:19], v[12:13], v[28:29], v[42:43]
	v_fma_f64 v[36:37], v[14:15], v[28:29], v[44:45]
	s_waitcnt vmcnt(0)
	v_fma_f64 v[38:39], v[32:33], v[28:29], v[46:47]
	v_fma_f64 v[28:29], v[34:35], v[28:29], v[16:17]
	v_fma_f64 v[18:19], -v[14:15], v[30:31], v[18:19]
	v_fma_f64 v[16:17], v[12:13], v[30:31], v[36:37]
	v_fma_f64 v[12:13], -v[34:35], v[30:31], v[38:39]
	v_fma_f64 v[14:15], v[32:33], v[30:31], v[28:29]
	s_cbranch_scc0 .LBB281_16
; %bb.17:                               ;   in Loop: Header=BB281_15 Depth=1
	v_add_u32_e32 v10, 32, v10
	v_cmp_ge_i32_e32 vcc, v10, v25
	v_add_u32_e32 v22, 0x300, v22
	s_or_b64 s[0:1], vcc, s[0:1]
	v_add_u32_e32 v23, 0x300, v23
	s_andn2_b64 exec, exec, s[0:1]
	s_cbranch_execnz .LBB281_15
; %bb.18:
	s_or_b64 exec, exec, s[0:1]
.LBB281_19:
	s_or_b64 exec, exec, s[2:3]
.LBB281_20:
	v_mov_b32_dpp v10, v18 row_shr:1 row_mask:0xf bank_mask:0xf
	v_mov_b32_dpp v11, v19 row_shr:1 row_mask:0xf bank_mask:0xf
	v_add_f64 v[10:11], v[18:19], v[10:11]
	v_mov_b32_dpp v18, v16 row_shr:1 row_mask:0xf bank_mask:0xf
	v_mov_b32_dpp v19, v17 row_shr:1 row_mask:0xf bank_mask:0xf
	v_add_f64 v[16:17], v[16:17], v[18:19]
	;; [unrolled: 3-line block ×3, first 2 shown]
	v_cmp_eq_u32_e32 vcc, 31, v0
	v_mov_b32_dpp v18, v10 row_shr:2 row_mask:0xf bank_mask:0xf
	v_mov_b32_dpp v19, v11 row_shr:2 row_mask:0xf bank_mask:0xf
	v_add_f64 v[10:11], v[10:11], v[18:19]
	v_mov_b32_dpp v18, v14 row_shr:1 row_mask:0xf bank_mask:0xf
	v_mov_b32_dpp v19, v15 row_shr:1 row_mask:0xf bank_mask:0xf
	v_add_f64 v[14:15], v[14:15], v[18:19]
	;; [unrolled: 3-line block ×4, first 2 shown]
	v_mov_b32_dpp v20, v12 row_shr:2 row_mask:0xf bank_mask:0xf
	v_mov_b32_dpp v21, v13 row_shr:2 row_mask:0xf bank_mask:0xf
	;; [unrolled: 1-line block ×3, first 2 shown]
	v_add_f64 v[12:13], v[12:13], v[20:21]
	v_mov_b32_dpp v19, v15 row_shr:2 row_mask:0xf bank_mask:0xf
	v_add_f64 v[14:15], v[14:15], v[18:19]
	v_mov_b32_dpp v20, v16 row_shr:4 row_mask:0xf bank_mask:0xe
	v_mov_b32_dpp v21, v17 row_shr:4 row_mask:0xf bank_mask:0xe
	v_add_f64 v[16:17], v[16:17], v[20:21]
	v_mov_b32_dpp v18, v10 row_shr:8 row_mask:0xf bank_mask:0xc
	v_mov_b32_dpp v19, v11 row_shr:8 row_mask:0xf bank_mask:0xc
	;; [unrolled: 1-line block ×4, first 2 shown]
	v_add_f64 v[20:21], v[12:13], v[20:21]
	v_mov_b32_dpp v12, v14 row_shr:4 row_mask:0xf bank_mask:0xe
	v_mov_b32_dpp v13, v15 row_shr:4 row_mask:0xf bank_mask:0xe
	v_add_f64 v[14:15], v[14:15], v[12:13]
	v_mov_b32_dpp v12, v16 row_shr:8 row_mask:0xf bank_mask:0xc
	v_mov_b32_dpp v13, v17 row_shr:8 row_mask:0xf bank_mask:0xc
	v_add_f64 v[12:13], v[16:17], v[12:13]
	v_add_f64 v[10:11], v[10:11], v[18:19]
	v_mov_b32_dpp v16, v20 row_shr:8 row_mask:0xf bank_mask:0xc
	v_mov_b32_dpp v17, v21 row_shr:8 row_mask:0xf bank_mask:0xc
	v_add_f64 v[18:19], v[20:21], v[16:17]
	v_mov_b32_dpp v16, v14 row_shr:8 row_mask:0xf bank_mask:0xc
	v_mov_b32_dpp v17, v15 row_shr:8 row_mask:0xf bank_mask:0xc
	v_add_f64 v[14:15], v[14:15], v[16:17]
	v_mov_b32_dpp v16, v12 row_bcast:15 row_mask:0xa bank_mask:0xf
	v_mov_b32_dpp v24, v10 row_bcast:15 row_mask:0xa bank_mask:0xf
	;; [unrolled: 1-line block ×8, first 2 shown]
	s_and_b64 exec, exec, vcc
	s_cbranch_execz .LBB281_25
; %bb.21:
	v_cmp_eq_f64_e32 vcc, 0, v[5:6]
	v_cmp_eq_f64_e64 s[0:1], 0, v[7:8]
	v_add_f64 v[10:11], v[10:11], v[24:25]
	v_add_f64 v[16:17], v[12:13], v[16:17]
	;; [unrolled: 1-line block ×4, first 2 shown]
	s_load_dwordx2 s[2:3], s[4:5], 0x48
	s_and_b64 s[0:1], vcc, s[0:1]
	s_and_saveexec_b64 s[4:5], s[0:1]
	s_xor_b64 s[0:1], exec, s[4:5]
	s_cbranch_execz .LBB281_23
; %bb.22:
	v_mul_f64 v[5:6], v[16:17], -v[3:4]
	v_mul_f64 v[7:8], v[1:2], v[16:17]
	v_mul_f64 v[16:17], v[14:15], -v[3:4]
	v_mul_f64 v[14:15], v[1:2], v[14:15]
	v_lshlrev_b32_e32 v9, 1, v9
	s_waitcnt lgkmcnt(0)
	v_mov_b32_e32 v18, s3
	v_fma_f64 v[5:6], v[1:2], v[10:11], v[5:6]
	v_fma_f64 v[7:8], v[3:4], v[10:11], v[7:8]
	v_fma_f64 v[0:1], v[1:2], v[12:13], v[16:17]
	v_fma_f64 v[2:3], v[3:4], v[12:13], v[14:15]
	v_ashrrev_i32_e32 v10, 31, v9
	v_lshlrev_b64 v[9:10], 4, v[9:10]
                                        ; implicit-def: $vgpr16_vgpr17
                                        ; implicit-def: $vgpr12_vgpr13
                                        ; implicit-def: $vgpr14_vgpr15
	v_add_co_u32_e32 v9, vcc, s2, v9
	v_addc_co_u32_e32 v10, vcc, v18, v10, vcc
	global_store_dwordx4 v[9:10], v[5:8], off
	global_store_dwordx4 v[9:10], v[0:3], off offset:16
                                        ; implicit-def: $vgpr9
                                        ; implicit-def: $vgpr10_vgpr11
                                        ; implicit-def: $vgpr7_vgpr8
                                        ; implicit-def: $vgpr3_vgpr4
.LBB281_23:
	s_andn2_saveexec_b64 s[0:1], s[0:1]
	s_cbranch_execz .LBB281_25
; %bb.24:
	v_lshlrev_b32_e32 v18, 1, v9
	v_ashrrev_i32_e32 v19, 31, v18
	v_lshlrev_b64 v[18:19], 4, v[18:19]
	s_waitcnt lgkmcnt(0)
	v_mov_b32_e32 v0, s3
	v_add_co_u32_e32 v26, vcc, s2, v18
	v_addc_co_u32_e32 v27, vcc, v0, v19, vcc
	global_load_dwordx4 v[18:21], v[26:27], off
	global_load_dwordx4 v[22:25], v[26:27], off offset:16
	v_mul_f64 v[28:29], v[16:17], -v[3:4]
	v_mul_f64 v[16:17], v[1:2], v[16:17]
	v_mul_f64 v[30:31], v[14:15], -v[3:4]
	v_mul_f64 v[14:15], v[1:2], v[14:15]
	v_fma_f64 v[28:29], v[1:2], v[10:11], v[28:29]
	v_fma_f64 v[9:10], v[3:4], v[10:11], v[16:17]
	;; [unrolled: 1-line block ×4, first 2 shown]
	s_waitcnt vmcnt(1)
	v_fma_f64 v[11:12], v[5:6], v[18:19], v[28:29]
	v_fma_f64 v[9:10], v[7:8], v[18:19], v[9:10]
	s_waitcnt vmcnt(0)
	v_fma_f64 v[13:14], v[5:6], v[22:23], v[0:1]
	v_fma_f64 v[15:16], v[7:8], v[22:23], v[2:3]
	v_fma_f64 v[0:1], -v[7:8], v[20:21], v[11:12]
	v_fma_f64 v[2:3], v[5:6], v[20:21], v[9:10]
	v_fma_f64 v[7:8], -v[7:8], v[24:25], v[13:14]
	v_fma_f64 v[9:10], v[5:6], v[24:25], v[15:16]
	global_store_dwordx4 v[26:27], v[0:3], off
	global_store_dwordx4 v[26:27], v[7:10], off offset:16
.LBB281_25:
	s_endpgm
	.section	.rodata,"a",@progbits
	.p2align	6, 0x0
	.amdhsa_kernel _ZN9rocsparseL19gebsrmvn_2xn_kernelILj128ELj12ELj32E21rocsparse_complex_numIdEEEvi20rocsparse_direction_NS_24const_host_device_scalarIT2_EEPKiS8_PKS5_SA_S6_PS5_21rocsparse_index_base_b
		.amdhsa_group_segment_fixed_size 0
		.amdhsa_private_segment_fixed_size 0
		.amdhsa_kernarg_size 88
		.amdhsa_user_sgpr_count 6
		.amdhsa_user_sgpr_private_segment_buffer 1
		.amdhsa_user_sgpr_dispatch_ptr 0
		.amdhsa_user_sgpr_queue_ptr 0
		.amdhsa_user_sgpr_kernarg_segment_ptr 1
		.amdhsa_user_sgpr_dispatch_id 0
		.amdhsa_user_sgpr_flat_scratch_init 0
		.amdhsa_user_sgpr_private_segment_size 0
		.amdhsa_uses_dynamic_stack 0
		.amdhsa_system_sgpr_private_segment_wavefront_offset 0
		.amdhsa_system_sgpr_workgroup_id_x 1
		.amdhsa_system_sgpr_workgroup_id_y 0
		.amdhsa_system_sgpr_workgroup_id_z 0
		.amdhsa_system_sgpr_workgroup_info 0
		.amdhsa_system_vgpr_workitem_id 0
		.amdhsa_next_free_vgpr 56
		.amdhsa_next_free_sgpr 18
		.amdhsa_reserve_vcc 1
		.amdhsa_reserve_flat_scratch 0
		.amdhsa_float_round_mode_32 0
		.amdhsa_float_round_mode_16_64 0
		.amdhsa_float_denorm_mode_32 3
		.amdhsa_float_denorm_mode_16_64 3
		.amdhsa_dx10_clamp 1
		.amdhsa_ieee_mode 1
		.amdhsa_fp16_overflow 0
		.amdhsa_exception_fp_ieee_invalid_op 0
		.amdhsa_exception_fp_denorm_src 0
		.amdhsa_exception_fp_ieee_div_zero 0
		.amdhsa_exception_fp_ieee_overflow 0
		.amdhsa_exception_fp_ieee_underflow 0
		.amdhsa_exception_fp_ieee_inexact 0
		.amdhsa_exception_int_div_zero 0
	.end_amdhsa_kernel
	.section	.text._ZN9rocsparseL19gebsrmvn_2xn_kernelILj128ELj12ELj32E21rocsparse_complex_numIdEEEvi20rocsparse_direction_NS_24const_host_device_scalarIT2_EEPKiS8_PKS5_SA_S6_PS5_21rocsparse_index_base_b,"axG",@progbits,_ZN9rocsparseL19gebsrmvn_2xn_kernelILj128ELj12ELj32E21rocsparse_complex_numIdEEEvi20rocsparse_direction_NS_24const_host_device_scalarIT2_EEPKiS8_PKS5_SA_S6_PS5_21rocsparse_index_base_b,comdat
.Lfunc_end281:
	.size	_ZN9rocsparseL19gebsrmvn_2xn_kernelILj128ELj12ELj32E21rocsparse_complex_numIdEEEvi20rocsparse_direction_NS_24const_host_device_scalarIT2_EEPKiS8_PKS5_SA_S6_PS5_21rocsparse_index_base_b, .Lfunc_end281-_ZN9rocsparseL19gebsrmvn_2xn_kernelILj128ELj12ELj32E21rocsparse_complex_numIdEEEvi20rocsparse_direction_NS_24const_host_device_scalarIT2_EEPKiS8_PKS5_SA_S6_PS5_21rocsparse_index_base_b
                                        ; -- End function
	.set _ZN9rocsparseL19gebsrmvn_2xn_kernelILj128ELj12ELj32E21rocsparse_complex_numIdEEEvi20rocsparse_direction_NS_24const_host_device_scalarIT2_EEPKiS8_PKS5_SA_S6_PS5_21rocsparse_index_base_b.num_vgpr, 56
	.set _ZN9rocsparseL19gebsrmvn_2xn_kernelILj128ELj12ELj32E21rocsparse_complex_numIdEEEvi20rocsparse_direction_NS_24const_host_device_scalarIT2_EEPKiS8_PKS5_SA_S6_PS5_21rocsparse_index_base_b.num_agpr, 0
	.set _ZN9rocsparseL19gebsrmvn_2xn_kernelILj128ELj12ELj32E21rocsparse_complex_numIdEEEvi20rocsparse_direction_NS_24const_host_device_scalarIT2_EEPKiS8_PKS5_SA_S6_PS5_21rocsparse_index_base_b.numbered_sgpr, 18
	.set _ZN9rocsparseL19gebsrmvn_2xn_kernelILj128ELj12ELj32E21rocsparse_complex_numIdEEEvi20rocsparse_direction_NS_24const_host_device_scalarIT2_EEPKiS8_PKS5_SA_S6_PS5_21rocsparse_index_base_b.num_named_barrier, 0
	.set _ZN9rocsparseL19gebsrmvn_2xn_kernelILj128ELj12ELj32E21rocsparse_complex_numIdEEEvi20rocsparse_direction_NS_24const_host_device_scalarIT2_EEPKiS8_PKS5_SA_S6_PS5_21rocsparse_index_base_b.private_seg_size, 0
	.set _ZN9rocsparseL19gebsrmvn_2xn_kernelILj128ELj12ELj32E21rocsparse_complex_numIdEEEvi20rocsparse_direction_NS_24const_host_device_scalarIT2_EEPKiS8_PKS5_SA_S6_PS5_21rocsparse_index_base_b.uses_vcc, 1
	.set _ZN9rocsparseL19gebsrmvn_2xn_kernelILj128ELj12ELj32E21rocsparse_complex_numIdEEEvi20rocsparse_direction_NS_24const_host_device_scalarIT2_EEPKiS8_PKS5_SA_S6_PS5_21rocsparse_index_base_b.uses_flat_scratch, 0
	.set _ZN9rocsparseL19gebsrmvn_2xn_kernelILj128ELj12ELj32E21rocsparse_complex_numIdEEEvi20rocsparse_direction_NS_24const_host_device_scalarIT2_EEPKiS8_PKS5_SA_S6_PS5_21rocsparse_index_base_b.has_dyn_sized_stack, 0
	.set _ZN9rocsparseL19gebsrmvn_2xn_kernelILj128ELj12ELj32E21rocsparse_complex_numIdEEEvi20rocsparse_direction_NS_24const_host_device_scalarIT2_EEPKiS8_PKS5_SA_S6_PS5_21rocsparse_index_base_b.has_recursion, 0
	.set _ZN9rocsparseL19gebsrmvn_2xn_kernelILj128ELj12ELj32E21rocsparse_complex_numIdEEEvi20rocsparse_direction_NS_24const_host_device_scalarIT2_EEPKiS8_PKS5_SA_S6_PS5_21rocsparse_index_base_b.has_indirect_call, 0
	.section	.AMDGPU.csdata,"",@progbits
; Kernel info:
; codeLenInByte = 2504
; TotalNumSgprs: 22
; NumVgprs: 56
; ScratchSize: 0
; MemoryBound: 1
; FloatMode: 240
; IeeeMode: 1
; LDSByteSize: 0 bytes/workgroup (compile time only)
; SGPRBlocks: 2
; VGPRBlocks: 13
; NumSGPRsForWavesPerEU: 22
; NumVGPRsForWavesPerEU: 56
; Occupancy: 4
; WaveLimiterHint : 1
; COMPUTE_PGM_RSRC2:SCRATCH_EN: 0
; COMPUTE_PGM_RSRC2:USER_SGPR: 6
; COMPUTE_PGM_RSRC2:TRAP_HANDLER: 0
; COMPUTE_PGM_RSRC2:TGID_X_EN: 1
; COMPUTE_PGM_RSRC2:TGID_Y_EN: 0
; COMPUTE_PGM_RSRC2:TGID_Z_EN: 0
; COMPUTE_PGM_RSRC2:TIDIG_COMP_CNT: 0
	.section	.text._ZN9rocsparseL19gebsrmvn_2xn_kernelILj128ELj12ELj64E21rocsparse_complex_numIdEEEvi20rocsparse_direction_NS_24const_host_device_scalarIT2_EEPKiS8_PKS5_SA_S6_PS5_21rocsparse_index_base_b,"axG",@progbits,_ZN9rocsparseL19gebsrmvn_2xn_kernelILj128ELj12ELj64E21rocsparse_complex_numIdEEEvi20rocsparse_direction_NS_24const_host_device_scalarIT2_EEPKiS8_PKS5_SA_S6_PS5_21rocsparse_index_base_b,comdat
	.globl	_ZN9rocsparseL19gebsrmvn_2xn_kernelILj128ELj12ELj64E21rocsparse_complex_numIdEEEvi20rocsparse_direction_NS_24const_host_device_scalarIT2_EEPKiS8_PKS5_SA_S6_PS5_21rocsparse_index_base_b ; -- Begin function _ZN9rocsparseL19gebsrmvn_2xn_kernelILj128ELj12ELj64E21rocsparse_complex_numIdEEEvi20rocsparse_direction_NS_24const_host_device_scalarIT2_EEPKiS8_PKS5_SA_S6_PS5_21rocsparse_index_base_b
	.p2align	8
	.type	_ZN9rocsparseL19gebsrmvn_2xn_kernelILj128ELj12ELj64E21rocsparse_complex_numIdEEEvi20rocsparse_direction_NS_24const_host_device_scalarIT2_EEPKiS8_PKS5_SA_S6_PS5_21rocsparse_index_base_b,@function
_ZN9rocsparseL19gebsrmvn_2xn_kernelILj128ELj12ELj64E21rocsparse_complex_numIdEEEvi20rocsparse_direction_NS_24const_host_device_scalarIT2_EEPKiS8_PKS5_SA_S6_PS5_21rocsparse_index_base_b: ; @_ZN9rocsparseL19gebsrmvn_2xn_kernelILj128ELj12ELj64E21rocsparse_complex_numIdEEEvi20rocsparse_direction_NS_24const_host_device_scalarIT2_EEPKiS8_PKS5_SA_S6_PS5_21rocsparse_index_base_b
; %bb.0:
	s_load_dwordx2 s[0:1], s[4:5], 0x8
	s_load_dwordx2 s[2:3], s[4:5], 0x38
	;; [unrolled: 1-line block ×3, first 2 shown]
	s_add_u32 s7, s4, 8
	s_addc_u32 s8, s5, 0
	s_add_u32 s9, s4, 56
	s_addc_u32 s10, s5, 0
	s_waitcnt lgkmcnt(0)
	s_bitcmp1_b32 s17, 0
	s_cselect_b32 s1, s8, s1
	s_cselect_b32 s0, s7, s0
	v_mov_b32_e32 v1, s0
	v_mov_b32_e32 v2, s1
	flat_load_dwordx4 v[1:4], v[1:2]
	s_cselect_b32 s0, s10, s3
	s_cselect_b32 s1, s9, s2
	v_mov_b32_e32 v5, s1
	v_mov_b32_e32 v6, s0
	flat_load_dwordx4 v[5:8], v[5:6]
	s_waitcnt vmcnt(0) lgkmcnt(0)
	v_cmp_eq_f64_e32 vcc, 0, v[1:2]
	v_cmp_eq_f64_e64 s[0:1], 0, v[3:4]
	s_and_b64 s[8:9], vcc, s[0:1]
	s_mov_b64 s[0:1], -1
	s_and_saveexec_b64 s[2:3], s[8:9]
	s_cbranch_execz .LBB282_2
; %bb.1:
	v_cmp_neq_f64_e32 vcc, 1.0, v[5:6]
	v_cmp_neq_f64_e64 s[0:1], 0, v[7:8]
	s_or_b64 s[0:1], vcc, s[0:1]
	s_orn2_b64 s[0:1], s[0:1], exec
.LBB282_2:
	s_or_b64 exec, exec, s[2:3]
	s_and_saveexec_b64 s[2:3], s[0:1]
	s_cbranch_execz .LBB282_25
; %bb.3:
	s_load_dwordx2 s[0:1], s[4:5], 0x0
	v_lshrrev_b32_e32 v9, 6, v0
	v_lshl_or_b32 v9, s6, 1, v9
	s_waitcnt lgkmcnt(0)
	v_cmp_gt_i32_e32 vcc, s0, v9
	s_and_b64 exec, exec, vcc
	s_cbranch_execz .LBB282_25
; %bb.4:
	s_load_dwordx8 s[8:15], s[4:5], 0x18
	v_ashrrev_i32_e32 v10, 31, v9
	v_lshlrev_b64 v[10:11], 2, v[9:10]
	v_and_b32_e32 v0, 63, v0
	s_cmp_lg_u32 s1, 0
	s_waitcnt lgkmcnt(0)
	v_mov_b32_e32 v12, s9
	v_add_co_u32_e32 v10, vcc, s8, v10
	v_addc_co_u32_e32 v11, vcc, v12, v11, vcc
	global_load_dwordx2 v[11:12], v[10:11], off
	s_waitcnt vmcnt(0)
	v_subrev_u32_e32 v10, s16, v11
	v_subrev_u32_e32 v25, s16, v12
	v_add_u32_e32 v10, v10, v0
	v_cmp_lt_i32_e64 s[0:1], v10, v25
	s_cbranch_scc0 .LBB282_12
; %bb.5:
	v_mov_b32_e32 v16, 0
	v_mov_b32_e32 v18, 0
	;; [unrolled: 1-line block ×8, first 2 shown]
	s_and_saveexec_b64 s[6:7], s[0:1]
	s_cbranch_execz .LBB282_11
; %bb.6:
	v_mul_lo_u32 v12, v11, 24
	v_mul_lo_u32 v26, v10, 24
	s_mul_i32 s2, s16, 24
	v_mov_b32_e32 v16, 0
	v_mad_u32_u24 v12, v0, 24, v12
	v_subrev_u32_e32 v27, s2, v12
	v_mov_b32_e32 v18, 0
	v_mov_b32_e32 v12, 0
	;; [unrolled: 1-line block ×4, first 2 shown]
	s_mov_b64 s[8:9], 0
	v_mov_b32_e32 v28, s11
	v_mov_b32_e32 v21, 0
	;; [unrolled: 1-line block ×8, first 2 shown]
.LBB282_7:                              ; =>This Loop Header: Depth=1
                                        ;     Child Loop BB282_8 Depth 2
	v_ashrrev_i32_e32 v23, 31, v22
	v_lshlrev_b64 v[23:24], 2, v[22:23]
	s_mov_b32 s17, 0
	v_add_co_u32_e32 v23, vcc, s10, v23
	v_addc_co_u32_e32 v24, vcc, v28, v24, vcc
	global_load_dword v20, v[23:24], off
	s_waitcnt vmcnt(0)
	v_subrev_u32_e32 v20, s16, v20
	v_mul_lo_u32 v23, v20, 12
.LBB282_8:                              ;   Parent Loop BB282_7 Depth=1
                                        ; =>  This Inner Loop Header: Depth=2
	v_add_u32_e32 v20, s17, v27
	v_mov_b32_e32 v24, v21
	v_lshlrev_b64 v[31:32], 4, v[20:21]
	v_lshlrev_b64 v[33:34], 4, v[23:24]
	v_add3_u32 v20, v26, s17, 4
	v_lshlrev_b64 v[42:43], 4, v[20:21]
	v_add_co_u32_e32 v44, vcc, s12, v31
	v_add_co_u32_e64 v46, s[2:3], s14, v33
	v_addc_co_u32_e32 v45, vcc, v29, v32, vcc
	v_addc_co_u32_e64 v47, vcc, v30, v34, s[2:3]
	v_add_co_u32_e32 v48, vcc, s12, v42
	global_load_dwordx4 v[31:34], v[46:47], off
	global_load_dwordx4 v[35:38], v[44:45], off
	global_load_dwordx4 v[39:42], v[44:45], off offset:16
	v_addc_co_u32_e32 v49, vcc, v29, v43, vcc
	s_add_i32 s17, s17, 8
	s_cmp_eq_u32 s17, 24
	v_add_u32_e32 v23, 4, v23
	s_waitcnt vmcnt(1)
	v_fma_f64 v[18:19], v[35:36], v[31:32], v[18:19]
	v_fma_f64 v[16:17], v[37:38], v[31:32], v[16:17]
	s_waitcnt vmcnt(0)
	v_fma_f64 v[12:13], v[39:40], v[31:32], v[12:13]
	v_fma_f64 v[14:15], v[41:42], v[31:32], v[14:15]
	v_fma_f64 v[50:51], -v[37:38], v[33:34], v[18:19]
	v_fma_f64 v[52:53], v[35:36], v[33:34], v[16:17]
	global_load_dwordx4 v[16:19], v[46:47], off offset:16
	v_fma_f64 v[41:42], -v[41:42], v[33:34], v[12:13]
	v_fma_f64 v[39:40], v[39:40], v[33:34], v[14:15]
	global_load_dwordx4 v[12:15], v[44:45], off offset:32
	global_load_dwordx4 v[31:34], v[44:45], off offset:48
	;; [unrolled: 1-line block ×3, first 2 shown]
	s_waitcnt vmcnt(2)
	v_fma_f64 v[43:44], v[12:13], v[16:17], v[50:51]
	v_fma_f64 v[50:51], v[14:15], v[16:17], v[52:53]
	s_waitcnt vmcnt(1)
	v_fma_f64 v[41:42], v[31:32], v[16:17], v[41:42]
	v_fma_f64 v[16:17], v[33:34], v[16:17], v[39:40]
	v_fma_f64 v[43:44], -v[14:15], v[18:19], v[43:44]
	v_fma_f64 v[50:51], v[12:13], v[18:19], v[50:51]
	global_load_dwordx4 v[12:15], v[48:49], off
	v_fma_f64 v[52:53], -v[33:34], v[18:19], v[41:42]
	v_fma_f64 v[54:55], v[31:32], v[18:19], v[16:17]
	global_load_dwordx4 v[16:19], v[48:49], off offset:16
	global_load_dwordx4 v[31:34], v[46:47], off offset:48
	s_waitcnt vmcnt(2)
	v_fma_f64 v[39:40], v[12:13], v[35:36], v[43:44]
	v_fma_f64 v[41:42], v[14:15], v[35:36], v[50:51]
	v_fma_f64 v[43:44], -v[14:15], v[37:38], v[39:40]
	v_fma_f64 v[45:46], v[12:13], v[37:38], v[41:42]
	global_load_dwordx4 v[12:15], v[48:49], off offset:32
	global_load_dwordx4 v[39:42], v[48:49], off offset:48
	s_waitcnt vmcnt(3)
	v_fma_f64 v[47:48], v[16:17], v[35:36], v[52:53]
	v_fma_f64 v[35:36], v[18:19], v[35:36], v[54:55]
	v_fma_f64 v[18:19], -v[18:19], v[37:38], v[47:48]
	v_fma_f64 v[16:17], v[16:17], v[37:38], v[35:36]
	s_waitcnt vmcnt(1)
	v_fma_f64 v[35:36], v[12:13], v[31:32], v[43:44]
	v_fma_f64 v[37:38], v[14:15], v[31:32], v[45:46]
	s_waitcnt vmcnt(0)
	v_fma_f64 v[43:44], v[39:40], v[31:32], v[18:19]
	v_fma_f64 v[31:32], v[41:42], v[31:32], v[16:17]
	v_fma_f64 v[18:19], -v[14:15], v[33:34], v[35:36]
	v_fma_f64 v[16:17], v[12:13], v[33:34], v[37:38]
	v_fma_f64 v[12:13], -v[41:42], v[33:34], v[43:44]
	v_fma_f64 v[14:15], v[39:40], v[33:34], v[31:32]
	s_cbranch_scc0 .LBB282_8
; %bb.9:                                ;   in Loop: Header=BB282_7 Depth=1
	v_add_u32_e32 v22, 64, v22
	v_cmp_ge_i32_e32 vcc, v22, v25
	v_add_u32_e32 v26, 0x600, v26
	s_or_b64 s[8:9], vcc, s[8:9]
	v_add_u32_e32 v27, 0x600, v27
	s_andn2_b64 exec, exec, s[8:9]
	s_cbranch_execnz .LBB282_7
; %bb.10:
	s_or_b64 exec, exec, s[8:9]
.LBB282_11:
	s_or_b64 exec, exec, s[6:7]
	s_cbranch_execz .LBB282_13
	s_branch .LBB282_20
.LBB282_12:
                                        ; implicit-def: $vgpr16_vgpr17
                                        ; implicit-def: $vgpr18_vgpr19
                                        ; implicit-def: $vgpr12_vgpr13
                                        ; implicit-def: $vgpr14_vgpr15
.LBB282_13:
	v_mov_b32_e32 v16, 0
	v_mov_b32_e32 v18, 0
	;; [unrolled: 1-line block ×8, first 2 shown]
	s_and_saveexec_b64 s[2:3], s[0:1]
	s_cbranch_execz .LBB282_19
; %bb.14:
	v_mul_lo_u32 v11, v11, 24
	v_mul_lo_u32 v22, v10, 24
	s_mul_i32 s0, s16, 24
	v_mov_b32_e32 v16, 0
	v_mad_u32_u24 v11, v0, 24, v11
	v_mov_b32_e32 v18, 0
	v_mov_b32_e32 v12, 0
	;; [unrolled: 1-line block ×4, first 2 shown]
	v_subrev_u32_e32 v23, s0, v11
	s_mov_b64 s[0:1], 0
	v_mov_b32_e32 v24, s11
	v_mov_b32_e32 v21, 0
	;; [unrolled: 1-line block ×7, first 2 shown]
.LBB282_15:                             ; =>This Loop Header: Depth=1
                                        ;     Child Loop BB282_16 Depth 2
	v_ashrrev_i32_e32 v11, 31, v10
	v_lshlrev_b64 v[28:29], 2, v[10:11]
	s_mov_b32 s6, 0
	v_add_co_u32_e32 v28, vcc, s10, v28
	v_addc_co_u32_e32 v29, vcc, v24, v29, vcc
	global_load_dword v11, v[28:29], off
	s_waitcnt vmcnt(0)
	v_subrev_u32_e32 v11, s16, v11
	v_mul_lo_u32 v11, v11, 12
.LBB282_16:                             ;   Parent Loop BB282_15 Depth=1
                                        ; =>  This Inner Loop Header: Depth=2
	v_add_u32_e32 v20, s6, v23
	v_lshlrev_b64 v[28:29], 4, v[20:21]
	v_add_u32_e32 v20, s6, v11
	v_lshlrev_b64 v[32:33], 4, v[20:21]
	v_add_co_u32_e32 v36, vcc, s12, v28
	v_addc_co_u32_e32 v37, vcc, v26, v29, vcc
	v_add_co_u32_e32 v38, vcc, s14, v32
	v_addc_co_u32_e32 v39, vcc, v27, v33, vcc
	global_load_dwordx4 v[28:31], v[36:37], off
	global_load_dwordx4 v[32:35], v[38:39], off
	v_add3_u32 v20, v22, s6, 12
	s_add_i32 s6, s6, 4
	s_cmp_eq_u32 s6, 12
	s_waitcnt vmcnt(0)
	v_fma_f64 v[16:17], v[30:31], v[32:33], v[16:17]
	v_fma_f64 v[18:19], v[28:29], v[32:33], v[18:19]
	v_fma_f64 v[28:29], v[28:29], v[34:35], v[16:17]
	v_lshlrev_b64 v[16:17], 4, v[20:21]
	v_fma_f64 v[30:31], -v[30:31], v[34:35], v[18:19]
	v_add_co_u32_e32 v40, vcc, s12, v16
	v_addc_co_u32_e32 v41, vcc, v26, v17, vcc
	global_load_dwordx4 v[16:19], v[40:41], off
	s_waitcnt vmcnt(0)
	v_fma_f64 v[12:13], v[16:17], v[32:33], v[12:13]
	v_fma_f64 v[14:15], v[18:19], v[32:33], v[14:15]
	v_fma_f64 v[32:33], -v[18:19], v[34:35], v[12:13]
	v_fma_f64 v[34:35], v[16:17], v[34:35], v[14:15]
	global_load_dwordx4 v[12:15], v[36:37], off offset:16
	global_load_dwordx4 v[16:19], v[38:39], off offset:16
	s_waitcnt vmcnt(0)
	v_fma_f64 v[30:31], v[12:13], v[16:17], v[30:31]
	v_fma_f64 v[28:29], v[14:15], v[16:17], v[28:29]
	v_fma_f64 v[30:31], -v[14:15], v[18:19], v[30:31]
	v_fma_f64 v[28:29], v[12:13], v[18:19], v[28:29]
	global_load_dwordx4 v[12:15], v[40:41], off offset:16
	s_waitcnt vmcnt(0)
	v_fma_f64 v[32:33], v[12:13], v[16:17], v[32:33]
	v_fma_f64 v[16:17], v[14:15], v[16:17], v[34:35]
	v_fma_f64 v[32:33], -v[14:15], v[18:19], v[32:33]
	v_fma_f64 v[34:35], v[12:13], v[18:19], v[16:17]
	global_load_dwordx4 v[12:15], v[36:37], off offset:32
	global_load_dwordx4 v[16:19], v[38:39], off offset:32
	s_waitcnt vmcnt(0)
	v_fma_f64 v[30:31], v[12:13], v[16:17], v[30:31]
	v_fma_f64 v[28:29], v[14:15], v[16:17], v[28:29]
	v_fma_f64 v[42:43], -v[14:15], v[18:19], v[30:31]
	v_fma_f64 v[44:45], v[12:13], v[18:19], v[28:29]
	global_load_dwordx4 v[12:15], v[40:41], off offset:32
	s_waitcnt vmcnt(0)
	v_fma_f64 v[28:29], v[12:13], v[16:17], v[32:33]
	v_fma_f64 v[16:17], v[14:15], v[16:17], v[34:35]
	v_fma_f64 v[46:47], -v[14:15], v[18:19], v[28:29]
	v_fma_f64 v[16:17], v[12:13], v[18:19], v[16:17]
	global_load_dwordx4 v[12:15], v[36:37], off offset:48
	global_load_dwordx4 v[28:31], v[38:39], off offset:48
	global_load_dwordx4 v[32:35], v[40:41], off offset:48
	s_waitcnt vmcnt(1)
	v_fma_f64 v[18:19], v[12:13], v[28:29], v[42:43]
	v_fma_f64 v[36:37], v[14:15], v[28:29], v[44:45]
	s_waitcnt vmcnt(0)
	v_fma_f64 v[38:39], v[32:33], v[28:29], v[46:47]
	v_fma_f64 v[28:29], v[34:35], v[28:29], v[16:17]
	v_fma_f64 v[18:19], -v[14:15], v[30:31], v[18:19]
	v_fma_f64 v[16:17], v[12:13], v[30:31], v[36:37]
	v_fma_f64 v[12:13], -v[34:35], v[30:31], v[38:39]
	v_fma_f64 v[14:15], v[32:33], v[30:31], v[28:29]
	s_cbranch_scc0 .LBB282_16
; %bb.17:                               ;   in Loop: Header=BB282_15 Depth=1
	v_add_u32_e32 v10, 64, v10
	v_cmp_ge_i32_e32 vcc, v10, v25
	v_add_u32_e32 v22, 0x600, v22
	s_or_b64 s[0:1], vcc, s[0:1]
	v_add_u32_e32 v23, 0x600, v23
	s_andn2_b64 exec, exec, s[0:1]
	s_cbranch_execnz .LBB282_15
; %bb.18:
	s_or_b64 exec, exec, s[0:1]
.LBB282_19:
	s_or_b64 exec, exec, s[2:3]
.LBB282_20:
	v_mov_b32_dpp v10, v18 row_shr:1 row_mask:0xf bank_mask:0xf
	v_mov_b32_dpp v11, v19 row_shr:1 row_mask:0xf bank_mask:0xf
	v_add_f64 v[10:11], v[18:19], v[10:11]
	v_mov_b32_dpp v18, v16 row_shr:1 row_mask:0xf bank_mask:0xf
	v_mov_b32_dpp v19, v17 row_shr:1 row_mask:0xf bank_mask:0xf
	v_add_f64 v[16:17], v[16:17], v[18:19]
	;; [unrolled: 3-line block ×3, first 2 shown]
	v_cmp_eq_u32_e32 vcc, 63, v0
	v_mov_b32_dpp v18, v10 row_shr:2 row_mask:0xf bank_mask:0xf
	v_mov_b32_dpp v19, v11 row_shr:2 row_mask:0xf bank_mask:0xf
	v_add_f64 v[10:11], v[10:11], v[18:19]
	v_mov_b32_dpp v18, v12 row_shr:1 row_mask:0xf bank_mask:0xf
	v_mov_b32_dpp v19, v13 row_shr:1 row_mask:0xf bank_mask:0xf
	v_add_f64 v[12:13], v[12:13], v[18:19]
	v_mov_b32_dpp v18, v16 row_shr:2 row_mask:0xf bank_mask:0xf
	v_mov_b32_dpp v19, v10 row_shr:4 row_mask:0xf bank_mask:0xe
	v_mov_b32_dpp v20, v11 row_shr:4 row_mask:0xf bank_mask:0xe
	v_add_f64 v[10:11], v[10:11], v[19:20]
	v_mov_b32_dpp v19, v17 row_shr:2 row_mask:0xf bank_mask:0xf
	;; [unrolled: 4-line block ×3, first 2 shown]
	v_add_f64 v[12:13], v[12:13], v[20:21]
	v_mov_b32_dpp v19, v15 row_shr:2 row_mask:0xf bank_mask:0xf
	v_add_f64 v[14:15], v[14:15], v[18:19]
	v_mov_b32_dpp v20, v10 row_shr:8 row_mask:0xf bank_mask:0xc
	v_mov_b32_dpp v21, v11 row_shr:8 row_mask:0xf bank_mask:0xc
	v_add_f64 v[10:11], v[10:11], v[20:21]
	v_mov_b32_dpp v18, v16 row_shr:4 row_mask:0xf bank_mask:0xe
	v_mov_b32_dpp v19, v17 row_shr:4 row_mask:0xf bank_mask:0xe
	;; [unrolled: 1-line block ×3, first 2 shown]
	v_add_f64 v[16:17], v[16:17], v[18:19]
	v_mov_b32_dpp v21, v13 row_shr:4 row_mask:0xf bank_mask:0xe
	v_add_f64 v[12:13], v[12:13], v[20:21]
	v_mov_b32_dpp v19, v14 row_shr:4 row_mask:0xf bank_mask:0xe
	v_mov_b32_dpp v20, v15 row_shr:4 row_mask:0xf bank_mask:0xe
	v_add_f64 v[14:15], v[14:15], v[19:20]
	v_mov_b32_dpp v18, v10 row_bcast:15 row_mask:0xa bank_mask:0xf
	v_mov_b32_dpp v19, v11 row_bcast:15 row_mask:0xa bank_mask:0xf
	v_mov_b32_dpp v20, v16 row_shr:8 row_mask:0xf bank_mask:0xc
	v_mov_b32_dpp v21, v17 row_shr:8 row_mask:0xf bank_mask:0xc
	v_add_f64 v[16:17], v[16:17], v[20:21]
	v_mov_b32_dpp v20, v12 row_shr:8 row_mask:0xf bank_mask:0xc
	v_mov_b32_dpp v21, v13 row_shr:8 row_mask:0xf bank_mask:0xc
	v_add_f64 v[20:21], v[12:13], v[20:21]
	;; [unrolled: 3-line block ×3, first 2 shown]
	v_add_f64 v[10:11], v[10:11], v[18:19]
	v_mov_b32_dpp v12, v16 row_bcast:15 row_mask:0xa bank_mask:0xf
	v_mov_b32_dpp v13, v17 row_bcast:15 row_mask:0xa bank_mask:0xf
	v_add_f64 v[12:13], v[16:17], v[12:13]
	v_mov_b32_dpp v16, v20 row_bcast:15 row_mask:0xa bank_mask:0xf
	v_mov_b32_dpp v17, v21 row_bcast:15 row_mask:0xa bank_mask:0xf
	;; [unrolled: 3-line block ×4, first 2 shown]
	v_mov_b32_dpp v16, v12 row_bcast:31 row_mask:0xc bank_mask:0xf
	v_mov_b32_dpp v17, v13 row_bcast:31 row_mask:0xc bank_mask:0xf
	;; [unrolled: 1-line block ×6, first 2 shown]
	s_and_b64 exec, exec, vcc
	s_cbranch_execz .LBB282_25
; %bb.21:
	v_cmp_eq_f64_e32 vcc, 0, v[5:6]
	v_cmp_eq_f64_e64 s[0:1], 0, v[7:8]
	v_add_f64 v[10:11], v[10:11], v[24:25]
	v_add_f64 v[16:17], v[12:13], v[16:17]
	;; [unrolled: 1-line block ×4, first 2 shown]
	s_load_dwordx2 s[2:3], s[4:5], 0x48
	s_and_b64 s[0:1], vcc, s[0:1]
	s_and_saveexec_b64 s[4:5], s[0:1]
	s_xor_b64 s[0:1], exec, s[4:5]
	s_cbranch_execz .LBB282_23
; %bb.22:
	v_mul_f64 v[5:6], v[16:17], -v[3:4]
	v_mul_f64 v[7:8], v[1:2], v[16:17]
	v_mul_f64 v[16:17], v[14:15], -v[3:4]
	v_mul_f64 v[14:15], v[1:2], v[14:15]
	v_lshlrev_b32_e32 v9, 1, v9
	s_waitcnt lgkmcnt(0)
	v_mov_b32_e32 v18, s3
	v_fma_f64 v[5:6], v[1:2], v[10:11], v[5:6]
	v_fma_f64 v[7:8], v[3:4], v[10:11], v[7:8]
	;; [unrolled: 1-line block ×4, first 2 shown]
	v_ashrrev_i32_e32 v10, 31, v9
	v_lshlrev_b64 v[9:10], 4, v[9:10]
                                        ; implicit-def: $vgpr16_vgpr17
                                        ; implicit-def: $vgpr12_vgpr13
                                        ; implicit-def: $vgpr14_vgpr15
	v_add_co_u32_e32 v9, vcc, s2, v9
	v_addc_co_u32_e32 v10, vcc, v18, v10, vcc
	global_store_dwordx4 v[9:10], v[5:8], off
	global_store_dwordx4 v[9:10], v[0:3], off offset:16
                                        ; implicit-def: $vgpr9
                                        ; implicit-def: $vgpr10_vgpr11
                                        ; implicit-def: $vgpr7_vgpr8
                                        ; implicit-def: $vgpr3_vgpr4
.LBB282_23:
	s_andn2_saveexec_b64 s[0:1], s[0:1]
	s_cbranch_execz .LBB282_25
; %bb.24:
	v_lshlrev_b32_e32 v18, 1, v9
	v_ashrrev_i32_e32 v19, 31, v18
	v_lshlrev_b64 v[18:19], 4, v[18:19]
	s_waitcnt lgkmcnt(0)
	v_mov_b32_e32 v0, s3
	v_add_co_u32_e32 v26, vcc, s2, v18
	v_addc_co_u32_e32 v27, vcc, v0, v19, vcc
	global_load_dwordx4 v[18:21], v[26:27], off
	global_load_dwordx4 v[22:25], v[26:27], off offset:16
	v_mul_f64 v[28:29], v[16:17], -v[3:4]
	v_mul_f64 v[16:17], v[1:2], v[16:17]
	v_mul_f64 v[30:31], v[14:15], -v[3:4]
	v_mul_f64 v[14:15], v[1:2], v[14:15]
	v_fma_f64 v[28:29], v[1:2], v[10:11], v[28:29]
	v_fma_f64 v[9:10], v[3:4], v[10:11], v[16:17]
	;; [unrolled: 1-line block ×4, first 2 shown]
	s_waitcnt vmcnt(1)
	v_fma_f64 v[11:12], v[5:6], v[18:19], v[28:29]
	v_fma_f64 v[9:10], v[7:8], v[18:19], v[9:10]
	s_waitcnt vmcnt(0)
	v_fma_f64 v[13:14], v[5:6], v[22:23], v[0:1]
	v_fma_f64 v[15:16], v[7:8], v[22:23], v[2:3]
	v_fma_f64 v[0:1], -v[7:8], v[20:21], v[11:12]
	v_fma_f64 v[2:3], v[5:6], v[20:21], v[9:10]
	v_fma_f64 v[7:8], -v[7:8], v[24:25], v[13:14]
	v_fma_f64 v[9:10], v[5:6], v[24:25], v[15:16]
	global_store_dwordx4 v[26:27], v[0:3], off
	global_store_dwordx4 v[26:27], v[7:10], off offset:16
.LBB282_25:
	s_endpgm
	.section	.rodata,"a",@progbits
	.p2align	6, 0x0
	.amdhsa_kernel _ZN9rocsparseL19gebsrmvn_2xn_kernelILj128ELj12ELj64E21rocsparse_complex_numIdEEEvi20rocsparse_direction_NS_24const_host_device_scalarIT2_EEPKiS8_PKS5_SA_S6_PS5_21rocsparse_index_base_b
		.amdhsa_group_segment_fixed_size 0
		.amdhsa_private_segment_fixed_size 0
		.amdhsa_kernarg_size 88
		.amdhsa_user_sgpr_count 6
		.amdhsa_user_sgpr_private_segment_buffer 1
		.amdhsa_user_sgpr_dispatch_ptr 0
		.amdhsa_user_sgpr_queue_ptr 0
		.amdhsa_user_sgpr_kernarg_segment_ptr 1
		.amdhsa_user_sgpr_dispatch_id 0
		.amdhsa_user_sgpr_flat_scratch_init 0
		.amdhsa_user_sgpr_private_segment_size 0
		.amdhsa_uses_dynamic_stack 0
		.amdhsa_system_sgpr_private_segment_wavefront_offset 0
		.amdhsa_system_sgpr_workgroup_id_x 1
		.amdhsa_system_sgpr_workgroup_id_y 0
		.amdhsa_system_sgpr_workgroup_id_z 0
		.amdhsa_system_sgpr_workgroup_info 0
		.amdhsa_system_vgpr_workitem_id 0
		.amdhsa_next_free_vgpr 56
		.amdhsa_next_free_sgpr 18
		.amdhsa_reserve_vcc 1
		.amdhsa_reserve_flat_scratch 0
		.amdhsa_float_round_mode_32 0
		.amdhsa_float_round_mode_16_64 0
		.amdhsa_float_denorm_mode_32 3
		.amdhsa_float_denorm_mode_16_64 3
		.amdhsa_dx10_clamp 1
		.amdhsa_ieee_mode 1
		.amdhsa_fp16_overflow 0
		.amdhsa_exception_fp_ieee_invalid_op 0
		.amdhsa_exception_fp_denorm_src 0
		.amdhsa_exception_fp_ieee_div_zero 0
		.amdhsa_exception_fp_ieee_overflow 0
		.amdhsa_exception_fp_ieee_underflow 0
		.amdhsa_exception_fp_ieee_inexact 0
		.amdhsa_exception_int_div_zero 0
	.end_amdhsa_kernel
	.section	.text._ZN9rocsparseL19gebsrmvn_2xn_kernelILj128ELj12ELj64E21rocsparse_complex_numIdEEEvi20rocsparse_direction_NS_24const_host_device_scalarIT2_EEPKiS8_PKS5_SA_S6_PS5_21rocsparse_index_base_b,"axG",@progbits,_ZN9rocsparseL19gebsrmvn_2xn_kernelILj128ELj12ELj64E21rocsparse_complex_numIdEEEvi20rocsparse_direction_NS_24const_host_device_scalarIT2_EEPKiS8_PKS5_SA_S6_PS5_21rocsparse_index_base_b,comdat
.Lfunc_end282:
	.size	_ZN9rocsparseL19gebsrmvn_2xn_kernelILj128ELj12ELj64E21rocsparse_complex_numIdEEEvi20rocsparse_direction_NS_24const_host_device_scalarIT2_EEPKiS8_PKS5_SA_S6_PS5_21rocsparse_index_base_b, .Lfunc_end282-_ZN9rocsparseL19gebsrmvn_2xn_kernelILj128ELj12ELj64E21rocsparse_complex_numIdEEEvi20rocsparse_direction_NS_24const_host_device_scalarIT2_EEPKiS8_PKS5_SA_S6_PS5_21rocsparse_index_base_b
                                        ; -- End function
	.set _ZN9rocsparseL19gebsrmvn_2xn_kernelILj128ELj12ELj64E21rocsparse_complex_numIdEEEvi20rocsparse_direction_NS_24const_host_device_scalarIT2_EEPKiS8_PKS5_SA_S6_PS5_21rocsparse_index_base_b.num_vgpr, 56
	.set _ZN9rocsparseL19gebsrmvn_2xn_kernelILj128ELj12ELj64E21rocsparse_complex_numIdEEEvi20rocsparse_direction_NS_24const_host_device_scalarIT2_EEPKiS8_PKS5_SA_S6_PS5_21rocsparse_index_base_b.num_agpr, 0
	.set _ZN9rocsparseL19gebsrmvn_2xn_kernelILj128ELj12ELj64E21rocsparse_complex_numIdEEEvi20rocsparse_direction_NS_24const_host_device_scalarIT2_EEPKiS8_PKS5_SA_S6_PS5_21rocsparse_index_base_b.numbered_sgpr, 18
	.set _ZN9rocsparseL19gebsrmvn_2xn_kernelILj128ELj12ELj64E21rocsparse_complex_numIdEEEvi20rocsparse_direction_NS_24const_host_device_scalarIT2_EEPKiS8_PKS5_SA_S6_PS5_21rocsparse_index_base_b.num_named_barrier, 0
	.set _ZN9rocsparseL19gebsrmvn_2xn_kernelILj128ELj12ELj64E21rocsparse_complex_numIdEEEvi20rocsparse_direction_NS_24const_host_device_scalarIT2_EEPKiS8_PKS5_SA_S6_PS5_21rocsparse_index_base_b.private_seg_size, 0
	.set _ZN9rocsparseL19gebsrmvn_2xn_kernelILj128ELj12ELj64E21rocsparse_complex_numIdEEEvi20rocsparse_direction_NS_24const_host_device_scalarIT2_EEPKiS8_PKS5_SA_S6_PS5_21rocsparse_index_base_b.uses_vcc, 1
	.set _ZN9rocsparseL19gebsrmvn_2xn_kernelILj128ELj12ELj64E21rocsparse_complex_numIdEEEvi20rocsparse_direction_NS_24const_host_device_scalarIT2_EEPKiS8_PKS5_SA_S6_PS5_21rocsparse_index_base_b.uses_flat_scratch, 0
	.set _ZN9rocsparseL19gebsrmvn_2xn_kernelILj128ELj12ELj64E21rocsparse_complex_numIdEEEvi20rocsparse_direction_NS_24const_host_device_scalarIT2_EEPKiS8_PKS5_SA_S6_PS5_21rocsparse_index_base_b.has_dyn_sized_stack, 0
	.set _ZN9rocsparseL19gebsrmvn_2xn_kernelILj128ELj12ELj64E21rocsparse_complex_numIdEEEvi20rocsparse_direction_NS_24const_host_device_scalarIT2_EEPKiS8_PKS5_SA_S6_PS5_21rocsparse_index_base_b.has_recursion, 0
	.set _ZN9rocsparseL19gebsrmvn_2xn_kernelILj128ELj12ELj64E21rocsparse_complex_numIdEEEvi20rocsparse_direction_NS_24const_host_device_scalarIT2_EEPKiS8_PKS5_SA_S6_PS5_21rocsparse_index_base_b.has_indirect_call, 0
	.section	.AMDGPU.csdata,"",@progbits
; Kernel info:
; codeLenInByte = 2600
; TotalNumSgprs: 22
; NumVgprs: 56
; ScratchSize: 0
; MemoryBound: 1
; FloatMode: 240
; IeeeMode: 1
; LDSByteSize: 0 bytes/workgroup (compile time only)
; SGPRBlocks: 2
; VGPRBlocks: 13
; NumSGPRsForWavesPerEU: 22
; NumVGPRsForWavesPerEU: 56
; Occupancy: 4
; WaveLimiterHint : 1
; COMPUTE_PGM_RSRC2:SCRATCH_EN: 0
; COMPUTE_PGM_RSRC2:USER_SGPR: 6
; COMPUTE_PGM_RSRC2:TRAP_HANDLER: 0
; COMPUTE_PGM_RSRC2:TGID_X_EN: 1
; COMPUTE_PGM_RSRC2:TGID_Y_EN: 0
; COMPUTE_PGM_RSRC2:TGID_Z_EN: 0
; COMPUTE_PGM_RSRC2:TIDIG_COMP_CNT: 0
	.section	.text._ZN9rocsparseL19gebsrmvn_2xn_kernelILj128ELj13ELj4E21rocsparse_complex_numIdEEEvi20rocsparse_direction_NS_24const_host_device_scalarIT2_EEPKiS8_PKS5_SA_S6_PS5_21rocsparse_index_base_b,"axG",@progbits,_ZN9rocsparseL19gebsrmvn_2xn_kernelILj128ELj13ELj4E21rocsparse_complex_numIdEEEvi20rocsparse_direction_NS_24const_host_device_scalarIT2_EEPKiS8_PKS5_SA_S6_PS5_21rocsparse_index_base_b,comdat
	.globl	_ZN9rocsparseL19gebsrmvn_2xn_kernelILj128ELj13ELj4E21rocsparse_complex_numIdEEEvi20rocsparse_direction_NS_24const_host_device_scalarIT2_EEPKiS8_PKS5_SA_S6_PS5_21rocsparse_index_base_b ; -- Begin function _ZN9rocsparseL19gebsrmvn_2xn_kernelILj128ELj13ELj4E21rocsparse_complex_numIdEEEvi20rocsparse_direction_NS_24const_host_device_scalarIT2_EEPKiS8_PKS5_SA_S6_PS5_21rocsparse_index_base_b
	.p2align	8
	.type	_ZN9rocsparseL19gebsrmvn_2xn_kernelILj128ELj13ELj4E21rocsparse_complex_numIdEEEvi20rocsparse_direction_NS_24const_host_device_scalarIT2_EEPKiS8_PKS5_SA_S6_PS5_21rocsparse_index_base_b,@function
_ZN9rocsparseL19gebsrmvn_2xn_kernelILj128ELj13ELj4E21rocsparse_complex_numIdEEEvi20rocsparse_direction_NS_24const_host_device_scalarIT2_EEPKiS8_PKS5_SA_S6_PS5_21rocsparse_index_base_b: ; @_ZN9rocsparseL19gebsrmvn_2xn_kernelILj128ELj13ELj4E21rocsparse_complex_numIdEEEvi20rocsparse_direction_NS_24const_host_device_scalarIT2_EEPKiS8_PKS5_SA_S6_PS5_21rocsparse_index_base_b
; %bb.0:
	s_load_dwordx2 s[0:1], s[4:5], 0x8
	s_load_dwordx2 s[8:9], s[4:5], 0x38
	;; [unrolled: 1-line block ×3, first 2 shown]
	s_add_u32 s7, s4, 8
	s_addc_u32 s10, s5, 0
	s_add_u32 s11, s4, 56
	s_addc_u32 s12, s5, 0
	s_waitcnt lgkmcnt(0)
	s_bitcmp1_b32 s3, 0
	s_cselect_b32 s1, s10, s1
	s_cselect_b32 s0, s7, s0
	v_mov_b32_e32 v1, s0
	v_mov_b32_e32 v2, s1
	flat_load_dwordx4 v[1:4], v[1:2]
	s_cselect_b32 s0, s12, s9
	s_cselect_b32 s1, s11, s8
	v_mov_b32_e32 v5, s1
	v_mov_b32_e32 v6, s0
	flat_load_dwordx4 v[5:8], v[5:6]
	s_waitcnt vmcnt(0) lgkmcnt(0)
	v_cmp_eq_f64_e32 vcc, 0, v[1:2]
	v_cmp_eq_f64_e64 s[0:1], 0, v[3:4]
	s_and_b64 s[10:11], vcc, s[0:1]
	s_mov_b64 s[0:1], -1
	s_and_saveexec_b64 s[8:9], s[10:11]
	s_cbranch_execz .LBB283_2
; %bb.1:
	v_cmp_neq_f64_e32 vcc, 1.0, v[5:6]
	v_cmp_neq_f64_e64 s[0:1], 0, v[7:8]
	s_or_b64 s[0:1], vcc, s[0:1]
	s_orn2_b64 s[0:1], s[0:1], exec
.LBB283_2:
	s_or_b64 exec, exec, s[8:9]
	s_and_saveexec_b64 s[8:9], s[0:1]
	s_cbranch_execz .LBB283_29
; %bb.3:
	s_load_dwordx2 s[0:1], s[4:5], 0x0
	v_lshrrev_b32_e32 v9, 2, v0
	v_lshl_or_b32 v9, s6, 5, v9
	s_waitcnt lgkmcnt(0)
	v_cmp_gt_i32_e32 vcc, s0, v9
	s_and_b64 exec, exec, vcc
	s_cbranch_execz .LBB283_29
; %bb.4:
	s_load_dwordx8 s[8:15], s[4:5], 0x18
	v_ashrrev_i32_e32 v10, 31, v9
	v_lshlrev_b64 v[10:11], 2, v[9:10]
	v_and_b32_e32 v0, 3, v0
	s_cmp_lg_u32 s1, 0
	s_waitcnt lgkmcnt(0)
	v_mov_b32_e32 v12, s9
	v_add_co_u32_e32 v10, vcc, s8, v10
	v_addc_co_u32_e32 v11, vcc, v12, v11, vcc
	global_load_dwordx2 v[11:12], v[10:11], off
	s_waitcnt vmcnt(0)
	v_subrev_u32_e32 v10, s2, v11
	v_subrev_u32_e32 v33, s2, v12
	v_add_u32_e32 v10, v10, v0
	v_cmp_lt_i32_e64 s[0:1], v10, v33
	s_cbranch_scc0 .LBB283_12
; %bb.5:
	v_mov_b32_e32 v12, 0
	v_mov_b32_e32 v18, 0
	v_mov_b32_e32 v16, 0
	v_mov_b32_e32 v14, 0
	v_mov_b32_e32 v13, 0
	v_mov_b32_e32 v19, 0
	v_mov_b32_e32 v17, 0
	v_mov_b32_e32 v15, 0
	s_and_saveexec_b64 s[6:7], s[0:1]
	s_cbranch_execz .LBB283_14
; %bb.6:
	v_mul_lo_u32 v14, v11, 26
	v_mul_lo_u32 v34, v10, 26
	s_mul_i32 s3, s2, 26
	v_mov_b32_e32 v12, 0
	v_mad_u32_u24 v14, v0, 26, v14
	v_subrev_u32_e32 v35, s3, v14
	v_mov_b32_e32 v18, 0
	v_mov_b32_e32 v16, 0
	;; [unrolled: 1-line block ×4, first 2 shown]
	s_mov_b64 s[8:9], 0
	v_mov_b32_e32 v36, s11
	v_mov_b32_e32 v21, 0
	;; [unrolled: 1-line block ×8, first 2 shown]
	s_branch .LBB283_8
.LBB283_7:                              ;   in Loop: Header=BB283_8 Depth=1
	v_add_u32_e32 v22, 4, v22
	v_cmp_ge_i32_e32 vcc, v22, v33
	v_add_u32_e32 v34, 0x68, v34
	s_or_b64 s[8:9], vcc, s[8:9]
	v_add_u32_e32 v35, 0x68, v35
	s_andn2_b64 exec, exec, s[8:9]
	s_cbranch_execz .LBB283_13
.LBB283_8:                              ; =>This Loop Header: Depth=1
                                        ;     Child Loop BB283_10 Depth 2
	v_ashrrev_i32_e32 v23, 31, v22
	v_lshlrev_b64 v[23:24], 2, v[22:23]
	v_mov_b32_e32 v28, v13
	v_add_co_u32_e32 v23, vcc, s10, v23
	v_addc_co_u32_e32 v24, vcc, v36, v24, vcc
	global_load_dword v20, v[23:24], off
	v_mov_b32_e32 v26, v19
	v_mov_b32_e32 v30, v17
	v_mov_b32_e32 v32, v15
	s_mov_b32 s3, 0
	v_mov_b32_e32 v27, v12
	v_mov_b32_e32 v25, v18
	;; [unrolled: 1-line block ×4, first 2 shown]
	s_waitcnt vmcnt(0)
	v_subrev_u32_e32 v20, s2, v20
	v_mul_lo_u32 v23, v20, 13
	s_branch .LBB283_10
.LBB283_9:                              ;   in Loop: Header=BB283_8 Depth=1
                                        ; implicit-def: $vgpr31_vgpr32
                                        ; implicit-def: $vgpr29_vgpr30
                                        ; implicit-def: $vgpr25_vgpr26
                                        ; implicit-def: $vgpr27_vgpr28
                                        ; implicit-def: $sgpr3
                                        ; implicit-def: $vgpr23
	s_branch .LBB283_7
.LBB283_10:                             ;   Parent Loop BB283_8 Depth=1
                                        ; =>  This Inner Loop Header: Depth=2
	v_add_u32_e32 v20, s3, v35
	v_lshlrev_b64 v[12:13], 4, v[20:21]
	v_mov_b32_e32 v24, v21
	v_add_co_u32_e32 v43, vcc, s12, v12
	v_addc_co_u32_e32 v44, vcc, v37, v13, vcc
	v_lshlrev_b64 v[12:13], 4, v[23:24]
	s_cmp_eq_u32 s3, 24
	v_add_co_u32_e32 v45, vcc, s14, v12
	v_addc_co_u32_e32 v46, vcc, v38, v13, vcc
	global_load_dwordx4 v[12:15], v[45:46], off
	global_load_dwordx4 v[16:19], v[43:44], off
	global_load_dwordx4 v[39:42], v[43:44], off offset:16
	s_waitcnt vmcnt(1)
	v_fma_f64 v[24:25], v[16:17], v[12:13], v[25:26]
	v_fma_f64 v[26:27], v[18:19], v[12:13], v[27:28]
	s_waitcnt vmcnt(0)
	v_fma_f64 v[28:29], v[39:40], v[12:13], v[29:30]
	v_fma_f64 v[30:31], v[41:42], v[12:13], v[31:32]
	v_fma_f64 v[18:19], -v[18:19], v[14:15], v[24:25]
	v_fma_f64 v[12:13], v[16:17], v[14:15], v[26:27]
	v_fma_f64 v[16:17], -v[41:42], v[14:15], v[28:29]
	v_fma_f64 v[14:15], v[39:40], v[14:15], v[30:31]
	s_cbranch_scc1 .LBB283_9
; %bb.11:                               ;   in Loop: Header=BB283_10 Depth=2
	v_add_u32_e32 v53, s3, v34
	v_add_u32_e32 v20, 2, v53
	v_lshlrev_b64 v[24:25], 4, v[20:21]
	v_mov_b32_e32 v54, s13
	v_add_co_u32_e32 v39, vcc, s12, v24
	v_addc_co_u32_e32 v40, vcc, v54, v25, vcc
	v_add_u32_e32 v20, 1, v23
	global_load_dwordx4 v[24:27], v[39:40], off offset:16
	global_load_dwordx4 v[28:31], v[39:40], off
	v_lshlrev_b64 v[39:40], 4, v[20:21]
	v_mov_b32_e32 v55, s15
	v_add_co_u32_e32 v39, vcc, s14, v39
	v_addc_co_u32_e32 v40, vcc, v55, v40, vcc
	global_load_dwordx4 v[39:42], v[39:40], off
	v_add_u32_e32 v20, 4, v53
	s_add_i32 s3, s3, 8
	s_waitcnt vmcnt(0)
	v_fma_f64 v[43:44], v[28:29], v[39:40], v[18:19]
	v_fma_f64 v[43:44], -v[30:31], v[41:42], v[43:44]
	v_fma_f64 v[30:31], v[30:31], v[39:40], v[12:13]
	v_fma_f64 v[45:46], v[28:29], v[41:42], v[30:31]
	;; [unrolled: 1-line block ×3, first 2 shown]
	v_fma_f64 v[47:48], -v[26:27], v[41:42], v[28:29]
	v_fma_f64 v[26:27], v[26:27], v[39:40], v[14:15]
	v_fma_f64 v[49:50], v[24:25], v[41:42], v[26:27]
	v_lshlrev_b64 v[24:25], 4, v[20:21]
	v_add_u32_e32 v20, 2, v23
	v_add_co_u32_e32 v39, vcc, s12, v24
	v_addc_co_u32_e32 v40, vcc, v54, v25, vcc
	global_load_dwordx4 v[24:27], v[39:40], off offset:16
	global_load_dwordx4 v[28:31], v[39:40], off
	v_lshlrev_b64 v[39:40], 4, v[20:21]
	v_add_u32_e32 v20, 6, v53
	v_add_co_u32_e32 v39, vcc, s14, v39
	v_addc_co_u32_e32 v40, vcc, v55, v40, vcc
	global_load_dwordx4 v[39:42], v[39:40], off
	s_waitcnt vmcnt(0)
	v_fma_f64 v[43:44], v[28:29], v[39:40], v[43:44]
	v_fma_f64 v[51:52], -v[30:31], v[41:42], v[43:44]
	v_fma_f64 v[30:31], v[30:31], v[39:40], v[45:46]
	v_fma_f64 v[31:32], v[28:29], v[41:42], v[30:31]
	v_fma_f64 v[28:29], v[24:25], v[39:40], v[47:48]
	v_fma_f64 v[47:48], -v[26:27], v[41:42], v[28:29]
	v_fma_f64 v[26:27], v[26:27], v[39:40], v[49:50]
	v_fma_f64 v[49:50], v[24:25], v[41:42], v[26:27]
	v_lshlrev_b64 v[24:25], 4, v[20:21]
	v_add_u32_e32 v20, 3, v23
	v_add_co_u32_e32 v24, vcc, s12, v24
	v_addc_co_u32_e32 v25, vcc, v54, v25, vcc
	global_load_dwordx4 v[39:42], v[24:25], off offset:16
	global_load_dwordx4 v[27:30], v[24:25], off
	v_lshlrev_b64 v[24:25], 4, v[20:21]
	v_add_u32_e32 v23, 4, v23
	v_add_co_u32_e32 v24, vcc, s14, v24
	v_addc_co_u32_e32 v25, vcc, v55, v25, vcc
	global_load_dwordx4 v[43:46], v[24:25], off
	s_waitcnt vmcnt(0)
	v_fma_f64 v[24:25], v[27:28], v[43:44], v[51:52]
	v_fma_f64 v[25:26], -v[29:30], v[45:46], v[24:25]
	v_fma_f64 v[29:30], v[29:30], v[43:44], v[31:32]
	v_fma_f64 v[31:32], v[41:42], v[43:44], v[49:50]
	;; [unrolled: 1-line block ×5, first 2 shown]
	v_fma_f64 v[29:30], -v[41:42], v[45:46], v[29:30]
	s_cbranch_execnz .LBB283_10
	s_branch .LBB283_7
.LBB283_12:
                                        ; implicit-def: $vgpr12_vgpr13
                                        ; implicit-def: $vgpr18_vgpr19
                                        ; implicit-def: $vgpr16_vgpr17
                                        ; implicit-def: $vgpr14_vgpr15
	s_branch .LBB283_15
.LBB283_13:
	s_or_b64 exec, exec, s[8:9]
.LBB283_14:
	s_or_b64 exec, exec, s[6:7]
	s_cbranch_execnz .LBB283_24
.LBB283_15:
	v_mov_b32_e32 v12, 0
	v_mov_b32_e32 v18, 0
	;; [unrolled: 1-line block ×8, first 2 shown]
	s_and_saveexec_b64 s[6:7], s[0:1]
	s_cbranch_execz .LBB283_23
; %bb.16:
	v_mul_lo_u32 v11, v11, 26
	v_mul_lo_u32 v30, v10, 26
	s_mul_i32 s0, s2, 26
	v_mov_b32_e32 v12, 0
	v_mad_u32_u24 v11, v0, 26, v11
	v_mov_b32_e32 v18, 0
	v_mov_b32_e32 v16, 0
	;; [unrolled: 1-line block ×4, first 2 shown]
	v_subrev_u32_e32 v31, s0, v11
	s_mov_b64 s[0:1], 0
	v_mov_b32_e32 v32, s11
	v_mov_b32_e32 v21, 0
	;; [unrolled: 1-line block ×7, first 2 shown]
	s_branch .LBB283_18
.LBB283_17:                             ;   in Loop: Header=BB283_18 Depth=1
	v_add_u32_e32 v10, 4, v10
	v_cmp_ge_i32_e32 vcc, v10, v33
	v_add_u32_e32 v30, 0x68, v30
	s_or_b64 s[0:1], vcc, s[0:1]
	v_add_u32_e32 v31, 0x68, v31
	s_andn2_b64 exec, exec, s[0:1]
	s_cbranch_execz .LBB283_22
.LBB283_18:                             ; =>This Loop Header: Depth=1
                                        ;     Child Loop BB283_20 Depth 2
	v_ashrrev_i32_e32 v11, 31, v10
	v_lshlrev_b64 v[22:23], 2, v[10:11]
	v_mov_b32_e32 v27, v13
	v_add_co_u32_e32 v22, vcc, s10, v22
	v_addc_co_u32_e32 v23, vcc, v32, v23, vcc
	global_load_dword v11, v[22:23], off
	v_mov_b32_e32 v29, v19
	v_mov_b32_e32 v25, v17
	;; [unrolled: 1-line block ×3, first 2 shown]
	s_mov_b32 s3, 0
	v_mov_b32_e32 v26, v12
	v_mov_b32_e32 v28, v18
	;; [unrolled: 1-line block ×4, first 2 shown]
	s_waitcnt vmcnt(0)
	v_subrev_u32_e32 v11, s2, v11
	v_mul_lo_u32 v11, v11, 13
	s_branch .LBB283_20
.LBB283_19:                             ;   in Loop: Header=BB283_20 Depth=2
	s_andn2_b64 vcc, exec, s[8:9]
	s_cbranch_vccz .LBB283_17
.LBB283_20:                             ;   Parent Loop BB283_18 Depth=1
                                        ; =>  This Inner Loop Header: Depth=2
	v_add_u32_e32 v20, s3, v31
	v_lshlrev_b64 v[12:13], 4, v[20:21]
	v_add_u32_e32 v20, s3, v11
	v_add_co_u32_e32 v12, vcc, s12, v12
	v_lshlrev_b64 v[16:17], 4, v[20:21]
	v_addc_co_u32_e32 v13, vcc, v34, v13, vcc
	v_add_co_u32_e32 v16, vcc, s14, v16
	v_addc_co_u32_e32 v17, vcc, v35, v17, vcc
	v_add_u32_e32 v36, s3, v30
	global_load_dwordx4 v[37:40], v[16:17], off
	v_add_u32_e32 v16, 13, v36
	v_mov_b32_e32 v17, v21
	v_lshlrev_b64 v[16:17], 4, v[16:17]
	global_load_dwordx4 v[12:15], v[12:13], off
	v_add_co_u32_e32 v16, vcc, s12, v16
	v_addc_co_u32_e32 v17, vcc, v34, v17, vcc
	global_load_dwordx4 v[41:44], v[16:17], off
	s_cmp_eq_u32 s3, 12
	s_mov_b64 s[8:9], -1
	s_waitcnt vmcnt(1)
	v_fma_f64 v[16:17], v[12:13], v[37:38], v[28:29]
	v_fma_f64 v[26:27], v[14:15], v[37:38], v[26:27]
                                        ; implicit-def: $vgpr28_vgpr29
	s_waitcnt vmcnt(0)
	v_fma_f64 v[24:25], v[41:42], v[37:38], v[24:25]
	v_fma_f64 v[22:23], v[43:44], v[37:38], v[22:23]
	v_fma_f64 v[18:19], -v[14:15], v[39:40], v[16:17]
	v_fma_f64 v[12:13], v[12:13], v[39:40], v[26:27]
                                        ; implicit-def: $vgpr26_vgpr27
	v_fma_f64 v[16:17], -v[43:44], v[39:40], v[24:25]
	v_fma_f64 v[14:15], v[41:42], v[39:40], v[22:23]
                                        ; implicit-def: $vgpr22_vgpr23
                                        ; implicit-def: $vgpr24_vgpr25
	s_cbranch_scc1 .LBB283_19
; %bb.21:                               ;   in Loop: Header=BB283_20 Depth=2
	v_add_u32_e32 v22, 1, v36
	v_mov_b32_e32 v23, v21
	v_lshlrev_b64 v[22:23], 4, v[22:23]
	v_add_u32_e32 v26, 1, v20
	v_mov_b32_e32 v27, v21
	v_mov_b32_e32 v55, s13
	v_add_co_u32_e32 v22, vcc, s12, v22
	v_lshlrev_b64 v[26:27], 4, v[26:27]
	v_addc_co_u32_e32 v23, vcc, v55, v23, vcc
	v_mov_b32_e32 v56, s15
	v_add_co_u32_e32 v26, vcc, s14, v26
	v_addc_co_u32_e32 v27, vcc, v56, v27, vcc
	global_load_dwordx4 v[22:25], v[22:23], off
	v_add_u32_e32 v37, 14, v36
	global_load_dwordx4 v[26:29], v[26:27], off
	v_mov_b32_e32 v38, v21
	v_lshlrev_b64 v[37:38], 4, v[37:38]
	v_add_u32_e32 v43, 2, v36
	v_add_co_u32_e32 v41, vcc, s12, v37
	v_addc_co_u32_e32 v42, vcc, v55, v38, vcc
	global_load_dwordx4 v[37:40], v[41:42], off
	v_mov_b32_e32 v44, v21
	v_lshlrev_b64 v[43:44], 4, v[43:44]
	v_add_u32_e32 v45, 2, v20
	v_mov_b32_e32 v46, v21
	v_lshlrev_b64 v[45:46], 4, v[45:46]
	v_add_co_u32_e32 v43, vcc, s12, v43
	v_add_u32_e32 v20, 3, v20
	v_addc_co_u32_e32 v44, vcc, v55, v44, vcc
	v_add_co_u32_e32 v45, vcc, s14, v45
	v_addc_co_u32_e32 v46, vcc, v56, v46, vcc
	s_add_i32 s3, s3, 4
	s_mov_b64 s[8:9], 0
	s_waitcnt vmcnt(1)
	v_fma_f64 v[47:48], v[22:23], v[26:27], v[18:19]
	v_fma_f64 v[49:50], v[24:25], v[26:27], v[12:13]
	v_fma_f64 v[47:48], -v[24:25], v[28:29], v[47:48]
	s_waitcnt vmcnt(0)
	v_fma_f64 v[24:25], v[39:40], v[26:27], v[14:15]
	v_fma_f64 v[49:50], v[22:23], v[28:29], v[49:50]
	;; [unrolled: 1-line block ×4, first 2 shown]
	v_lshlrev_b64 v[37:38], 4, v[20:21]
	v_fma_f64 v[51:52], -v[39:40], v[28:29], v[22:23]
	global_load_dwordx4 v[22:25], v[43:44], off
	global_load_dwordx4 v[26:29], v[45:46], off
	v_add_co_u32_e32 v45, vcc, s14, v37
	v_addc_co_u32_e32 v46, vcc, v56, v38, vcc
	global_load_dwordx4 v[37:40], v[41:42], off offset:16
	v_add_u32_e32 v20, 16, v36
	s_waitcnt vmcnt(1)
	v_fma_f64 v[41:42], v[22:23], v[26:27], v[47:48]
	v_fma_f64 v[47:48], v[24:25], v[26:27], v[49:50]
	v_lshlrev_b64 v[49:50], 4, v[20:21]
	v_add_co_u32_e32 v49, vcc, s12, v49
	s_waitcnt vmcnt(0)
	v_fma_f64 v[51:52], v[37:38], v[26:27], v[51:52]
	v_fma_f64 v[26:27], v[39:40], v[26:27], v[53:54]
	v_addc_co_u32_e32 v50, vcc, v55, v50, vcc
	v_fma_f64 v[53:54], -v[24:25], v[28:29], v[41:42]
	v_fma_f64 v[47:48], v[22:23], v[28:29], v[47:48]
	global_load_dwordx4 v[22:25], v[43:44], off offset:16
	v_fma_f64 v[26:27], v[37:38], v[28:29], v[26:27]
	global_load_dwordx4 v[41:44], v[45:46], off
	v_fma_f64 v[45:46], -v[39:40], v[28:29], v[51:52]
	global_load_dwordx4 v[36:39], v[49:50], off
	s_waitcnt vmcnt(1)
	v_fma_f64 v[28:29], v[22:23], v[41:42], v[53:54]
	v_fma_f64 v[47:48], v[24:25], v[41:42], v[47:48]
	s_waitcnt vmcnt(0)
	v_fma_f64 v[45:46], v[36:37], v[41:42], v[45:46]
	v_fma_f64 v[40:41], v[38:39], v[41:42], v[26:27]
	v_fma_f64 v[28:29], -v[24:25], v[43:44], v[28:29]
	v_fma_f64 v[26:27], v[22:23], v[43:44], v[47:48]
	v_fma_f64 v[24:25], -v[38:39], v[43:44], v[45:46]
	v_fma_f64 v[22:23], v[36:37], v[43:44], v[40:41]
	s_branch .LBB283_19
.LBB283_22:
	s_or_b64 exec, exec, s[0:1]
.LBB283_23:
	s_or_b64 exec, exec, s[6:7]
.LBB283_24:
	v_mov_b32_dpp v10, v18 row_shr:1 row_mask:0xf bank_mask:0xf
	v_mov_b32_dpp v11, v19 row_shr:1 row_mask:0xf bank_mask:0xf
	v_add_f64 v[10:11], v[18:19], v[10:11]
	v_mov_b32_dpp v18, v12 row_shr:1 row_mask:0xf bank_mask:0xf
	v_mov_b32_dpp v19, v13 row_shr:1 row_mask:0xf bank_mask:0xf
	v_add_f64 v[12:13], v[12:13], v[18:19]
	;; [unrolled: 3-line block ×4, first 2 shown]
	v_mov_b32_dpp v24, v10 row_shr:2 row_mask:0xf bank_mask:0xf
	v_mov_b32_dpp v25, v11 row_shr:2 row_mask:0xf bank_mask:0xf
	;; [unrolled: 1-line block ×6, first 2 shown]
	v_cmp_eq_u32_e32 vcc, 3, v0
	v_mov_b32_dpp v20, v14 row_shr:2 row_mask:0xf bank_mask:0xf
	v_mov_b32_dpp v21, v15 row_shr:2 row_mask:0xf bank_mask:0xf
	s_and_b64 exec, exec, vcc
	s_cbranch_execz .LBB283_29
; %bb.25:
	v_cmp_eq_f64_e32 vcc, 0, v[5:6]
	v_cmp_eq_f64_e64 s[0:1], 0, v[7:8]
	v_add_f64 v[10:11], v[10:11], v[24:25]
	v_add_f64 v[16:17], v[12:13], v[16:17]
	v_add_f64 v[12:13], v[18:19], v[22:23]
	v_add_f64 v[14:15], v[14:15], v[20:21]
	s_load_dwordx2 s[2:3], s[4:5], 0x48
	s_and_b64 s[0:1], vcc, s[0:1]
	s_and_saveexec_b64 s[4:5], s[0:1]
	s_xor_b64 s[0:1], exec, s[4:5]
	s_cbranch_execz .LBB283_27
; %bb.26:
	v_mul_f64 v[5:6], v[16:17], -v[3:4]
	v_mul_f64 v[7:8], v[1:2], v[16:17]
	v_mul_f64 v[16:17], v[14:15], -v[3:4]
	v_mul_f64 v[14:15], v[1:2], v[14:15]
	v_lshlrev_b32_e32 v9, 1, v9
	s_waitcnt lgkmcnt(0)
	v_mov_b32_e32 v18, s3
	v_fma_f64 v[5:6], v[1:2], v[10:11], v[5:6]
	v_fma_f64 v[7:8], v[3:4], v[10:11], v[7:8]
	;; [unrolled: 1-line block ×4, first 2 shown]
	v_ashrrev_i32_e32 v10, 31, v9
	v_lshlrev_b64 v[9:10], 4, v[9:10]
                                        ; implicit-def: $vgpr16_vgpr17
                                        ; implicit-def: $vgpr12_vgpr13
                                        ; implicit-def: $vgpr14_vgpr15
	v_add_co_u32_e32 v9, vcc, s2, v9
	v_addc_co_u32_e32 v10, vcc, v18, v10, vcc
	global_store_dwordx4 v[9:10], v[5:8], off
	global_store_dwordx4 v[9:10], v[0:3], off offset:16
                                        ; implicit-def: $vgpr9
                                        ; implicit-def: $vgpr10_vgpr11
                                        ; implicit-def: $vgpr7_vgpr8
                                        ; implicit-def: $vgpr3_vgpr4
.LBB283_27:
	s_andn2_saveexec_b64 s[0:1], s[0:1]
	s_cbranch_execz .LBB283_29
; %bb.28:
	v_lshlrev_b32_e32 v18, 1, v9
	v_ashrrev_i32_e32 v19, 31, v18
	v_lshlrev_b64 v[18:19], 4, v[18:19]
	s_waitcnt lgkmcnt(0)
	v_mov_b32_e32 v0, s3
	v_add_co_u32_e32 v26, vcc, s2, v18
	v_addc_co_u32_e32 v27, vcc, v0, v19, vcc
	global_load_dwordx4 v[18:21], v[26:27], off
	global_load_dwordx4 v[22:25], v[26:27], off offset:16
	v_mul_f64 v[28:29], v[16:17], -v[3:4]
	v_mul_f64 v[16:17], v[1:2], v[16:17]
	v_mul_f64 v[30:31], v[14:15], -v[3:4]
	v_mul_f64 v[14:15], v[1:2], v[14:15]
	v_fma_f64 v[28:29], v[1:2], v[10:11], v[28:29]
	v_fma_f64 v[9:10], v[3:4], v[10:11], v[16:17]
	;; [unrolled: 1-line block ×4, first 2 shown]
	s_waitcnt vmcnt(1)
	v_fma_f64 v[11:12], v[5:6], v[18:19], v[28:29]
	v_fma_f64 v[9:10], v[7:8], v[18:19], v[9:10]
	s_waitcnt vmcnt(0)
	v_fma_f64 v[13:14], v[5:6], v[22:23], v[0:1]
	v_fma_f64 v[15:16], v[7:8], v[22:23], v[2:3]
	v_fma_f64 v[0:1], -v[7:8], v[20:21], v[11:12]
	v_fma_f64 v[2:3], v[5:6], v[20:21], v[9:10]
	v_fma_f64 v[7:8], -v[7:8], v[24:25], v[13:14]
	v_fma_f64 v[9:10], v[5:6], v[24:25], v[15:16]
	global_store_dwordx4 v[26:27], v[0:3], off
	global_store_dwordx4 v[26:27], v[7:10], off offset:16
.LBB283_29:
	s_endpgm
	.section	.rodata,"a",@progbits
	.p2align	6, 0x0
	.amdhsa_kernel _ZN9rocsparseL19gebsrmvn_2xn_kernelILj128ELj13ELj4E21rocsparse_complex_numIdEEEvi20rocsparse_direction_NS_24const_host_device_scalarIT2_EEPKiS8_PKS5_SA_S6_PS5_21rocsparse_index_base_b
		.amdhsa_group_segment_fixed_size 0
		.amdhsa_private_segment_fixed_size 0
		.amdhsa_kernarg_size 88
		.amdhsa_user_sgpr_count 6
		.amdhsa_user_sgpr_private_segment_buffer 1
		.amdhsa_user_sgpr_dispatch_ptr 0
		.amdhsa_user_sgpr_queue_ptr 0
		.amdhsa_user_sgpr_kernarg_segment_ptr 1
		.amdhsa_user_sgpr_dispatch_id 0
		.amdhsa_user_sgpr_flat_scratch_init 0
		.amdhsa_user_sgpr_private_segment_size 0
		.amdhsa_uses_dynamic_stack 0
		.amdhsa_system_sgpr_private_segment_wavefront_offset 0
		.amdhsa_system_sgpr_workgroup_id_x 1
		.amdhsa_system_sgpr_workgroup_id_y 0
		.amdhsa_system_sgpr_workgroup_id_z 0
		.amdhsa_system_sgpr_workgroup_info 0
		.amdhsa_system_vgpr_workitem_id 0
		.amdhsa_next_free_vgpr 57
		.amdhsa_next_free_sgpr 16
		.amdhsa_reserve_vcc 1
		.amdhsa_reserve_flat_scratch 0
		.amdhsa_float_round_mode_32 0
		.amdhsa_float_round_mode_16_64 0
		.amdhsa_float_denorm_mode_32 3
		.amdhsa_float_denorm_mode_16_64 3
		.amdhsa_dx10_clamp 1
		.amdhsa_ieee_mode 1
		.amdhsa_fp16_overflow 0
		.amdhsa_exception_fp_ieee_invalid_op 0
		.amdhsa_exception_fp_denorm_src 0
		.amdhsa_exception_fp_ieee_div_zero 0
		.amdhsa_exception_fp_ieee_overflow 0
		.amdhsa_exception_fp_ieee_underflow 0
		.amdhsa_exception_fp_ieee_inexact 0
		.amdhsa_exception_int_div_zero 0
	.end_amdhsa_kernel
	.section	.text._ZN9rocsparseL19gebsrmvn_2xn_kernelILj128ELj13ELj4E21rocsparse_complex_numIdEEEvi20rocsparse_direction_NS_24const_host_device_scalarIT2_EEPKiS8_PKS5_SA_S6_PS5_21rocsparse_index_base_b,"axG",@progbits,_ZN9rocsparseL19gebsrmvn_2xn_kernelILj128ELj13ELj4E21rocsparse_complex_numIdEEEvi20rocsparse_direction_NS_24const_host_device_scalarIT2_EEPKiS8_PKS5_SA_S6_PS5_21rocsparse_index_base_b,comdat
.Lfunc_end283:
	.size	_ZN9rocsparseL19gebsrmvn_2xn_kernelILj128ELj13ELj4E21rocsparse_complex_numIdEEEvi20rocsparse_direction_NS_24const_host_device_scalarIT2_EEPKiS8_PKS5_SA_S6_PS5_21rocsparse_index_base_b, .Lfunc_end283-_ZN9rocsparseL19gebsrmvn_2xn_kernelILj128ELj13ELj4E21rocsparse_complex_numIdEEEvi20rocsparse_direction_NS_24const_host_device_scalarIT2_EEPKiS8_PKS5_SA_S6_PS5_21rocsparse_index_base_b
                                        ; -- End function
	.set _ZN9rocsparseL19gebsrmvn_2xn_kernelILj128ELj13ELj4E21rocsparse_complex_numIdEEEvi20rocsparse_direction_NS_24const_host_device_scalarIT2_EEPKiS8_PKS5_SA_S6_PS5_21rocsparse_index_base_b.num_vgpr, 57
	.set _ZN9rocsparseL19gebsrmvn_2xn_kernelILj128ELj13ELj4E21rocsparse_complex_numIdEEEvi20rocsparse_direction_NS_24const_host_device_scalarIT2_EEPKiS8_PKS5_SA_S6_PS5_21rocsparse_index_base_b.num_agpr, 0
	.set _ZN9rocsparseL19gebsrmvn_2xn_kernelILj128ELj13ELj4E21rocsparse_complex_numIdEEEvi20rocsparse_direction_NS_24const_host_device_scalarIT2_EEPKiS8_PKS5_SA_S6_PS5_21rocsparse_index_base_b.numbered_sgpr, 16
	.set _ZN9rocsparseL19gebsrmvn_2xn_kernelILj128ELj13ELj4E21rocsparse_complex_numIdEEEvi20rocsparse_direction_NS_24const_host_device_scalarIT2_EEPKiS8_PKS5_SA_S6_PS5_21rocsparse_index_base_b.num_named_barrier, 0
	.set _ZN9rocsparseL19gebsrmvn_2xn_kernelILj128ELj13ELj4E21rocsparse_complex_numIdEEEvi20rocsparse_direction_NS_24const_host_device_scalarIT2_EEPKiS8_PKS5_SA_S6_PS5_21rocsparse_index_base_b.private_seg_size, 0
	.set _ZN9rocsparseL19gebsrmvn_2xn_kernelILj128ELj13ELj4E21rocsparse_complex_numIdEEEvi20rocsparse_direction_NS_24const_host_device_scalarIT2_EEPKiS8_PKS5_SA_S6_PS5_21rocsparse_index_base_b.uses_vcc, 1
	.set _ZN9rocsparseL19gebsrmvn_2xn_kernelILj128ELj13ELj4E21rocsparse_complex_numIdEEEvi20rocsparse_direction_NS_24const_host_device_scalarIT2_EEPKiS8_PKS5_SA_S6_PS5_21rocsparse_index_base_b.uses_flat_scratch, 0
	.set _ZN9rocsparseL19gebsrmvn_2xn_kernelILj128ELj13ELj4E21rocsparse_complex_numIdEEEvi20rocsparse_direction_NS_24const_host_device_scalarIT2_EEPKiS8_PKS5_SA_S6_PS5_21rocsparse_index_base_b.has_dyn_sized_stack, 0
	.set _ZN9rocsparseL19gebsrmvn_2xn_kernelILj128ELj13ELj4E21rocsparse_complex_numIdEEEvi20rocsparse_direction_NS_24const_host_device_scalarIT2_EEPKiS8_PKS5_SA_S6_PS5_21rocsparse_index_base_b.has_recursion, 0
	.set _ZN9rocsparseL19gebsrmvn_2xn_kernelILj128ELj13ELj4E21rocsparse_complex_numIdEEEvi20rocsparse_direction_NS_24const_host_device_scalarIT2_EEPKiS8_PKS5_SA_S6_PS5_21rocsparse_index_base_b.has_indirect_call, 0
	.section	.AMDGPU.csdata,"",@progbits
; Kernel info:
; codeLenInByte = 2588
; TotalNumSgprs: 20
; NumVgprs: 57
; ScratchSize: 0
; MemoryBound: 0
; FloatMode: 240
; IeeeMode: 1
; LDSByteSize: 0 bytes/workgroup (compile time only)
; SGPRBlocks: 2
; VGPRBlocks: 14
; NumSGPRsForWavesPerEU: 20
; NumVGPRsForWavesPerEU: 57
; Occupancy: 4
; WaveLimiterHint : 1
; COMPUTE_PGM_RSRC2:SCRATCH_EN: 0
; COMPUTE_PGM_RSRC2:USER_SGPR: 6
; COMPUTE_PGM_RSRC2:TRAP_HANDLER: 0
; COMPUTE_PGM_RSRC2:TGID_X_EN: 1
; COMPUTE_PGM_RSRC2:TGID_Y_EN: 0
; COMPUTE_PGM_RSRC2:TGID_Z_EN: 0
; COMPUTE_PGM_RSRC2:TIDIG_COMP_CNT: 0
	.section	.text._ZN9rocsparseL19gebsrmvn_2xn_kernelILj128ELj13ELj8E21rocsparse_complex_numIdEEEvi20rocsparse_direction_NS_24const_host_device_scalarIT2_EEPKiS8_PKS5_SA_S6_PS5_21rocsparse_index_base_b,"axG",@progbits,_ZN9rocsparseL19gebsrmvn_2xn_kernelILj128ELj13ELj8E21rocsparse_complex_numIdEEEvi20rocsparse_direction_NS_24const_host_device_scalarIT2_EEPKiS8_PKS5_SA_S6_PS5_21rocsparse_index_base_b,comdat
	.globl	_ZN9rocsparseL19gebsrmvn_2xn_kernelILj128ELj13ELj8E21rocsparse_complex_numIdEEEvi20rocsparse_direction_NS_24const_host_device_scalarIT2_EEPKiS8_PKS5_SA_S6_PS5_21rocsparse_index_base_b ; -- Begin function _ZN9rocsparseL19gebsrmvn_2xn_kernelILj128ELj13ELj8E21rocsparse_complex_numIdEEEvi20rocsparse_direction_NS_24const_host_device_scalarIT2_EEPKiS8_PKS5_SA_S6_PS5_21rocsparse_index_base_b
	.p2align	8
	.type	_ZN9rocsparseL19gebsrmvn_2xn_kernelILj128ELj13ELj8E21rocsparse_complex_numIdEEEvi20rocsparse_direction_NS_24const_host_device_scalarIT2_EEPKiS8_PKS5_SA_S6_PS5_21rocsparse_index_base_b,@function
_ZN9rocsparseL19gebsrmvn_2xn_kernelILj128ELj13ELj8E21rocsparse_complex_numIdEEEvi20rocsparse_direction_NS_24const_host_device_scalarIT2_EEPKiS8_PKS5_SA_S6_PS5_21rocsparse_index_base_b: ; @_ZN9rocsparseL19gebsrmvn_2xn_kernelILj128ELj13ELj8E21rocsparse_complex_numIdEEEvi20rocsparse_direction_NS_24const_host_device_scalarIT2_EEPKiS8_PKS5_SA_S6_PS5_21rocsparse_index_base_b
; %bb.0:
	s_load_dwordx2 s[0:1], s[4:5], 0x8
	s_load_dwordx2 s[8:9], s[4:5], 0x38
	;; [unrolled: 1-line block ×3, first 2 shown]
	s_add_u32 s7, s4, 8
	s_addc_u32 s10, s5, 0
	s_add_u32 s11, s4, 56
	s_addc_u32 s12, s5, 0
	s_waitcnt lgkmcnt(0)
	s_bitcmp1_b32 s3, 0
	s_cselect_b32 s1, s10, s1
	s_cselect_b32 s0, s7, s0
	v_mov_b32_e32 v1, s0
	v_mov_b32_e32 v2, s1
	flat_load_dwordx4 v[1:4], v[1:2]
	s_cselect_b32 s0, s12, s9
	s_cselect_b32 s1, s11, s8
	v_mov_b32_e32 v5, s1
	v_mov_b32_e32 v6, s0
	flat_load_dwordx4 v[5:8], v[5:6]
	s_waitcnt vmcnt(0) lgkmcnt(0)
	v_cmp_eq_f64_e32 vcc, 0, v[1:2]
	v_cmp_eq_f64_e64 s[0:1], 0, v[3:4]
	s_and_b64 s[10:11], vcc, s[0:1]
	s_mov_b64 s[0:1], -1
	s_and_saveexec_b64 s[8:9], s[10:11]
	s_cbranch_execz .LBB284_2
; %bb.1:
	v_cmp_neq_f64_e32 vcc, 1.0, v[5:6]
	v_cmp_neq_f64_e64 s[0:1], 0, v[7:8]
	s_or_b64 s[0:1], vcc, s[0:1]
	s_orn2_b64 s[0:1], s[0:1], exec
.LBB284_2:
	s_or_b64 exec, exec, s[8:9]
	s_and_saveexec_b64 s[8:9], s[0:1]
	s_cbranch_execz .LBB284_29
; %bb.3:
	s_load_dwordx2 s[0:1], s[4:5], 0x0
	v_lshrrev_b32_e32 v9, 3, v0
	v_lshl_or_b32 v9, s6, 4, v9
	s_waitcnt lgkmcnt(0)
	v_cmp_gt_i32_e32 vcc, s0, v9
	s_and_b64 exec, exec, vcc
	s_cbranch_execz .LBB284_29
; %bb.4:
	s_load_dwordx8 s[8:15], s[4:5], 0x18
	v_ashrrev_i32_e32 v10, 31, v9
	v_lshlrev_b64 v[10:11], 2, v[9:10]
	v_and_b32_e32 v0, 7, v0
	s_cmp_lg_u32 s1, 0
	s_waitcnt lgkmcnt(0)
	v_mov_b32_e32 v12, s9
	v_add_co_u32_e32 v10, vcc, s8, v10
	v_addc_co_u32_e32 v11, vcc, v12, v11, vcc
	global_load_dwordx2 v[11:12], v[10:11], off
	s_waitcnt vmcnt(0)
	v_subrev_u32_e32 v10, s2, v11
	v_subrev_u32_e32 v33, s2, v12
	v_add_u32_e32 v10, v10, v0
	v_cmp_lt_i32_e64 s[0:1], v10, v33
	s_cbranch_scc0 .LBB284_12
; %bb.5:
	v_mov_b32_e32 v12, 0
	v_mov_b32_e32 v18, 0
	;; [unrolled: 1-line block ×8, first 2 shown]
	s_and_saveexec_b64 s[6:7], s[0:1]
	s_cbranch_execz .LBB284_14
; %bb.6:
	v_mul_lo_u32 v14, v11, 26
	v_mul_lo_u32 v34, v10, 26
	s_mul_i32 s3, s2, 26
	v_mov_b32_e32 v12, 0
	v_mad_u32_u24 v14, v0, 26, v14
	v_subrev_u32_e32 v35, s3, v14
	v_mov_b32_e32 v18, 0
	v_mov_b32_e32 v16, 0
	;; [unrolled: 1-line block ×4, first 2 shown]
	s_mov_b64 s[8:9], 0
	v_mov_b32_e32 v36, s11
	v_mov_b32_e32 v21, 0
	;; [unrolled: 1-line block ×8, first 2 shown]
	s_branch .LBB284_8
.LBB284_7:                              ;   in Loop: Header=BB284_8 Depth=1
	v_add_u32_e32 v22, 8, v22
	v_cmp_ge_i32_e32 vcc, v22, v33
	v_add_u32_e32 v34, 0xd0, v34
	s_or_b64 s[8:9], vcc, s[8:9]
	v_add_u32_e32 v35, 0xd0, v35
	s_andn2_b64 exec, exec, s[8:9]
	s_cbranch_execz .LBB284_13
.LBB284_8:                              ; =>This Loop Header: Depth=1
                                        ;     Child Loop BB284_10 Depth 2
	v_ashrrev_i32_e32 v23, 31, v22
	v_lshlrev_b64 v[23:24], 2, v[22:23]
	v_mov_b32_e32 v28, v13
	v_add_co_u32_e32 v23, vcc, s10, v23
	v_addc_co_u32_e32 v24, vcc, v36, v24, vcc
	global_load_dword v20, v[23:24], off
	v_mov_b32_e32 v26, v19
	v_mov_b32_e32 v30, v17
	;; [unrolled: 1-line block ×3, first 2 shown]
	s_mov_b32 s3, 0
	v_mov_b32_e32 v27, v12
	v_mov_b32_e32 v25, v18
	;; [unrolled: 1-line block ×4, first 2 shown]
	s_waitcnt vmcnt(0)
	v_subrev_u32_e32 v20, s2, v20
	v_mul_lo_u32 v23, v20, 13
	s_branch .LBB284_10
.LBB284_9:                              ;   in Loop: Header=BB284_8 Depth=1
                                        ; implicit-def: $vgpr31_vgpr32
                                        ; implicit-def: $vgpr29_vgpr30
                                        ; implicit-def: $vgpr25_vgpr26
                                        ; implicit-def: $vgpr27_vgpr28
                                        ; implicit-def: $sgpr3
                                        ; implicit-def: $vgpr23
	s_branch .LBB284_7
.LBB284_10:                             ;   Parent Loop BB284_8 Depth=1
                                        ; =>  This Inner Loop Header: Depth=2
	v_add_u32_e32 v20, s3, v35
	v_lshlrev_b64 v[12:13], 4, v[20:21]
	v_mov_b32_e32 v24, v21
	v_add_co_u32_e32 v43, vcc, s12, v12
	v_addc_co_u32_e32 v44, vcc, v37, v13, vcc
	v_lshlrev_b64 v[12:13], 4, v[23:24]
	s_cmp_eq_u32 s3, 24
	v_add_co_u32_e32 v45, vcc, s14, v12
	v_addc_co_u32_e32 v46, vcc, v38, v13, vcc
	global_load_dwordx4 v[12:15], v[45:46], off
	global_load_dwordx4 v[16:19], v[43:44], off
	global_load_dwordx4 v[39:42], v[43:44], off offset:16
	s_waitcnt vmcnt(1)
	v_fma_f64 v[24:25], v[16:17], v[12:13], v[25:26]
	v_fma_f64 v[26:27], v[18:19], v[12:13], v[27:28]
	s_waitcnt vmcnt(0)
	v_fma_f64 v[28:29], v[39:40], v[12:13], v[29:30]
	v_fma_f64 v[30:31], v[41:42], v[12:13], v[31:32]
	v_fma_f64 v[18:19], -v[18:19], v[14:15], v[24:25]
	v_fma_f64 v[12:13], v[16:17], v[14:15], v[26:27]
	v_fma_f64 v[16:17], -v[41:42], v[14:15], v[28:29]
	v_fma_f64 v[14:15], v[39:40], v[14:15], v[30:31]
	s_cbranch_scc1 .LBB284_9
; %bb.11:                               ;   in Loop: Header=BB284_10 Depth=2
	v_add_u32_e32 v53, s3, v34
	v_add_u32_e32 v20, 2, v53
	v_lshlrev_b64 v[24:25], 4, v[20:21]
	v_mov_b32_e32 v54, s13
	v_add_co_u32_e32 v39, vcc, s12, v24
	v_addc_co_u32_e32 v40, vcc, v54, v25, vcc
	v_add_u32_e32 v20, 1, v23
	global_load_dwordx4 v[24:27], v[39:40], off offset:16
	global_load_dwordx4 v[28:31], v[39:40], off
	v_lshlrev_b64 v[39:40], 4, v[20:21]
	v_mov_b32_e32 v55, s15
	v_add_co_u32_e32 v39, vcc, s14, v39
	v_addc_co_u32_e32 v40, vcc, v55, v40, vcc
	global_load_dwordx4 v[39:42], v[39:40], off
	v_add_u32_e32 v20, 4, v53
	s_add_i32 s3, s3, 8
	s_waitcnt vmcnt(0)
	v_fma_f64 v[43:44], v[28:29], v[39:40], v[18:19]
	v_fma_f64 v[43:44], -v[30:31], v[41:42], v[43:44]
	v_fma_f64 v[30:31], v[30:31], v[39:40], v[12:13]
	v_fma_f64 v[45:46], v[28:29], v[41:42], v[30:31]
	;; [unrolled: 1-line block ×3, first 2 shown]
	v_fma_f64 v[47:48], -v[26:27], v[41:42], v[28:29]
	v_fma_f64 v[26:27], v[26:27], v[39:40], v[14:15]
	v_fma_f64 v[49:50], v[24:25], v[41:42], v[26:27]
	v_lshlrev_b64 v[24:25], 4, v[20:21]
	v_add_u32_e32 v20, 2, v23
	v_add_co_u32_e32 v39, vcc, s12, v24
	v_addc_co_u32_e32 v40, vcc, v54, v25, vcc
	global_load_dwordx4 v[24:27], v[39:40], off offset:16
	global_load_dwordx4 v[28:31], v[39:40], off
	v_lshlrev_b64 v[39:40], 4, v[20:21]
	v_add_u32_e32 v20, 6, v53
	v_add_co_u32_e32 v39, vcc, s14, v39
	v_addc_co_u32_e32 v40, vcc, v55, v40, vcc
	global_load_dwordx4 v[39:42], v[39:40], off
	s_waitcnt vmcnt(0)
	v_fma_f64 v[43:44], v[28:29], v[39:40], v[43:44]
	v_fma_f64 v[51:52], -v[30:31], v[41:42], v[43:44]
	v_fma_f64 v[30:31], v[30:31], v[39:40], v[45:46]
	v_fma_f64 v[31:32], v[28:29], v[41:42], v[30:31]
	;; [unrolled: 1-line block ×3, first 2 shown]
	v_fma_f64 v[47:48], -v[26:27], v[41:42], v[28:29]
	v_fma_f64 v[26:27], v[26:27], v[39:40], v[49:50]
	v_fma_f64 v[49:50], v[24:25], v[41:42], v[26:27]
	v_lshlrev_b64 v[24:25], 4, v[20:21]
	v_add_u32_e32 v20, 3, v23
	v_add_co_u32_e32 v24, vcc, s12, v24
	v_addc_co_u32_e32 v25, vcc, v54, v25, vcc
	global_load_dwordx4 v[39:42], v[24:25], off offset:16
	global_load_dwordx4 v[27:30], v[24:25], off
	v_lshlrev_b64 v[24:25], 4, v[20:21]
	v_add_u32_e32 v23, 4, v23
	v_add_co_u32_e32 v24, vcc, s14, v24
	v_addc_co_u32_e32 v25, vcc, v55, v25, vcc
	global_load_dwordx4 v[43:46], v[24:25], off
	s_waitcnt vmcnt(0)
	v_fma_f64 v[24:25], v[27:28], v[43:44], v[51:52]
	v_fma_f64 v[25:26], -v[29:30], v[45:46], v[24:25]
	v_fma_f64 v[29:30], v[29:30], v[43:44], v[31:32]
	v_fma_f64 v[31:32], v[41:42], v[43:44], v[49:50]
	;; [unrolled: 1-line block ×5, first 2 shown]
	v_fma_f64 v[29:30], -v[41:42], v[45:46], v[29:30]
	s_cbranch_execnz .LBB284_10
	s_branch .LBB284_7
.LBB284_12:
                                        ; implicit-def: $vgpr12_vgpr13
                                        ; implicit-def: $vgpr18_vgpr19
                                        ; implicit-def: $vgpr16_vgpr17
                                        ; implicit-def: $vgpr14_vgpr15
	s_branch .LBB284_15
.LBB284_13:
	s_or_b64 exec, exec, s[8:9]
.LBB284_14:
	s_or_b64 exec, exec, s[6:7]
	s_cbranch_execnz .LBB284_24
.LBB284_15:
	v_mov_b32_e32 v12, 0
	v_mov_b32_e32 v18, 0
	;; [unrolled: 1-line block ×8, first 2 shown]
	s_and_saveexec_b64 s[6:7], s[0:1]
	s_cbranch_execz .LBB284_23
; %bb.16:
	v_mul_lo_u32 v11, v11, 26
	v_mul_lo_u32 v30, v10, 26
	s_mul_i32 s0, s2, 26
	v_mov_b32_e32 v12, 0
	v_mad_u32_u24 v11, v0, 26, v11
	v_mov_b32_e32 v18, 0
	v_mov_b32_e32 v16, 0
	;; [unrolled: 1-line block ×4, first 2 shown]
	v_subrev_u32_e32 v31, s0, v11
	s_mov_b64 s[0:1], 0
	v_mov_b32_e32 v32, s11
	v_mov_b32_e32 v21, 0
	;; [unrolled: 1-line block ×7, first 2 shown]
	s_branch .LBB284_18
.LBB284_17:                             ;   in Loop: Header=BB284_18 Depth=1
	v_add_u32_e32 v10, 8, v10
	v_cmp_ge_i32_e32 vcc, v10, v33
	v_add_u32_e32 v30, 0xd0, v30
	s_or_b64 s[0:1], vcc, s[0:1]
	v_add_u32_e32 v31, 0xd0, v31
	s_andn2_b64 exec, exec, s[0:1]
	s_cbranch_execz .LBB284_22
.LBB284_18:                             ; =>This Loop Header: Depth=1
                                        ;     Child Loop BB284_20 Depth 2
	v_ashrrev_i32_e32 v11, 31, v10
	v_lshlrev_b64 v[22:23], 2, v[10:11]
	v_mov_b32_e32 v27, v13
	v_add_co_u32_e32 v22, vcc, s10, v22
	v_addc_co_u32_e32 v23, vcc, v32, v23, vcc
	global_load_dword v11, v[22:23], off
	v_mov_b32_e32 v29, v19
	v_mov_b32_e32 v25, v17
	v_mov_b32_e32 v23, v15
	s_mov_b32 s3, 0
	v_mov_b32_e32 v26, v12
	v_mov_b32_e32 v28, v18
	;; [unrolled: 1-line block ×4, first 2 shown]
	s_waitcnt vmcnt(0)
	v_subrev_u32_e32 v11, s2, v11
	v_mul_lo_u32 v11, v11, 13
	s_branch .LBB284_20
.LBB284_19:                             ;   in Loop: Header=BB284_20 Depth=2
	s_andn2_b64 vcc, exec, s[8:9]
	s_cbranch_vccz .LBB284_17
.LBB284_20:                             ;   Parent Loop BB284_18 Depth=1
                                        ; =>  This Inner Loop Header: Depth=2
	v_add_u32_e32 v20, s3, v31
	v_lshlrev_b64 v[12:13], 4, v[20:21]
	v_add_u32_e32 v20, s3, v11
	v_add_co_u32_e32 v12, vcc, s12, v12
	v_lshlrev_b64 v[16:17], 4, v[20:21]
	v_addc_co_u32_e32 v13, vcc, v34, v13, vcc
	v_add_co_u32_e32 v16, vcc, s14, v16
	v_addc_co_u32_e32 v17, vcc, v35, v17, vcc
	v_add_u32_e32 v36, s3, v30
	global_load_dwordx4 v[37:40], v[16:17], off
	v_add_u32_e32 v16, 13, v36
	v_mov_b32_e32 v17, v21
	v_lshlrev_b64 v[16:17], 4, v[16:17]
	global_load_dwordx4 v[12:15], v[12:13], off
	v_add_co_u32_e32 v16, vcc, s12, v16
	v_addc_co_u32_e32 v17, vcc, v34, v17, vcc
	global_load_dwordx4 v[41:44], v[16:17], off
	s_cmp_eq_u32 s3, 12
	s_mov_b64 s[8:9], -1
	s_waitcnt vmcnt(1)
	v_fma_f64 v[16:17], v[12:13], v[37:38], v[28:29]
	v_fma_f64 v[26:27], v[14:15], v[37:38], v[26:27]
                                        ; implicit-def: $vgpr28_vgpr29
	s_waitcnt vmcnt(0)
	v_fma_f64 v[24:25], v[41:42], v[37:38], v[24:25]
	v_fma_f64 v[22:23], v[43:44], v[37:38], v[22:23]
	v_fma_f64 v[18:19], -v[14:15], v[39:40], v[16:17]
	v_fma_f64 v[12:13], v[12:13], v[39:40], v[26:27]
                                        ; implicit-def: $vgpr26_vgpr27
	v_fma_f64 v[16:17], -v[43:44], v[39:40], v[24:25]
	v_fma_f64 v[14:15], v[41:42], v[39:40], v[22:23]
                                        ; implicit-def: $vgpr22_vgpr23
                                        ; implicit-def: $vgpr24_vgpr25
	s_cbranch_scc1 .LBB284_19
; %bb.21:                               ;   in Loop: Header=BB284_20 Depth=2
	v_add_u32_e32 v22, 1, v36
	v_mov_b32_e32 v23, v21
	v_lshlrev_b64 v[22:23], 4, v[22:23]
	v_add_u32_e32 v26, 1, v20
	v_mov_b32_e32 v27, v21
	v_mov_b32_e32 v55, s13
	v_add_co_u32_e32 v22, vcc, s12, v22
	v_lshlrev_b64 v[26:27], 4, v[26:27]
	v_addc_co_u32_e32 v23, vcc, v55, v23, vcc
	v_mov_b32_e32 v56, s15
	v_add_co_u32_e32 v26, vcc, s14, v26
	v_addc_co_u32_e32 v27, vcc, v56, v27, vcc
	global_load_dwordx4 v[22:25], v[22:23], off
	v_add_u32_e32 v37, 14, v36
	global_load_dwordx4 v[26:29], v[26:27], off
	v_mov_b32_e32 v38, v21
	v_lshlrev_b64 v[37:38], 4, v[37:38]
	v_add_u32_e32 v43, 2, v36
	v_add_co_u32_e32 v41, vcc, s12, v37
	v_addc_co_u32_e32 v42, vcc, v55, v38, vcc
	global_load_dwordx4 v[37:40], v[41:42], off
	v_mov_b32_e32 v44, v21
	v_lshlrev_b64 v[43:44], 4, v[43:44]
	v_add_u32_e32 v45, 2, v20
	v_mov_b32_e32 v46, v21
	v_lshlrev_b64 v[45:46], 4, v[45:46]
	v_add_co_u32_e32 v43, vcc, s12, v43
	v_add_u32_e32 v20, 3, v20
	v_addc_co_u32_e32 v44, vcc, v55, v44, vcc
	v_add_co_u32_e32 v45, vcc, s14, v45
	v_addc_co_u32_e32 v46, vcc, v56, v46, vcc
	s_add_i32 s3, s3, 4
	s_mov_b64 s[8:9], 0
	s_waitcnt vmcnt(1)
	v_fma_f64 v[47:48], v[22:23], v[26:27], v[18:19]
	v_fma_f64 v[49:50], v[24:25], v[26:27], v[12:13]
	v_fma_f64 v[47:48], -v[24:25], v[28:29], v[47:48]
	s_waitcnt vmcnt(0)
	v_fma_f64 v[24:25], v[39:40], v[26:27], v[14:15]
	v_fma_f64 v[49:50], v[22:23], v[28:29], v[49:50]
	;; [unrolled: 1-line block ×4, first 2 shown]
	v_lshlrev_b64 v[37:38], 4, v[20:21]
	v_fma_f64 v[51:52], -v[39:40], v[28:29], v[22:23]
	global_load_dwordx4 v[22:25], v[43:44], off
	global_load_dwordx4 v[26:29], v[45:46], off
	v_add_co_u32_e32 v45, vcc, s14, v37
	v_addc_co_u32_e32 v46, vcc, v56, v38, vcc
	global_load_dwordx4 v[37:40], v[41:42], off offset:16
	v_add_u32_e32 v20, 16, v36
	s_waitcnt vmcnt(1)
	v_fma_f64 v[41:42], v[22:23], v[26:27], v[47:48]
	v_fma_f64 v[47:48], v[24:25], v[26:27], v[49:50]
	v_lshlrev_b64 v[49:50], 4, v[20:21]
	v_add_co_u32_e32 v49, vcc, s12, v49
	s_waitcnt vmcnt(0)
	v_fma_f64 v[51:52], v[37:38], v[26:27], v[51:52]
	v_fma_f64 v[26:27], v[39:40], v[26:27], v[53:54]
	v_addc_co_u32_e32 v50, vcc, v55, v50, vcc
	v_fma_f64 v[53:54], -v[24:25], v[28:29], v[41:42]
	v_fma_f64 v[47:48], v[22:23], v[28:29], v[47:48]
	global_load_dwordx4 v[22:25], v[43:44], off offset:16
	v_fma_f64 v[26:27], v[37:38], v[28:29], v[26:27]
	global_load_dwordx4 v[41:44], v[45:46], off
	v_fma_f64 v[45:46], -v[39:40], v[28:29], v[51:52]
	global_load_dwordx4 v[36:39], v[49:50], off
	s_waitcnt vmcnt(1)
	v_fma_f64 v[28:29], v[22:23], v[41:42], v[53:54]
	v_fma_f64 v[47:48], v[24:25], v[41:42], v[47:48]
	s_waitcnt vmcnt(0)
	v_fma_f64 v[45:46], v[36:37], v[41:42], v[45:46]
	v_fma_f64 v[40:41], v[38:39], v[41:42], v[26:27]
	v_fma_f64 v[28:29], -v[24:25], v[43:44], v[28:29]
	v_fma_f64 v[26:27], v[22:23], v[43:44], v[47:48]
	v_fma_f64 v[24:25], -v[38:39], v[43:44], v[45:46]
	v_fma_f64 v[22:23], v[36:37], v[43:44], v[40:41]
	s_branch .LBB284_19
.LBB284_22:
	s_or_b64 exec, exec, s[0:1]
.LBB284_23:
	s_or_b64 exec, exec, s[6:7]
.LBB284_24:
	v_mov_b32_dpp v10, v18 row_shr:1 row_mask:0xf bank_mask:0xf
	v_mov_b32_dpp v11, v19 row_shr:1 row_mask:0xf bank_mask:0xf
	v_add_f64 v[10:11], v[18:19], v[10:11]
	v_mov_b32_dpp v18, v12 row_shr:1 row_mask:0xf bank_mask:0xf
	v_mov_b32_dpp v19, v13 row_shr:1 row_mask:0xf bank_mask:0xf
	;; [unrolled: 1-line block ×4, first 2 shown]
	v_add_f64 v[12:13], v[12:13], v[18:19]
	v_add_f64 v[16:17], v[16:17], v[20:21]
	v_mov_b32_dpp v20, v14 row_shr:1 row_mask:0xf bank_mask:0xf
	v_mov_b32_dpp v21, v15 row_shr:1 row_mask:0xf bank_mask:0xf
	v_add_f64 v[14:15], v[14:15], v[20:21]
	v_mov_b32_dpp v18, v10 row_shr:2 row_mask:0xf bank_mask:0xf
	v_mov_b32_dpp v19, v11 row_shr:2 row_mask:0xf bank_mask:0xf
	;; [unrolled: 3-line block ×6, first 2 shown]
	v_mov_b32_dpp v16, v12 row_shr:4 row_mask:0xf bank_mask:0xe
	v_mov_b32_dpp v17, v13 row_shr:4 row_mask:0xf bank_mask:0xe
	;; [unrolled: 1-line block ×4, first 2 shown]
	v_cmp_eq_u32_e32 vcc, 7, v0
	v_mov_b32_dpp v20, v14 row_shr:4 row_mask:0xf bank_mask:0xe
	v_mov_b32_dpp v21, v15 row_shr:4 row_mask:0xf bank_mask:0xe
	s_and_b64 exec, exec, vcc
	s_cbranch_execz .LBB284_29
; %bb.25:
	v_cmp_eq_f64_e32 vcc, 0, v[5:6]
	v_cmp_eq_f64_e64 s[0:1], 0, v[7:8]
	v_add_f64 v[10:11], v[10:11], v[24:25]
	v_add_f64 v[16:17], v[12:13], v[16:17]
	;; [unrolled: 1-line block ×4, first 2 shown]
	s_load_dwordx2 s[2:3], s[4:5], 0x48
	s_and_b64 s[0:1], vcc, s[0:1]
	s_and_saveexec_b64 s[4:5], s[0:1]
	s_xor_b64 s[0:1], exec, s[4:5]
	s_cbranch_execz .LBB284_27
; %bb.26:
	v_mul_f64 v[5:6], v[16:17], -v[3:4]
	v_mul_f64 v[7:8], v[1:2], v[16:17]
	v_mul_f64 v[16:17], v[14:15], -v[3:4]
	v_mul_f64 v[14:15], v[1:2], v[14:15]
	v_lshlrev_b32_e32 v9, 1, v9
	s_waitcnt lgkmcnt(0)
	v_mov_b32_e32 v18, s3
	v_fma_f64 v[5:6], v[1:2], v[10:11], v[5:6]
	v_fma_f64 v[7:8], v[3:4], v[10:11], v[7:8]
	;; [unrolled: 1-line block ×4, first 2 shown]
	v_ashrrev_i32_e32 v10, 31, v9
	v_lshlrev_b64 v[9:10], 4, v[9:10]
                                        ; implicit-def: $vgpr16_vgpr17
                                        ; implicit-def: $vgpr12_vgpr13
                                        ; implicit-def: $vgpr14_vgpr15
	v_add_co_u32_e32 v9, vcc, s2, v9
	v_addc_co_u32_e32 v10, vcc, v18, v10, vcc
	global_store_dwordx4 v[9:10], v[5:8], off
	global_store_dwordx4 v[9:10], v[0:3], off offset:16
                                        ; implicit-def: $vgpr9
                                        ; implicit-def: $vgpr10_vgpr11
                                        ; implicit-def: $vgpr7_vgpr8
                                        ; implicit-def: $vgpr3_vgpr4
.LBB284_27:
	s_andn2_saveexec_b64 s[0:1], s[0:1]
	s_cbranch_execz .LBB284_29
; %bb.28:
	v_lshlrev_b32_e32 v18, 1, v9
	v_ashrrev_i32_e32 v19, 31, v18
	v_lshlrev_b64 v[18:19], 4, v[18:19]
	s_waitcnt lgkmcnt(0)
	v_mov_b32_e32 v0, s3
	v_add_co_u32_e32 v26, vcc, s2, v18
	v_addc_co_u32_e32 v27, vcc, v0, v19, vcc
	global_load_dwordx4 v[18:21], v[26:27], off
	global_load_dwordx4 v[22:25], v[26:27], off offset:16
	v_mul_f64 v[28:29], v[16:17], -v[3:4]
	v_mul_f64 v[16:17], v[1:2], v[16:17]
	v_mul_f64 v[30:31], v[14:15], -v[3:4]
	v_mul_f64 v[14:15], v[1:2], v[14:15]
	v_fma_f64 v[28:29], v[1:2], v[10:11], v[28:29]
	v_fma_f64 v[9:10], v[3:4], v[10:11], v[16:17]
	;; [unrolled: 1-line block ×4, first 2 shown]
	s_waitcnt vmcnt(1)
	v_fma_f64 v[11:12], v[5:6], v[18:19], v[28:29]
	v_fma_f64 v[9:10], v[7:8], v[18:19], v[9:10]
	s_waitcnt vmcnt(0)
	v_fma_f64 v[13:14], v[5:6], v[22:23], v[0:1]
	v_fma_f64 v[15:16], v[7:8], v[22:23], v[2:3]
	v_fma_f64 v[0:1], -v[7:8], v[20:21], v[11:12]
	v_fma_f64 v[2:3], v[5:6], v[20:21], v[9:10]
	v_fma_f64 v[7:8], -v[7:8], v[24:25], v[13:14]
	v_fma_f64 v[9:10], v[5:6], v[24:25], v[15:16]
	global_store_dwordx4 v[26:27], v[0:3], off
	global_store_dwordx4 v[26:27], v[7:10], off offset:16
.LBB284_29:
	s_endpgm
	.section	.rodata,"a",@progbits
	.p2align	6, 0x0
	.amdhsa_kernel _ZN9rocsparseL19gebsrmvn_2xn_kernelILj128ELj13ELj8E21rocsparse_complex_numIdEEEvi20rocsparse_direction_NS_24const_host_device_scalarIT2_EEPKiS8_PKS5_SA_S6_PS5_21rocsparse_index_base_b
		.amdhsa_group_segment_fixed_size 0
		.amdhsa_private_segment_fixed_size 0
		.amdhsa_kernarg_size 88
		.amdhsa_user_sgpr_count 6
		.amdhsa_user_sgpr_private_segment_buffer 1
		.amdhsa_user_sgpr_dispatch_ptr 0
		.amdhsa_user_sgpr_queue_ptr 0
		.amdhsa_user_sgpr_kernarg_segment_ptr 1
		.amdhsa_user_sgpr_dispatch_id 0
		.amdhsa_user_sgpr_flat_scratch_init 0
		.amdhsa_user_sgpr_private_segment_size 0
		.amdhsa_uses_dynamic_stack 0
		.amdhsa_system_sgpr_private_segment_wavefront_offset 0
		.amdhsa_system_sgpr_workgroup_id_x 1
		.amdhsa_system_sgpr_workgroup_id_y 0
		.amdhsa_system_sgpr_workgroup_id_z 0
		.amdhsa_system_sgpr_workgroup_info 0
		.amdhsa_system_vgpr_workitem_id 0
		.amdhsa_next_free_vgpr 57
		.amdhsa_next_free_sgpr 16
		.amdhsa_reserve_vcc 1
		.amdhsa_reserve_flat_scratch 0
		.amdhsa_float_round_mode_32 0
		.amdhsa_float_round_mode_16_64 0
		.amdhsa_float_denorm_mode_32 3
		.amdhsa_float_denorm_mode_16_64 3
		.amdhsa_dx10_clamp 1
		.amdhsa_ieee_mode 1
		.amdhsa_fp16_overflow 0
		.amdhsa_exception_fp_ieee_invalid_op 0
		.amdhsa_exception_fp_denorm_src 0
		.amdhsa_exception_fp_ieee_div_zero 0
		.amdhsa_exception_fp_ieee_overflow 0
		.amdhsa_exception_fp_ieee_underflow 0
		.amdhsa_exception_fp_ieee_inexact 0
		.amdhsa_exception_int_div_zero 0
	.end_amdhsa_kernel
	.section	.text._ZN9rocsparseL19gebsrmvn_2xn_kernelILj128ELj13ELj8E21rocsparse_complex_numIdEEEvi20rocsparse_direction_NS_24const_host_device_scalarIT2_EEPKiS8_PKS5_SA_S6_PS5_21rocsparse_index_base_b,"axG",@progbits,_ZN9rocsparseL19gebsrmvn_2xn_kernelILj128ELj13ELj8E21rocsparse_complex_numIdEEEvi20rocsparse_direction_NS_24const_host_device_scalarIT2_EEPKiS8_PKS5_SA_S6_PS5_21rocsparse_index_base_b,comdat
.Lfunc_end284:
	.size	_ZN9rocsparseL19gebsrmvn_2xn_kernelILj128ELj13ELj8E21rocsparse_complex_numIdEEEvi20rocsparse_direction_NS_24const_host_device_scalarIT2_EEPKiS8_PKS5_SA_S6_PS5_21rocsparse_index_base_b, .Lfunc_end284-_ZN9rocsparseL19gebsrmvn_2xn_kernelILj128ELj13ELj8E21rocsparse_complex_numIdEEEvi20rocsparse_direction_NS_24const_host_device_scalarIT2_EEPKiS8_PKS5_SA_S6_PS5_21rocsparse_index_base_b
                                        ; -- End function
	.set _ZN9rocsparseL19gebsrmvn_2xn_kernelILj128ELj13ELj8E21rocsparse_complex_numIdEEEvi20rocsparse_direction_NS_24const_host_device_scalarIT2_EEPKiS8_PKS5_SA_S6_PS5_21rocsparse_index_base_b.num_vgpr, 57
	.set _ZN9rocsparseL19gebsrmvn_2xn_kernelILj128ELj13ELj8E21rocsparse_complex_numIdEEEvi20rocsparse_direction_NS_24const_host_device_scalarIT2_EEPKiS8_PKS5_SA_S6_PS5_21rocsparse_index_base_b.num_agpr, 0
	.set _ZN9rocsparseL19gebsrmvn_2xn_kernelILj128ELj13ELj8E21rocsparse_complex_numIdEEEvi20rocsparse_direction_NS_24const_host_device_scalarIT2_EEPKiS8_PKS5_SA_S6_PS5_21rocsparse_index_base_b.numbered_sgpr, 16
	.set _ZN9rocsparseL19gebsrmvn_2xn_kernelILj128ELj13ELj8E21rocsparse_complex_numIdEEEvi20rocsparse_direction_NS_24const_host_device_scalarIT2_EEPKiS8_PKS5_SA_S6_PS5_21rocsparse_index_base_b.num_named_barrier, 0
	.set _ZN9rocsparseL19gebsrmvn_2xn_kernelILj128ELj13ELj8E21rocsparse_complex_numIdEEEvi20rocsparse_direction_NS_24const_host_device_scalarIT2_EEPKiS8_PKS5_SA_S6_PS5_21rocsparse_index_base_b.private_seg_size, 0
	.set _ZN9rocsparseL19gebsrmvn_2xn_kernelILj128ELj13ELj8E21rocsparse_complex_numIdEEEvi20rocsparse_direction_NS_24const_host_device_scalarIT2_EEPKiS8_PKS5_SA_S6_PS5_21rocsparse_index_base_b.uses_vcc, 1
	.set _ZN9rocsparseL19gebsrmvn_2xn_kernelILj128ELj13ELj8E21rocsparse_complex_numIdEEEvi20rocsparse_direction_NS_24const_host_device_scalarIT2_EEPKiS8_PKS5_SA_S6_PS5_21rocsparse_index_base_b.uses_flat_scratch, 0
	.set _ZN9rocsparseL19gebsrmvn_2xn_kernelILj128ELj13ELj8E21rocsparse_complex_numIdEEEvi20rocsparse_direction_NS_24const_host_device_scalarIT2_EEPKiS8_PKS5_SA_S6_PS5_21rocsparse_index_base_b.has_dyn_sized_stack, 0
	.set _ZN9rocsparseL19gebsrmvn_2xn_kernelILj128ELj13ELj8E21rocsparse_complex_numIdEEEvi20rocsparse_direction_NS_24const_host_device_scalarIT2_EEPKiS8_PKS5_SA_S6_PS5_21rocsparse_index_base_b.has_recursion, 0
	.set _ZN9rocsparseL19gebsrmvn_2xn_kernelILj128ELj13ELj8E21rocsparse_complex_numIdEEEvi20rocsparse_direction_NS_24const_host_device_scalarIT2_EEPKiS8_PKS5_SA_S6_PS5_21rocsparse_index_base_b.has_indirect_call, 0
	.section	.AMDGPU.csdata,"",@progbits
; Kernel info:
; codeLenInByte = 2684
; TotalNumSgprs: 20
; NumVgprs: 57
; ScratchSize: 0
; MemoryBound: 0
; FloatMode: 240
; IeeeMode: 1
; LDSByteSize: 0 bytes/workgroup (compile time only)
; SGPRBlocks: 2
; VGPRBlocks: 14
; NumSGPRsForWavesPerEU: 20
; NumVGPRsForWavesPerEU: 57
; Occupancy: 4
; WaveLimiterHint : 1
; COMPUTE_PGM_RSRC2:SCRATCH_EN: 0
; COMPUTE_PGM_RSRC2:USER_SGPR: 6
; COMPUTE_PGM_RSRC2:TRAP_HANDLER: 0
; COMPUTE_PGM_RSRC2:TGID_X_EN: 1
; COMPUTE_PGM_RSRC2:TGID_Y_EN: 0
; COMPUTE_PGM_RSRC2:TGID_Z_EN: 0
; COMPUTE_PGM_RSRC2:TIDIG_COMP_CNT: 0
	.section	.text._ZN9rocsparseL19gebsrmvn_2xn_kernelILj128ELj13ELj16E21rocsparse_complex_numIdEEEvi20rocsparse_direction_NS_24const_host_device_scalarIT2_EEPKiS8_PKS5_SA_S6_PS5_21rocsparse_index_base_b,"axG",@progbits,_ZN9rocsparseL19gebsrmvn_2xn_kernelILj128ELj13ELj16E21rocsparse_complex_numIdEEEvi20rocsparse_direction_NS_24const_host_device_scalarIT2_EEPKiS8_PKS5_SA_S6_PS5_21rocsparse_index_base_b,comdat
	.globl	_ZN9rocsparseL19gebsrmvn_2xn_kernelILj128ELj13ELj16E21rocsparse_complex_numIdEEEvi20rocsparse_direction_NS_24const_host_device_scalarIT2_EEPKiS8_PKS5_SA_S6_PS5_21rocsparse_index_base_b ; -- Begin function _ZN9rocsparseL19gebsrmvn_2xn_kernelILj128ELj13ELj16E21rocsparse_complex_numIdEEEvi20rocsparse_direction_NS_24const_host_device_scalarIT2_EEPKiS8_PKS5_SA_S6_PS5_21rocsparse_index_base_b
	.p2align	8
	.type	_ZN9rocsparseL19gebsrmvn_2xn_kernelILj128ELj13ELj16E21rocsparse_complex_numIdEEEvi20rocsparse_direction_NS_24const_host_device_scalarIT2_EEPKiS8_PKS5_SA_S6_PS5_21rocsparse_index_base_b,@function
_ZN9rocsparseL19gebsrmvn_2xn_kernelILj128ELj13ELj16E21rocsparse_complex_numIdEEEvi20rocsparse_direction_NS_24const_host_device_scalarIT2_EEPKiS8_PKS5_SA_S6_PS5_21rocsparse_index_base_b: ; @_ZN9rocsparseL19gebsrmvn_2xn_kernelILj128ELj13ELj16E21rocsparse_complex_numIdEEEvi20rocsparse_direction_NS_24const_host_device_scalarIT2_EEPKiS8_PKS5_SA_S6_PS5_21rocsparse_index_base_b
; %bb.0:
	s_load_dwordx2 s[0:1], s[4:5], 0x8
	s_load_dwordx2 s[8:9], s[4:5], 0x38
	;; [unrolled: 1-line block ×3, first 2 shown]
	s_add_u32 s7, s4, 8
	s_addc_u32 s10, s5, 0
	s_add_u32 s11, s4, 56
	s_addc_u32 s12, s5, 0
	s_waitcnt lgkmcnt(0)
	s_bitcmp1_b32 s3, 0
	s_cselect_b32 s1, s10, s1
	s_cselect_b32 s0, s7, s0
	v_mov_b32_e32 v1, s0
	v_mov_b32_e32 v2, s1
	flat_load_dwordx4 v[1:4], v[1:2]
	s_cselect_b32 s0, s12, s9
	s_cselect_b32 s1, s11, s8
	v_mov_b32_e32 v5, s1
	v_mov_b32_e32 v6, s0
	flat_load_dwordx4 v[5:8], v[5:6]
	s_waitcnt vmcnt(0) lgkmcnt(0)
	v_cmp_eq_f64_e32 vcc, 0, v[1:2]
	v_cmp_eq_f64_e64 s[0:1], 0, v[3:4]
	s_and_b64 s[10:11], vcc, s[0:1]
	s_mov_b64 s[0:1], -1
	s_and_saveexec_b64 s[8:9], s[10:11]
	s_cbranch_execz .LBB285_2
; %bb.1:
	v_cmp_neq_f64_e32 vcc, 1.0, v[5:6]
	v_cmp_neq_f64_e64 s[0:1], 0, v[7:8]
	s_or_b64 s[0:1], vcc, s[0:1]
	s_orn2_b64 s[0:1], s[0:1], exec
.LBB285_2:
	s_or_b64 exec, exec, s[8:9]
	s_and_saveexec_b64 s[8:9], s[0:1]
	s_cbranch_execz .LBB285_29
; %bb.3:
	s_load_dwordx2 s[0:1], s[4:5], 0x0
	v_lshrrev_b32_e32 v9, 4, v0
	v_lshl_or_b32 v9, s6, 3, v9
	s_waitcnt lgkmcnt(0)
	v_cmp_gt_i32_e32 vcc, s0, v9
	s_and_b64 exec, exec, vcc
	s_cbranch_execz .LBB285_29
; %bb.4:
	s_load_dwordx8 s[8:15], s[4:5], 0x18
	v_ashrrev_i32_e32 v10, 31, v9
	v_lshlrev_b64 v[10:11], 2, v[9:10]
	v_and_b32_e32 v0, 15, v0
	s_cmp_lg_u32 s1, 0
	s_waitcnt lgkmcnt(0)
	v_mov_b32_e32 v12, s9
	v_add_co_u32_e32 v10, vcc, s8, v10
	v_addc_co_u32_e32 v11, vcc, v12, v11, vcc
	global_load_dwordx2 v[11:12], v[10:11], off
	s_waitcnt vmcnt(0)
	v_subrev_u32_e32 v10, s2, v11
	v_subrev_u32_e32 v33, s2, v12
	v_add_u32_e32 v10, v10, v0
	v_cmp_lt_i32_e64 s[0:1], v10, v33
	s_cbranch_scc0 .LBB285_12
; %bb.5:
	v_mov_b32_e32 v12, 0
	v_mov_b32_e32 v18, 0
	;; [unrolled: 1-line block ×8, first 2 shown]
	s_and_saveexec_b64 s[6:7], s[0:1]
	s_cbranch_execz .LBB285_14
; %bb.6:
	v_mul_lo_u32 v14, v11, 26
	v_mul_lo_u32 v34, v10, 26
	s_mul_i32 s3, s2, 26
	v_mov_b32_e32 v12, 0
	v_mad_u32_u24 v14, v0, 26, v14
	v_subrev_u32_e32 v35, s3, v14
	v_mov_b32_e32 v18, 0
	v_mov_b32_e32 v14, 0
	;; [unrolled: 1-line block ×4, first 2 shown]
	s_mov_b64 s[8:9], 0
	v_mov_b32_e32 v36, s11
	v_mov_b32_e32 v21, 0
	;; [unrolled: 1-line block ×8, first 2 shown]
	s_branch .LBB285_8
.LBB285_7:                              ;   in Loop: Header=BB285_8 Depth=1
	v_add_u32_e32 v22, 16, v22
	v_cmp_ge_i32_e32 vcc, v22, v33
	v_add_u32_e32 v34, 0x1a0, v34
	s_or_b64 s[8:9], vcc, s[8:9]
	v_add_u32_e32 v35, 0x1a0, v35
	s_andn2_b64 exec, exec, s[8:9]
	s_cbranch_execz .LBB285_13
.LBB285_8:                              ; =>This Loop Header: Depth=1
                                        ;     Child Loop BB285_10 Depth 2
	v_ashrrev_i32_e32 v23, 31, v22
	v_lshlrev_b64 v[23:24], 2, v[22:23]
	v_mov_b32_e32 v28, v13
	v_add_co_u32_e32 v23, vcc, s10, v23
	v_addc_co_u32_e32 v24, vcc, v36, v24, vcc
	global_load_dword v20, v[23:24], off
	v_mov_b32_e32 v26, v19
	v_mov_b32_e32 v30, v15
	;; [unrolled: 1-line block ×3, first 2 shown]
	s_mov_b32 s3, 0
	v_mov_b32_e32 v27, v12
	v_mov_b32_e32 v25, v18
	;; [unrolled: 1-line block ×4, first 2 shown]
	s_waitcnt vmcnt(0)
	v_subrev_u32_e32 v20, s2, v20
	v_mul_lo_u32 v23, v20, 13
	s_branch .LBB285_10
.LBB285_9:                              ;   in Loop: Header=BB285_8 Depth=1
                                        ; implicit-def: $vgpr31_vgpr32
                                        ; implicit-def: $vgpr29_vgpr30
                                        ; implicit-def: $vgpr25_vgpr26
                                        ; implicit-def: $vgpr27_vgpr28
                                        ; implicit-def: $sgpr3
                                        ; implicit-def: $vgpr23
	s_branch .LBB285_7
.LBB285_10:                             ;   Parent Loop BB285_8 Depth=1
                                        ; =>  This Inner Loop Header: Depth=2
	v_add_u32_e32 v20, s3, v35
	v_lshlrev_b64 v[12:13], 4, v[20:21]
	v_mov_b32_e32 v24, v21
	v_add_co_u32_e32 v12, vcc, s12, v12
	v_lshlrev_b64 v[14:15], 4, v[23:24]
	v_addc_co_u32_e32 v13, vcc, v37, v13, vcc
	v_add_co_u32_e32 v18, vcc, s14, v14
	v_addc_co_u32_e32 v19, vcc, v38, v15, vcc
	global_load_dwordx4 v[14:17], v[18:19], off
	global_load_dwordx4 v[39:42], v[12:13], off
	global_load_dwordx4 v[43:46], v[12:13], off offset:16
	s_cmp_eq_u32 s3, 24
	s_waitcnt vmcnt(1)
	v_fma_f64 v[12:13], v[39:40], v[14:15], v[25:26]
	v_fma_f64 v[24:25], v[41:42], v[14:15], v[27:28]
	s_waitcnt vmcnt(0)
	v_fma_f64 v[26:27], v[43:44], v[14:15], v[29:30]
	v_fma_f64 v[28:29], v[45:46], v[14:15], v[31:32]
	v_fma_f64 v[18:19], -v[41:42], v[16:17], v[12:13]
	v_fma_f64 v[12:13], v[39:40], v[16:17], v[24:25]
	v_fma_f64 v[14:15], -v[45:46], v[16:17], v[26:27]
	v_fma_f64 v[16:17], v[43:44], v[16:17], v[28:29]
	s_cbranch_scc1 .LBB285_9
; %bb.11:                               ;   in Loop: Header=BB285_10 Depth=2
	v_add_u32_e32 v53, s3, v34
	v_add_u32_e32 v20, 2, v53
	v_lshlrev_b64 v[24:25], 4, v[20:21]
	v_mov_b32_e32 v54, s13
	v_add_co_u32_e32 v39, vcc, s12, v24
	v_addc_co_u32_e32 v40, vcc, v54, v25, vcc
	v_add_u32_e32 v20, 1, v23
	global_load_dwordx4 v[24:27], v[39:40], off offset:16
	global_load_dwordx4 v[28:31], v[39:40], off
	v_lshlrev_b64 v[39:40], 4, v[20:21]
	v_mov_b32_e32 v55, s15
	v_add_co_u32_e32 v39, vcc, s14, v39
	v_addc_co_u32_e32 v40, vcc, v55, v40, vcc
	global_load_dwordx4 v[39:42], v[39:40], off
	v_add_u32_e32 v20, 4, v53
	s_add_i32 s3, s3, 8
	s_waitcnt vmcnt(0)
	v_fma_f64 v[43:44], v[28:29], v[39:40], v[18:19]
	v_fma_f64 v[43:44], -v[30:31], v[41:42], v[43:44]
	v_fma_f64 v[30:31], v[30:31], v[39:40], v[12:13]
	v_fma_f64 v[45:46], v[28:29], v[41:42], v[30:31]
	;; [unrolled: 1-line block ×3, first 2 shown]
	v_fma_f64 v[47:48], -v[26:27], v[41:42], v[28:29]
	v_fma_f64 v[26:27], v[26:27], v[39:40], v[16:17]
	v_fma_f64 v[49:50], v[24:25], v[41:42], v[26:27]
	v_lshlrev_b64 v[24:25], 4, v[20:21]
	v_add_u32_e32 v20, 2, v23
	v_add_co_u32_e32 v39, vcc, s12, v24
	v_addc_co_u32_e32 v40, vcc, v54, v25, vcc
	global_load_dwordx4 v[24:27], v[39:40], off offset:16
	global_load_dwordx4 v[28:31], v[39:40], off
	v_lshlrev_b64 v[39:40], 4, v[20:21]
	v_add_u32_e32 v20, 6, v53
	v_add_co_u32_e32 v39, vcc, s14, v39
	v_addc_co_u32_e32 v40, vcc, v55, v40, vcc
	global_load_dwordx4 v[39:42], v[39:40], off
	s_waitcnt vmcnt(0)
	v_fma_f64 v[43:44], v[28:29], v[39:40], v[43:44]
	v_fma_f64 v[51:52], -v[30:31], v[41:42], v[43:44]
	v_fma_f64 v[30:31], v[30:31], v[39:40], v[45:46]
	v_fma_f64 v[31:32], v[28:29], v[41:42], v[30:31]
	;; [unrolled: 1-line block ×3, first 2 shown]
	v_fma_f64 v[47:48], -v[26:27], v[41:42], v[28:29]
	v_fma_f64 v[26:27], v[26:27], v[39:40], v[49:50]
	v_fma_f64 v[49:50], v[24:25], v[41:42], v[26:27]
	v_lshlrev_b64 v[24:25], 4, v[20:21]
	v_add_u32_e32 v20, 3, v23
	v_add_co_u32_e32 v24, vcc, s12, v24
	v_addc_co_u32_e32 v25, vcc, v54, v25, vcc
	global_load_dwordx4 v[39:42], v[24:25], off offset:16
	global_load_dwordx4 v[27:30], v[24:25], off
	v_lshlrev_b64 v[24:25], 4, v[20:21]
	v_add_u32_e32 v23, 4, v23
	v_add_co_u32_e32 v24, vcc, s14, v24
	v_addc_co_u32_e32 v25, vcc, v55, v25, vcc
	global_load_dwordx4 v[43:46], v[24:25], off
	s_waitcnt vmcnt(0)
	v_fma_f64 v[24:25], v[27:28], v[43:44], v[51:52]
	v_fma_f64 v[25:26], -v[29:30], v[45:46], v[24:25]
	v_fma_f64 v[29:30], v[29:30], v[43:44], v[31:32]
	v_fma_f64 v[31:32], v[41:42], v[43:44], v[49:50]
	;; [unrolled: 1-line block ×5, first 2 shown]
	v_fma_f64 v[29:30], -v[41:42], v[45:46], v[29:30]
	s_cbranch_execnz .LBB285_10
	s_branch .LBB285_7
.LBB285_12:
                                        ; implicit-def: $vgpr12_vgpr13
                                        ; implicit-def: $vgpr18_vgpr19
                                        ; implicit-def: $vgpr14_vgpr15
                                        ; implicit-def: $vgpr16_vgpr17
	s_branch .LBB285_15
.LBB285_13:
	s_or_b64 exec, exec, s[8:9]
.LBB285_14:
	s_or_b64 exec, exec, s[6:7]
	s_cbranch_execnz .LBB285_24
.LBB285_15:
	v_mov_b32_e32 v12, 0
	v_mov_b32_e32 v18, 0
	;; [unrolled: 1-line block ×8, first 2 shown]
	s_and_saveexec_b64 s[6:7], s[0:1]
	s_cbranch_execz .LBB285_23
; %bb.16:
	v_mul_lo_u32 v11, v11, 26
	v_mul_lo_u32 v30, v10, 26
	s_mul_i32 s0, s2, 26
	v_mov_b32_e32 v12, 0
	v_mad_u32_u24 v11, v0, 26, v11
	v_mov_b32_e32 v18, 0
	v_mov_b32_e32 v14, 0
	;; [unrolled: 1-line block ×4, first 2 shown]
	v_subrev_u32_e32 v31, s0, v11
	s_mov_b64 s[0:1], 0
	v_mov_b32_e32 v32, s11
	v_mov_b32_e32 v21, 0
	;; [unrolled: 1-line block ×7, first 2 shown]
	s_branch .LBB285_18
.LBB285_17:                             ;   in Loop: Header=BB285_18 Depth=1
	v_add_u32_e32 v10, 16, v10
	v_cmp_ge_i32_e32 vcc, v10, v33
	v_add_u32_e32 v30, 0x1a0, v30
	s_or_b64 s[0:1], vcc, s[0:1]
	v_add_u32_e32 v31, 0x1a0, v31
	s_andn2_b64 exec, exec, s[0:1]
	s_cbranch_execz .LBB285_22
.LBB285_18:                             ; =>This Loop Header: Depth=1
                                        ;     Child Loop BB285_20 Depth 2
	v_ashrrev_i32_e32 v11, 31, v10
	v_lshlrev_b64 v[22:23], 2, v[10:11]
	v_mov_b32_e32 v27, v13
	v_add_co_u32_e32 v22, vcc, s10, v22
	v_addc_co_u32_e32 v23, vcc, v32, v23, vcc
	global_load_dword v11, v[22:23], off
	v_mov_b32_e32 v29, v19
	v_mov_b32_e32 v25, v15
	;; [unrolled: 1-line block ×3, first 2 shown]
	s_mov_b32 s3, 0
	v_mov_b32_e32 v26, v12
	v_mov_b32_e32 v28, v18
	;; [unrolled: 1-line block ×4, first 2 shown]
	s_waitcnt vmcnt(0)
	v_subrev_u32_e32 v11, s2, v11
	v_mul_lo_u32 v11, v11, 13
	s_branch .LBB285_20
.LBB285_19:                             ;   in Loop: Header=BB285_20 Depth=2
	s_andn2_b64 vcc, exec, s[8:9]
	s_cbranch_vccz .LBB285_17
.LBB285_20:                             ;   Parent Loop BB285_18 Depth=1
                                        ; =>  This Inner Loop Header: Depth=2
	v_add_u32_e32 v20, s3, v31
	v_lshlrev_b64 v[12:13], 4, v[20:21]
	v_add_u32_e32 v20, s3, v11
	v_add_co_u32_e32 v12, vcc, s12, v12
	v_lshlrev_b64 v[16:17], 4, v[20:21]
	v_addc_co_u32_e32 v13, vcc, v34, v13, vcc
	v_add_co_u32_e32 v16, vcc, s14, v16
	v_addc_co_u32_e32 v17, vcc, v35, v17, vcc
	v_add_u32_e32 v36, s3, v30
	global_load_dwordx4 v[37:40], v[16:17], off
	v_add_u32_e32 v16, 13, v36
	v_mov_b32_e32 v17, v21
	v_lshlrev_b64 v[16:17], 4, v[16:17]
	global_load_dwordx4 v[12:15], v[12:13], off
	v_add_co_u32_e32 v16, vcc, s12, v16
	v_addc_co_u32_e32 v17, vcc, v34, v17, vcc
	global_load_dwordx4 v[41:44], v[16:17], off
	s_cmp_eq_u32 s3, 12
	s_mov_b64 s[8:9], -1
	s_waitcnt vmcnt(1)
	v_fma_f64 v[16:17], v[12:13], v[37:38], v[28:29]
	v_fma_f64 v[26:27], v[14:15], v[37:38], v[26:27]
                                        ; implicit-def: $vgpr28_vgpr29
	s_waitcnt vmcnt(0)
	v_fma_f64 v[24:25], v[41:42], v[37:38], v[24:25]
	v_fma_f64 v[22:23], v[43:44], v[37:38], v[22:23]
	v_fma_f64 v[18:19], -v[14:15], v[39:40], v[16:17]
	v_fma_f64 v[12:13], v[12:13], v[39:40], v[26:27]
                                        ; implicit-def: $vgpr26_vgpr27
	v_fma_f64 v[14:15], -v[43:44], v[39:40], v[24:25]
	v_fma_f64 v[16:17], v[41:42], v[39:40], v[22:23]
                                        ; implicit-def: $vgpr22_vgpr23
                                        ; implicit-def: $vgpr24_vgpr25
	s_cbranch_scc1 .LBB285_19
; %bb.21:                               ;   in Loop: Header=BB285_20 Depth=2
	v_add_u32_e32 v22, 1, v36
	v_mov_b32_e32 v23, v21
	v_lshlrev_b64 v[22:23], 4, v[22:23]
	v_add_u32_e32 v26, 1, v20
	v_mov_b32_e32 v27, v21
	v_mov_b32_e32 v55, s13
	v_add_co_u32_e32 v22, vcc, s12, v22
	v_lshlrev_b64 v[26:27], 4, v[26:27]
	v_addc_co_u32_e32 v23, vcc, v55, v23, vcc
	v_mov_b32_e32 v56, s15
	v_add_co_u32_e32 v26, vcc, s14, v26
	v_addc_co_u32_e32 v27, vcc, v56, v27, vcc
	global_load_dwordx4 v[22:25], v[22:23], off
	v_add_u32_e32 v37, 14, v36
	global_load_dwordx4 v[26:29], v[26:27], off
	v_mov_b32_e32 v38, v21
	v_lshlrev_b64 v[37:38], 4, v[37:38]
	v_add_u32_e32 v43, 2, v36
	v_add_co_u32_e32 v41, vcc, s12, v37
	v_addc_co_u32_e32 v42, vcc, v55, v38, vcc
	global_load_dwordx4 v[37:40], v[41:42], off
	v_mov_b32_e32 v44, v21
	v_lshlrev_b64 v[43:44], 4, v[43:44]
	v_add_u32_e32 v45, 2, v20
	v_mov_b32_e32 v46, v21
	v_lshlrev_b64 v[45:46], 4, v[45:46]
	v_add_co_u32_e32 v43, vcc, s12, v43
	v_add_u32_e32 v20, 3, v20
	v_addc_co_u32_e32 v44, vcc, v55, v44, vcc
	v_add_co_u32_e32 v45, vcc, s14, v45
	v_addc_co_u32_e32 v46, vcc, v56, v46, vcc
	s_add_i32 s3, s3, 4
	s_mov_b64 s[8:9], 0
	s_waitcnt vmcnt(1)
	v_fma_f64 v[47:48], v[22:23], v[26:27], v[18:19]
	v_fma_f64 v[49:50], v[24:25], v[26:27], v[12:13]
	v_fma_f64 v[47:48], -v[24:25], v[28:29], v[47:48]
	s_waitcnt vmcnt(0)
	v_fma_f64 v[24:25], v[39:40], v[26:27], v[16:17]
	v_fma_f64 v[49:50], v[22:23], v[28:29], v[49:50]
	;; [unrolled: 1-line block ×4, first 2 shown]
	v_lshlrev_b64 v[37:38], 4, v[20:21]
	v_fma_f64 v[51:52], -v[39:40], v[28:29], v[22:23]
	global_load_dwordx4 v[22:25], v[43:44], off
	global_load_dwordx4 v[26:29], v[45:46], off
	v_add_co_u32_e32 v45, vcc, s14, v37
	v_addc_co_u32_e32 v46, vcc, v56, v38, vcc
	global_load_dwordx4 v[37:40], v[41:42], off offset:16
	v_add_u32_e32 v20, 16, v36
	s_waitcnt vmcnt(1)
	v_fma_f64 v[41:42], v[22:23], v[26:27], v[47:48]
	v_fma_f64 v[47:48], v[24:25], v[26:27], v[49:50]
	v_lshlrev_b64 v[49:50], 4, v[20:21]
	v_add_co_u32_e32 v49, vcc, s12, v49
	s_waitcnt vmcnt(0)
	v_fma_f64 v[51:52], v[37:38], v[26:27], v[51:52]
	v_fma_f64 v[26:27], v[39:40], v[26:27], v[53:54]
	v_addc_co_u32_e32 v50, vcc, v55, v50, vcc
	v_fma_f64 v[53:54], -v[24:25], v[28:29], v[41:42]
	v_fma_f64 v[47:48], v[22:23], v[28:29], v[47:48]
	global_load_dwordx4 v[22:25], v[43:44], off offset:16
	v_fma_f64 v[26:27], v[37:38], v[28:29], v[26:27]
	global_load_dwordx4 v[41:44], v[45:46], off
	v_fma_f64 v[45:46], -v[39:40], v[28:29], v[51:52]
	global_load_dwordx4 v[36:39], v[49:50], off
	s_waitcnt vmcnt(1)
	v_fma_f64 v[28:29], v[22:23], v[41:42], v[53:54]
	v_fma_f64 v[47:48], v[24:25], v[41:42], v[47:48]
	s_waitcnt vmcnt(0)
	v_fma_f64 v[45:46], v[36:37], v[41:42], v[45:46]
	v_fma_f64 v[40:41], v[38:39], v[41:42], v[26:27]
	v_fma_f64 v[28:29], -v[24:25], v[43:44], v[28:29]
	v_fma_f64 v[26:27], v[22:23], v[43:44], v[47:48]
	v_fma_f64 v[24:25], -v[38:39], v[43:44], v[45:46]
	v_fma_f64 v[22:23], v[36:37], v[43:44], v[40:41]
	s_branch .LBB285_19
.LBB285_22:
	s_or_b64 exec, exec, s[0:1]
.LBB285_23:
	s_or_b64 exec, exec, s[6:7]
.LBB285_24:
	v_mov_b32_dpp v10, v18 row_shr:1 row_mask:0xf bank_mask:0xf
	v_mov_b32_dpp v11, v19 row_shr:1 row_mask:0xf bank_mask:0xf
	v_add_f64 v[10:11], v[18:19], v[10:11]
	v_mov_b32_dpp v18, v12 row_shr:1 row_mask:0xf bank_mask:0xf
	v_mov_b32_dpp v19, v13 row_shr:1 row_mask:0xf bank_mask:0xf
	;; [unrolled: 1-line block ×3, first 2 shown]
	v_add_f64 v[12:13], v[12:13], v[18:19]
	v_mov_b32_dpp v21, v15 row_shr:1 row_mask:0xf bank_mask:0xf
	v_add_f64 v[14:15], v[14:15], v[20:21]
	v_cmp_eq_u32_e32 vcc, 15, v0
	v_mov_b32_dpp v18, v10 row_shr:2 row_mask:0xf bank_mask:0xf
	v_mov_b32_dpp v19, v11 row_shr:2 row_mask:0xf bank_mask:0xf
	v_add_f64 v[10:11], v[10:11], v[18:19]
	v_mov_b32_dpp v18, v16 row_shr:1 row_mask:0xf bank_mask:0xf
	v_mov_b32_dpp v19, v17 row_shr:1 row_mask:0xf bank_mask:0xf
	v_add_f64 v[16:17], v[16:17], v[18:19]
	;; [unrolled: 3-line block ×4, first 2 shown]
	v_mov_b32_dpp v20, v10 row_shr:4 row_mask:0xf bank_mask:0xe
	v_mov_b32_dpp v18, v16 row_shr:2 row_mask:0xf bank_mask:0xf
	v_mov_b32_dpp v19, v17 row_shr:2 row_mask:0xf bank_mask:0xf
	v_add_f64 v[16:17], v[16:17], v[18:19]
	v_mov_b32_dpp v18, v12 row_shr:4 row_mask:0xf bank_mask:0xe
	v_mov_b32_dpp v19, v13 row_shr:4 row_mask:0xf bank_mask:0xe
	v_add_f64 v[12:13], v[12:13], v[18:19]
	v_mov_b32_dpp v18, v14 row_shr:4 row_mask:0xf bank_mask:0xe
	v_mov_b32_dpp v19, v15 row_shr:4 row_mask:0xf bank_mask:0xe
	;; [unrolled: 1-line block ×3, first 2 shown]
	v_add_f64 v[18:19], v[14:15], v[18:19]
	v_mov_b32_dpp v14, v16 row_shr:4 row_mask:0xf bank_mask:0xe
	v_mov_b32_dpp v15, v17 row_shr:4 row_mask:0xf bank_mask:0xe
	v_add_f64 v[10:11], v[10:11], v[20:21]
	v_add_f64 v[14:15], v[16:17], v[14:15]
	v_mov_b32_dpp v16, v12 row_shr:8 row_mask:0xf bank_mask:0xc
	v_mov_b32_dpp v17, v13 row_shr:8 row_mask:0xf bank_mask:0xc
	;; [unrolled: 1-line block ×8, first 2 shown]
	s_and_b64 exec, exec, vcc
	s_cbranch_execz .LBB285_29
; %bb.25:
	v_cmp_eq_f64_e32 vcc, 0, v[5:6]
	v_cmp_eq_f64_e64 s[0:1], 0, v[7:8]
	v_add_f64 v[10:11], v[10:11], v[24:25]
	v_add_f64 v[16:17], v[12:13], v[16:17]
	v_add_f64 v[12:13], v[18:19], v[22:23]
	v_add_f64 v[14:15], v[14:15], v[20:21]
	s_load_dwordx2 s[2:3], s[4:5], 0x48
	s_and_b64 s[0:1], vcc, s[0:1]
	s_and_saveexec_b64 s[4:5], s[0:1]
	s_xor_b64 s[0:1], exec, s[4:5]
	s_cbranch_execz .LBB285_27
; %bb.26:
	v_mul_f64 v[5:6], v[16:17], -v[3:4]
	v_mul_f64 v[7:8], v[1:2], v[16:17]
	v_mul_f64 v[16:17], v[14:15], -v[3:4]
	v_mul_f64 v[14:15], v[1:2], v[14:15]
	v_lshlrev_b32_e32 v9, 1, v9
	s_waitcnt lgkmcnt(0)
	v_mov_b32_e32 v18, s3
	v_fma_f64 v[5:6], v[1:2], v[10:11], v[5:6]
	v_fma_f64 v[7:8], v[3:4], v[10:11], v[7:8]
	;; [unrolled: 1-line block ×4, first 2 shown]
	v_ashrrev_i32_e32 v10, 31, v9
	v_lshlrev_b64 v[9:10], 4, v[9:10]
                                        ; implicit-def: $vgpr16_vgpr17
                                        ; implicit-def: $vgpr12_vgpr13
                                        ; implicit-def: $vgpr14_vgpr15
	v_add_co_u32_e32 v9, vcc, s2, v9
	v_addc_co_u32_e32 v10, vcc, v18, v10, vcc
	global_store_dwordx4 v[9:10], v[5:8], off
	global_store_dwordx4 v[9:10], v[0:3], off offset:16
                                        ; implicit-def: $vgpr9
                                        ; implicit-def: $vgpr10_vgpr11
                                        ; implicit-def: $vgpr7_vgpr8
                                        ; implicit-def: $vgpr3_vgpr4
.LBB285_27:
	s_andn2_saveexec_b64 s[0:1], s[0:1]
	s_cbranch_execz .LBB285_29
; %bb.28:
	v_lshlrev_b32_e32 v18, 1, v9
	v_ashrrev_i32_e32 v19, 31, v18
	v_lshlrev_b64 v[18:19], 4, v[18:19]
	s_waitcnt lgkmcnt(0)
	v_mov_b32_e32 v0, s3
	v_add_co_u32_e32 v26, vcc, s2, v18
	v_addc_co_u32_e32 v27, vcc, v0, v19, vcc
	global_load_dwordx4 v[18:21], v[26:27], off
	global_load_dwordx4 v[22:25], v[26:27], off offset:16
	v_mul_f64 v[28:29], v[16:17], -v[3:4]
	v_mul_f64 v[16:17], v[1:2], v[16:17]
	v_mul_f64 v[30:31], v[14:15], -v[3:4]
	v_mul_f64 v[14:15], v[1:2], v[14:15]
	v_fma_f64 v[28:29], v[1:2], v[10:11], v[28:29]
	v_fma_f64 v[9:10], v[3:4], v[10:11], v[16:17]
	;; [unrolled: 1-line block ×4, first 2 shown]
	s_waitcnt vmcnt(1)
	v_fma_f64 v[11:12], v[5:6], v[18:19], v[28:29]
	v_fma_f64 v[9:10], v[7:8], v[18:19], v[9:10]
	s_waitcnt vmcnt(0)
	v_fma_f64 v[13:14], v[5:6], v[22:23], v[0:1]
	v_fma_f64 v[15:16], v[7:8], v[22:23], v[2:3]
	v_fma_f64 v[0:1], -v[7:8], v[20:21], v[11:12]
	v_fma_f64 v[2:3], v[5:6], v[20:21], v[9:10]
	v_fma_f64 v[7:8], -v[7:8], v[24:25], v[13:14]
	v_fma_f64 v[9:10], v[5:6], v[24:25], v[15:16]
	global_store_dwordx4 v[26:27], v[0:3], off
	global_store_dwordx4 v[26:27], v[7:10], off offset:16
.LBB285_29:
	s_endpgm
	.section	.rodata,"a",@progbits
	.p2align	6, 0x0
	.amdhsa_kernel _ZN9rocsparseL19gebsrmvn_2xn_kernelILj128ELj13ELj16E21rocsparse_complex_numIdEEEvi20rocsparse_direction_NS_24const_host_device_scalarIT2_EEPKiS8_PKS5_SA_S6_PS5_21rocsparse_index_base_b
		.amdhsa_group_segment_fixed_size 0
		.amdhsa_private_segment_fixed_size 0
		.amdhsa_kernarg_size 88
		.amdhsa_user_sgpr_count 6
		.amdhsa_user_sgpr_private_segment_buffer 1
		.amdhsa_user_sgpr_dispatch_ptr 0
		.amdhsa_user_sgpr_queue_ptr 0
		.amdhsa_user_sgpr_kernarg_segment_ptr 1
		.amdhsa_user_sgpr_dispatch_id 0
		.amdhsa_user_sgpr_flat_scratch_init 0
		.amdhsa_user_sgpr_private_segment_size 0
		.amdhsa_uses_dynamic_stack 0
		.amdhsa_system_sgpr_private_segment_wavefront_offset 0
		.amdhsa_system_sgpr_workgroup_id_x 1
		.amdhsa_system_sgpr_workgroup_id_y 0
		.amdhsa_system_sgpr_workgroup_id_z 0
		.amdhsa_system_sgpr_workgroup_info 0
		.amdhsa_system_vgpr_workitem_id 0
		.amdhsa_next_free_vgpr 57
		.amdhsa_next_free_sgpr 16
		.amdhsa_reserve_vcc 1
		.amdhsa_reserve_flat_scratch 0
		.amdhsa_float_round_mode_32 0
		.amdhsa_float_round_mode_16_64 0
		.amdhsa_float_denorm_mode_32 3
		.amdhsa_float_denorm_mode_16_64 3
		.amdhsa_dx10_clamp 1
		.amdhsa_ieee_mode 1
		.amdhsa_fp16_overflow 0
		.amdhsa_exception_fp_ieee_invalid_op 0
		.amdhsa_exception_fp_denorm_src 0
		.amdhsa_exception_fp_ieee_div_zero 0
		.amdhsa_exception_fp_ieee_overflow 0
		.amdhsa_exception_fp_ieee_underflow 0
		.amdhsa_exception_fp_ieee_inexact 0
		.amdhsa_exception_int_div_zero 0
	.end_amdhsa_kernel
	.section	.text._ZN9rocsparseL19gebsrmvn_2xn_kernelILj128ELj13ELj16E21rocsparse_complex_numIdEEEvi20rocsparse_direction_NS_24const_host_device_scalarIT2_EEPKiS8_PKS5_SA_S6_PS5_21rocsparse_index_base_b,"axG",@progbits,_ZN9rocsparseL19gebsrmvn_2xn_kernelILj128ELj13ELj16E21rocsparse_complex_numIdEEEvi20rocsparse_direction_NS_24const_host_device_scalarIT2_EEPKiS8_PKS5_SA_S6_PS5_21rocsparse_index_base_b,comdat
.Lfunc_end285:
	.size	_ZN9rocsparseL19gebsrmvn_2xn_kernelILj128ELj13ELj16E21rocsparse_complex_numIdEEEvi20rocsparse_direction_NS_24const_host_device_scalarIT2_EEPKiS8_PKS5_SA_S6_PS5_21rocsparse_index_base_b, .Lfunc_end285-_ZN9rocsparseL19gebsrmvn_2xn_kernelILj128ELj13ELj16E21rocsparse_complex_numIdEEEvi20rocsparse_direction_NS_24const_host_device_scalarIT2_EEPKiS8_PKS5_SA_S6_PS5_21rocsparse_index_base_b
                                        ; -- End function
	.set _ZN9rocsparseL19gebsrmvn_2xn_kernelILj128ELj13ELj16E21rocsparse_complex_numIdEEEvi20rocsparse_direction_NS_24const_host_device_scalarIT2_EEPKiS8_PKS5_SA_S6_PS5_21rocsparse_index_base_b.num_vgpr, 57
	.set _ZN9rocsparseL19gebsrmvn_2xn_kernelILj128ELj13ELj16E21rocsparse_complex_numIdEEEvi20rocsparse_direction_NS_24const_host_device_scalarIT2_EEPKiS8_PKS5_SA_S6_PS5_21rocsparse_index_base_b.num_agpr, 0
	.set _ZN9rocsparseL19gebsrmvn_2xn_kernelILj128ELj13ELj16E21rocsparse_complex_numIdEEEvi20rocsparse_direction_NS_24const_host_device_scalarIT2_EEPKiS8_PKS5_SA_S6_PS5_21rocsparse_index_base_b.numbered_sgpr, 16
	.set _ZN9rocsparseL19gebsrmvn_2xn_kernelILj128ELj13ELj16E21rocsparse_complex_numIdEEEvi20rocsparse_direction_NS_24const_host_device_scalarIT2_EEPKiS8_PKS5_SA_S6_PS5_21rocsparse_index_base_b.num_named_barrier, 0
	.set _ZN9rocsparseL19gebsrmvn_2xn_kernelILj128ELj13ELj16E21rocsparse_complex_numIdEEEvi20rocsparse_direction_NS_24const_host_device_scalarIT2_EEPKiS8_PKS5_SA_S6_PS5_21rocsparse_index_base_b.private_seg_size, 0
	.set _ZN9rocsparseL19gebsrmvn_2xn_kernelILj128ELj13ELj16E21rocsparse_complex_numIdEEEvi20rocsparse_direction_NS_24const_host_device_scalarIT2_EEPKiS8_PKS5_SA_S6_PS5_21rocsparse_index_base_b.uses_vcc, 1
	.set _ZN9rocsparseL19gebsrmvn_2xn_kernelILj128ELj13ELj16E21rocsparse_complex_numIdEEEvi20rocsparse_direction_NS_24const_host_device_scalarIT2_EEPKiS8_PKS5_SA_S6_PS5_21rocsparse_index_base_b.uses_flat_scratch, 0
	.set _ZN9rocsparseL19gebsrmvn_2xn_kernelILj128ELj13ELj16E21rocsparse_complex_numIdEEEvi20rocsparse_direction_NS_24const_host_device_scalarIT2_EEPKiS8_PKS5_SA_S6_PS5_21rocsparse_index_base_b.has_dyn_sized_stack, 0
	.set _ZN9rocsparseL19gebsrmvn_2xn_kernelILj128ELj13ELj16E21rocsparse_complex_numIdEEEvi20rocsparse_direction_NS_24const_host_device_scalarIT2_EEPKiS8_PKS5_SA_S6_PS5_21rocsparse_index_base_b.has_recursion, 0
	.set _ZN9rocsparseL19gebsrmvn_2xn_kernelILj128ELj13ELj16E21rocsparse_complex_numIdEEEvi20rocsparse_direction_NS_24const_host_device_scalarIT2_EEPKiS8_PKS5_SA_S6_PS5_21rocsparse_index_base_b.has_indirect_call, 0
	.section	.AMDGPU.csdata,"",@progbits
; Kernel info:
; codeLenInByte = 2780
; TotalNumSgprs: 20
; NumVgprs: 57
; ScratchSize: 0
; MemoryBound: 0
; FloatMode: 240
; IeeeMode: 1
; LDSByteSize: 0 bytes/workgroup (compile time only)
; SGPRBlocks: 2
; VGPRBlocks: 14
; NumSGPRsForWavesPerEU: 20
; NumVGPRsForWavesPerEU: 57
; Occupancy: 4
; WaveLimiterHint : 1
; COMPUTE_PGM_RSRC2:SCRATCH_EN: 0
; COMPUTE_PGM_RSRC2:USER_SGPR: 6
; COMPUTE_PGM_RSRC2:TRAP_HANDLER: 0
; COMPUTE_PGM_RSRC2:TGID_X_EN: 1
; COMPUTE_PGM_RSRC2:TGID_Y_EN: 0
; COMPUTE_PGM_RSRC2:TGID_Z_EN: 0
; COMPUTE_PGM_RSRC2:TIDIG_COMP_CNT: 0
	.section	.text._ZN9rocsparseL19gebsrmvn_2xn_kernelILj128ELj13ELj32E21rocsparse_complex_numIdEEEvi20rocsparse_direction_NS_24const_host_device_scalarIT2_EEPKiS8_PKS5_SA_S6_PS5_21rocsparse_index_base_b,"axG",@progbits,_ZN9rocsparseL19gebsrmvn_2xn_kernelILj128ELj13ELj32E21rocsparse_complex_numIdEEEvi20rocsparse_direction_NS_24const_host_device_scalarIT2_EEPKiS8_PKS5_SA_S6_PS5_21rocsparse_index_base_b,comdat
	.globl	_ZN9rocsparseL19gebsrmvn_2xn_kernelILj128ELj13ELj32E21rocsparse_complex_numIdEEEvi20rocsparse_direction_NS_24const_host_device_scalarIT2_EEPKiS8_PKS5_SA_S6_PS5_21rocsparse_index_base_b ; -- Begin function _ZN9rocsparseL19gebsrmvn_2xn_kernelILj128ELj13ELj32E21rocsparse_complex_numIdEEEvi20rocsparse_direction_NS_24const_host_device_scalarIT2_EEPKiS8_PKS5_SA_S6_PS5_21rocsparse_index_base_b
	.p2align	8
	.type	_ZN9rocsparseL19gebsrmvn_2xn_kernelILj128ELj13ELj32E21rocsparse_complex_numIdEEEvi20rocsparse_direction_NS_24const_host_device_scalarIT2_EEPKiS8_PKS5_SA_S6_PS5_21rocsparse_index_base_b,@function
_ZN9rocsparseL19gebsrmvn_2xn_kernelILj128ELj13ELj32E21rocsparse_complex_numIdEEEvi20rocsparse_direction_NS_24const_host_device_scalarIT2_EEPKiS8_PKS5_SA_S6_PS5_21rocsparse_index_base_b: ; @_ZN9rocsparseL19gebsrmvn_2xn_kernelILj128ELj13ELj32E21rocsparse_complex_numIdEEEvi20rocsparse_direction_NS_24const_host_device_scalarIT2_EEPKiS8_PKS5_SA_S6_PS5_21rocsparse_index_base_b
; %bb.0:
	s_load_dwordx2 s[0:1], s[4:5], 0x8
	s_load_dwordx2 s[8:9], s[4:5], 0x38
	;; [unrolled: 1-line block ×3, first 2 shown]
	s_add_u32 s7, s4, 8
	s_addc_u32 s10, s5, 0
	s_add_u32 s11, s4, 56
	s_addc_u32 s12, s5, 0
	s_waitcnt lgkmcnt(0)
	s_bitcmp1_b32 s3, 0
	s_cselect_b32 s1, s10, s1
	s_cselect_b32 s0, s7, s0
	v_mov_b32_e32 v1, s0
	v_mov_b32_e32 v2, s1
	flat_load_dwordx4 v[1:4], v[1:2]
	s_cselect_b32 s0, s12, s9
	s_cselect_b32 s1, s11, s8
	v_mov_b32_e32 v5, s1
	v_mov_b32_e32 v6, s0
	flat_load_dwordx4 v[5:8], v[5:6]
	s_waitcnt vmcnt(0) lgkmcnt(0)
	v_cmp_eq_f64_e32 vcc, 0, v[1:2]
	v_cmp_eq_f64_e64 s[0:1], 0, v[3:4]
	s_and_b64 s[10:11], vcc, s[0:1]
	s_mov_b64 s[0:1], -1
	s_and_saveexec_b64 s[8:9], s[10:11]
	s_cbranch_execz .LBB286_2
; %bb.1:
	v_cmp_neq_f64_e32 vcc, 1.0, v[5:6]
	v_cmp_neq_f64_e64 s[0:1], 0, v[7:8]
	s_or_b64 s[0:1], vcc, s[0:1]
	s_orn2_b64 s[0:1], s[0:1], exec
.LBB286_2:
	s_or_b64 exec, exec, s[8:9]
	s_and_saveexec_b64 s[8:9], s[0:1]
	s_cbranch_execz .LBB286_29
; %bb.3:
	s_load_dwordx2 s[0:1], s[4:5], 0x0
	v_lshrrev_b32_e32 v9, 5, v0
	v_lshl_or_b32 v9, s6, 2, v9
	s_waitcnt lgkmcnt(0)
	v_cmp_gt_i32_e32 vcc, s0, v9
	s_and_b64 exec, exec, vcc
	s_cbranch_execz .LBB286_29
; %bb.4:
	s_load_dwordx8 s[8:15], s[4:5], 0x18
	v_ashrrev_i32_e32 v10, 31, v9
	v_lshlrev_b64 v[10:11], 2, v[9:10]
	v_and_b32_e32 v0, 31, v0
	s_cmp_lg_u32 s1, 0
	s_waitcnt lgkmcnt(0)
	v_mov_b32_e32 v12, s9
	v_add_co_u32_e32 v10, vcc, s8, v10
	v_addc_co_u32_e32 v11, vcc, v12, v11, vcc
	global_load_dwordx2 v[11:12], v[10:11], off
	s_waitcnt vmcnt(0)
	v_subrev_u32_e32 v10, s2, v11
	v_subrev_u32_e32 v33, s2, v12
	v_add_u32_e32 v10, v10, v0
	v_cmp_lt_i32_e64 s[0:1], v10, v33
	s_cbranch_scc0 .LBB286_12
; %bb.5:
	v_mov_b32_e32 v12, 0
	v_mov_b32_e32 v18, 0
	;; [unrolled: 1-line block ×8, first 2 shown]
	s_and_saveexec_b64 s[6:7], s[0:1]
	s_cbranch_execz .LBB286_14
; %bb.6:
	v_mul_lo_u32 v14, v11, 26
	v_mul_lo_u32 v34, v10, 26
	s_mul_i32 s3, s2, 26
	v_mov_b32_e32 v12, 0
	v_mad_u32_u24 v14, v0, 26, v14
	v_subrev_u32_e32 v35, s3, v14
	v_mov_b32_e32 v18, 0
	v_mov_b32_e32 v14, 0
	;; [unrolled: 1-line block ×4, first 2 shown]
	s_mov_b64 s[8:9], 0
	v_mov_b32_e32 v36, s11
	v_mov_b32_e32 v21, 0
	v_mov_b32_e32 v37, s13
	v_mov_b32_e32 v38, s15
	v_mov_b32_e32 v19, 0
	v_mov_b32_e32 v15, 0
	v_mov_b32_e32 v17, 0
	v_mov_b32_e32 v22, v10
	s_branch .LBB286_8
.LBB286_7:                              ;   in Loop: Header=BB286_8 Depth=1
	v_add_u32_e32 v22, 32, v22
	v_cmp_ge_i32_e32 vcc, v22, v33
	v_add_u32_e32 v34, 0x340, v34
	s_or_b64 s[8:9], vcc, s[8:9]
	v_add_u32_e32 v35, 0x340, v35
	s_andn2_b64 exec, exec, s[8:9]
	s_cbranch_execz .LBB286_13
.LBB286_8:                              ; =>This Loop Header: Depth=1
                                        ;     Child Loop BB286_10 Depth 2
	v_ashrrev_i32_e32 v23, 31, v22
	v_lshlrev_b64 v[23:24], 2, v[22:23]
	v_mov_b32_e32 v28, v13
	v_add_co_u32_e32 v23, vcc, s10, v23
	v_addc_co_u32_e32 v24, vcc, v36, v24, vcc
	global_load_dword v20, v[23:24], off
	v_mov_b32_e32 v26, v19
	v_mov_b32_e32 v30, v15
	;; [unrolled: 1-line block ×3, first 2 shown]
	s_mov_b32 s3, 0
	v_mov_b32_e32 v27, v12
	v_mov_b32_e32 v25, v18
	;; [unrolled: 1-line block ×4, first 2 shown]
	s_waitcnt vmcnt(0)
	v_subrev_u32_e32 v20, s2, v20
	v_mul_lo_u32 v23, v20, 13
	s_branch .LBB286_10
.LBB286_9:                              ;   in Loop: Header=BB286_8 Depth=1
                                        ; implicit-def: $vgpr31_vgpr32
                                        ; implicit-def: $vgpr29_vgpr30
                                        ; implicit-def: $vgpr25_vgpr26
                                        ; implicit-def: $vgpr27_vgpr28
                                        ; implicit-def: $sgpr3
                                        ; implicit-def: $vgpr23
	s_branch .LBB286_7
.LBB286_10:                             ;   Parent Loop BB286_8 Depth=1
                                        ; =>  This Inner Loop Header: Depth=2
	v_add_u32_e32 v20, s3, v35
	v_lshlrev_b64 v[12:13], 4, v[20:21]
	v_mov_b32_e32 v24, v21
	v_add_co_u32_e32 v12, vcc, s12, v12
	v_lshlrev_b64 v[14:15], 4, v[23:24]
	v_addc_co_u32_e32 v13, vcc, v37, v13, vcc
	v_add_co_u32_e32 v18, vcc, s14, v14
	v_addc_co_u32_e32 v19, vcc, v38, v15, vcc
	global_load_dwordx4 v[14:17], v[18:19], off
	global_load_dwordx4 v[39:42], v[12:13], off
	global_load_dwordx4 v[43:46], v[12:13], off offset:16
	s_cmp_eq_u32 s3, 24
	s_waitcnt vmcnt(1)
	v_fma_f64 v[12:13], v[39:40], v[14:15], v[25:26]
	v_fma_f64 v[24:25], v[41:42], v[14:15], v[27:28]
	s_waitcnt vmcnt(0)
	v_fma_f64 v[26:27], v[43:44], v[14:15], v[29:30]
	v_fma_f64 v[28:29], v[45:46], v[14:15], v[31:32]
	v_fma_f64 v[18:19], -v[41:42], v[16:17], v[12:13]
	v_fma_f64 v[12:13], v[39:40], v[16:17], v[24:25]
	v_fma_f64 v[14:15], -v[45:46], v[16:17], v[26:27]
	v_fma_f64 v[16:17], v[43:44], v[16:17], v[28:29]
	s_cbranch_scc1 .LBB286_9
; %bb.11:                               ;   in Loop: Header=BB286_10 Depth=2
	v_add_u32_e32 v53, s3, v34
	v_add_u32_e32 v20, 2, v53
	v_lshlrev_b64 v[24:25], 4, v[20:21]
	v_mov_b32_e32 v54, s13
	v_add_co_u32_e32 v39, vcc, s12, v24
	v_addc_co_u32_e32 v40, vcc, v54, v25, vcc
	v_add_u32_e32 v20, 1, v23
	global_load_dwordx4 v[24:27], v[39:40], off offset:16
	global_load_dwordx4 v[28:31], v[39:40], off
	v_lshlrev_b64 v[39:40], 4, v[20:21]
	v_mov_b32_e32 v55, s15
	v_add_co_u32_e32 v39, vcc, s14, v39
	v_addc_co_u32_e32 v40, vcc, v55, v40, vcc
	global_load_dwordx4 v[39:42], v[39:40], off
	v_add_u32_e32 v20, 4, v53
	s_add_i32 s3, s3, 8
	s_waitcnt vmcnt(0)
	v_fma_f64 v[43:44], v[28:29], v[39:40], v[18:19]
	v_fma_f64 v[43:44], -v[30:31], v[41:42], v[43:44]
	v_fma_f64 v[30:31], v[30:31], v[39:40], v[12:13]
	v_fma_f64 v[45:46], v[28:29], v[41:42], v[30:31]
	;; [unrolled: 1-line block ×3, first 2 shown]
	v_fma_f64 v[47:48], -v[26:27], v[41:42], v[28:29]
	v_fma_f64 v[26:27], v[26:27], v[39:40], v[16:17]
	v_fma_f64 v[49:50], v[24:25], v[41:42], v[26:27]
	v_lshlrev_b64 v[24:25], 4, v[20:21]
	v_add_u32_e32 v20, 2, v23
	v_add_co_u32_e32 v39, vcc, s12, v24
	v_addc_co_u32_e32 v40, vcc, v54, v25, vcc
	global_load_dwordx4 v[24:27], v[39:40], off offset:16
	global_load_dwordx4 v[28:31], v[39:40], off
	v_lshlrev_b64 v[39:40], 4, v[20:21]
	v_add_u32_e32 v20, 6, v53
	v_add_co_u32_e32 v39, vcc, s14, v39
	v_addc_co_u32_e32 v40, vcc, v55, v40, vcc
	global_load_dwordx4 v[39:42], v[39:40], off
	s_waitcnt vmcnt(0)
	v_fma_f64 v[43:44], v[28:29], v[39:40], v[43:44]
	v_fma_f64 v[51:52], -v[30:31], v[41:42], v[43:44]
	v_fma_f64 v[30:31], v[30:31], v[39:40], v[45:46]
	v_fma_f64 v[31:32], v[28:29], v[41:42], v[30:31]
	;; [unrolled: 1-line block ×3, first 2 shown]
	v_fma_f64 v[47:48], -v[26:27], v[41:42], v[28:29]
	v_fma_f64 v[26:27], v[26:27], v[39:40], v[49:50]
	v_fma_f64 v[49:50], v[24:25], v[41:42], v[26:27]
	v_lshlrev_b64 v[24:25], 4, v[20:21]
	v_add_u32_e32 v20, 3, v23
	v_add_co_u32_e32 v24, vcc, s12, v24
	v_addc_co_u32_e32 v25, vcc, v54, v25, vcc
	global_load_dwordx4 v[39:42], v[24:25], off offset:16
	global_load_dwordx4 v[27:30], v[24:25], off
	v_lshlrev_b64 v[24:25], 4, v[20:21]
	v_add_u32_e32 v23, 4, v23
	v_add_co_u32_e32 v24, vcc, s14, v24
	v_addc_co_u32_e32 v25, vcc, v55, v25, vcc
	global_load_dwordx4 v[43:46], v[24:25], off
	s_waitcnt vmcnt(0)
	v_fma_f64 v[24:25], v[27:28], v[43:44], v[51:52]
	v_fma_f64 v[25:26], -v[29:30], v[45:46], v[24:25]
	v_fma_f64 v[29:30], v[29:30], v[43:44], v[31:32]
	v_fma_f64 v[31:32], v[41:42], v[43:44], v[49:50]
	;; [unrolled: 1-line block ×5, first 2 shown]
	v_fma_f64 v[29:30], -v[41:42], v[45:46], v[29:30]
	s_cbranch_execnz .LBB286_10
	s_branch .LBB286_7
.LBB286_12:
                                        ; implicit-def: $vgpr12_vgpr13
                                        ; implicit-def: $vgpr18_vgpr19
                                        ; implicit-def: $vgpr14_vgpr15
                                        ; implicit-def: $vgpr16_vgpr17
	s_branch .LBB286_15
.LBB286_13:
	s_or_b64 exec, exec, s[8:9]
.LBB286_14:
	s_or_b64 exec, exec, s[6:7]
	s_cbranch_execnz .LBB286_24
.LBB286_15:
	v_mov_b32_e32 v12, 0
	v_mov_b32_e32 v18, 0
	v_mov_b32_e32 v14, 0
	v_mov_b32_e32 v16, 0
	v_mov_b32_e32 v13, 0
	v_mov_b32_e32 v19, 0
	v_mov_b32_e32 v15, 0
	v_mov_b32_e32 v17, 0
	s_and_saveexec_b64 s[6:7], s[0:1]
	s_cbranch_execz .LBB286_23
; %bb.16:
	v_mul_lo_u32 v11, v11, 26
	v_mul_lo_u32 v30, v10, 26
	s_mul_i32 s0, s2, 26
	v_mov_b32_e32 v12, 0
	v_mad_u32_u24 v11, v0, 26, v11
	v_mov_b32_e32 v18, 0
	v_mov_b32_e32 v14, 0
	;; [unrolled: 1-line block ×4, first 2 shown]
	v_subrev_u32_e32 v31, s0, v11
	s_mov_b64 s[0:1], 0
	v_mov_b32_e32 v32, s11
	v_mov_b32_e32 v21, 0
	;; [unrolled: 1-line block ×7, first 2 shown]
	s_branch .LBB286_18
.LBB286_17:                             ;   in Loop: Header=BB286_18 Depth=1
	v_add_u32_e32 v10, 32, v10
	v_cmp_ge_i32_e32 vcc, v10, v33
	v_add_u32_e32 v30, 0x340, v30
	s_or_b64 s[0:1], vcc, s[0:1]
	v_add_u32_e32 v31, 0x340, v31
	s_andn2_b64 exec, exec, s[0:1]
	s_cbranch_execz .LBB286_22
.LBB286_18:                             ; =>This Loop Header: Depth=1
                                        ;     Child Loop BB286_20 Depth 2
	v_ashrrev_i32_e32 v11, 31, v10
	v_lshlrev_b64 v[22:23], 2, v[10:11]
	v_mov_b32_e32 v27, v13
	v_add_co_u32_e32 v22, vcc, s10, v22
	v_addc_co_u32_e32 v23, vcc, v32, v23, vcc
	global_load_dword v11, v[22:23], off
	v_mov_b32_e32 v29, v19
	v_mov_b32_e32 v25, v15
	;; [unrolled: 1-line block ×3, first 2 shown]
	s_mov_b32 s3, 0
	v_mov_b32_e32 v26, v12
	v_mov_b32_e32 v28, v18
	;; [unrolled: 1-line block ×4, first 2 shown]
	s_waitcnt vmcnt(0)
	v_subrev_u32_e32 v11, s2, v11
	v_mul_lo_u32 v11, v11, 13
	s_branch .LBB286_20
.LBB286_19:                             ;   in Loop: Header=BB286_20 Depth=2
	s_andn2_b64 vcc, exec, s[8:9]
	s_cbranch_vccz .LBB286_17
.LBB286_20:                             ;   Parent Loop BB286_18 Depth=1
                                        ; =>  This Inner Loop Header: Depth=2
	v_add_u32_e32 v20, s3, v31
	v_lshlrev_b64 v[12:13], 4, v[20:21]
	v_add_u32_e32 v20, s3, v11
	v_add_co_u32_e32 v12, vcc, s12, v12
	v_lshlrev_b64 v[16:17], 4, v[20:21]
	v_addc_co_u32_e32 v13, vcc, v34, v13, vcc
	v_add_co_u32_e32 v16, vcc, s14, v16
	v_addc_co_u32_e32 v17, vcc, v35, v17, vcc
	v_add_u32_e32 v36, s3, v30
	global_load_dwordx4 v[37:40], v[16:17], off
	v_add_u32_e32 v16, 13, v36
	v_mov_b32_e32 v17, v21
	v_lshlrev_b64 v[16:17], 4, v[16:17]
	global_load_dwordx4 v[12:15], v[12:13], off
	v_add_co_u32_e32 v16, vcc, s12, v16
	v_addc_co_u32_e32 v17, vcc, v34, v17, vcc
	global_load_dwordx4 v[41:44], v[16:17], off
	s_cmp_eq_u32 s3, 12
	s_mov_b64 s[8:9], -1
	s_waitcnt vmcnt(1)
	v_fma_f64 v[16:17], v[12:13], v[37:38], v[28:29]
	v_fma_f64 v[26:27], v[14:15], v[37:38], v[26:27]
                                        ; implicit-def: $vgpr28_vgpr29
	s_waitcnt vmcnt(0)
	v_fma_f64 v[24:25], v[41:42], v[37:38], v[24:25]
	v_fma_f64 v[22:23], v[43:44], v[37:38], v[22:23]
	v_fma_f64 v[18:19], -v[14:15], v[39:40], v[16:17]
	v_fma_f64 v[12:13], v[12:13], v[39:40], v[26:27]
                                        ; implicit-def: $vgpr26_vgpr27
	v_fma_f64 v[14:15], -v[43:44], v[39:40], v[24:25]
	v_fma_f64 v[16:17], v[41:42], v[39:40], v[22:23]
                                        ; implicit-def: $vgpr22_vgpr23
                                        ; implicit-def: $vgpr24_vgpr25
	s_cbranch_scc1 .LBB286_19
; %bb.21:                               ;   in Loop: Header=BB286_20 Depth=2
	v_add_u32_e32 v22, 1, v36
	v_mov_b32_e32 v23, v21
	v_lshlrev_b64 v[22:23], 4, v[22:23]
	v_add_u32_e32 v26, 1, v20
	v_mov_b32_e32 v27, v21
	v_mov_b32_e32 v55, s13
	v_add_co_u32_e32 v22, vcc, s12, v22
	v_lshlrev_b64 v[26:27], 4, v[26:27]
	v_addc_co_u32_e32 v23, vcc, v55, v23, vcc
	v_mov_b32_e32 v56, s15
	v_add_co_u32_e32 v26, vcc, s14, v26
	v_addc_co_u32_e32 v27, vcc, v56, v27, vcc
	global_load_dwordx4 v[22:25], v[22:23], off
	v_add_u32_e32 v37, 14, v36
	global_load_dwordx4 v[26:29], v[26:27], off
	v_mov_b32_e32 v38, v21
	v_lshlrev_b64 v[37:38], 4, v[37:38]
	v_add_u32_e32 v43, 2, v36
	v_add_co_u32_e32 v41, vcc, s12, v37
	v_addc_co_u32_e32 v42, vcc, v55, v38, vcc
	global_load_dwordx4 v[37:40], v[41:42], off
	v_mov_b32_e32 v44, v21
	v_lshlrev_b64 v[43:44], 4, v[43:44]
	v_add_u32_e32 v45, 2, v20
	v_mov_b32_e32 v46, v21
	v_lshlrev_b64 v[45:46], 4, v[45:46]
	v_add_co_u32_e32 v43, vcc, s12, v43
	v_add_u32_e32 v20, 3, v20
	v_addc_co_u32_e32 v44, vcc, v55, v44, vcc
	v_add_co_u32_e32 v45, vcc, s14, v45
	v_addc_co_u32_e32 v46, vcc, v56, v46, vcc
	s_add_i32 s3, s3, 4
	s_mov_b64 s[8:9], 0
	s_waitcnt vmcnt(1)
	v_fma_f64 v[47:48], v[22:23], v[26:27], v[18:19]
	v_fma_f64 v[49:50], v[24:25], v[26:27], v[12:13]
	v_fma_f64 v[47:48], -v[24:25], v[28:29], v[47:48]
	s_waitcnt vmcnt(0)
	v_fma_f64 v[24:25], v[39:40], v[26:27], v[16:17]
	v_fma_f64 v[49:50], v[22:23], v[28:29], v[49:50]
	;; [unrolled: 1-line block ×4, first 2 shown]
	v_lshlrev_b64 v[37:38], 4, v[20:21]
	v_fma_f64 v[51:52], -v[39:40], v[28:29], v[22:23]
	global_load_dwordx4 v[22:25], v[43:44], off
	global_load_dwordx4 v[26:29], v[45:46], off
	v_add_co_u32_e32 v45, vcc, s14, v37
	v_addc_co_u32_e32 v46, vcc, v56, v38, vcc
	global_load_dwordx4 v[37:40], v[41:42], off offset:16
	v_add_u32_e32 v20, 16, v36
	s_waitcnt vmcnt(1)
	v_fma_f64 v[41:42], v[22:23], v[26:27], v[47:48]
	v_fma_f64 v[47:48], v[24:25], v[26:27], v[49:50]
	v_lshlrev_b64 v[49:50], 4, v[20:21]
	v_add_co_u32_e32 v49, vcc, s12, v49
	s_waitcnt vmcnt(0)
	v_fma_f64 v[51:52], v[37:38], v[26:27], v[51:52]
	v_fma_f64 v[26:27], v[39:40], v[26:27], v[53:54]
	v_addc_co_u32_e32 v50, vcc, v55, v50, vcc
	v_fma_f64 v[53:54], -v[24:25], v[28:29], v[41:42]
	v_fma_f64 v[47:48], v[22:23], v[28:29], v[47:48]
	global_load_dwordx4 v[22:25], v[43:44], off offset:16
	v_fma_f64 v[26:27], v[37:38], v[28:29], v[26:27]
	global_load_dwordx4 v[41:44], v[45:46], off
	v_fma_f64 v[45:46], -v[39:40], v[28:29], v[51:52]
	global_load_dwordx4 v[36:39], v[49:50], off
	s_waitcnt vmcnt(1)
	v_fma_f64 v[28:29], v[22:23], v[41:42], v[53:54]
	v_fma_f64 v[47:48], v[24:25], v[41:42], v[47:48]
	s_waitcnt vmcnt(0)
	v_fma_f64 v[45:46], v[36:37], v[41:42], v[45:46]
	v_fma_f64 v[40:41], v[38:39], v[41:42], v[26:27]
	v_fma_f64 v[28:29], -v[24:25], v[43:44], v[28:29]
	v_fma_f64 v[26:27], v[22:23], v[43:44], v[47:48]
	v_fma_f64 v[24:25], -v[38:39], v[43:44], v[45:46]
	v_fma_f64 v[22:23], v[36:37], v[43:44], v[40:41]
	s_branch .LBB286_19
.LBB286_22:
	s_or_b64 exec, exec, s[0:1]
.LBB286_23:
	s_or_b64 exec, exec, s[6:7]
.LBB286_24:
	v_mov_b32_dpp v10, v18 row_shr:1 row_mask:0xf bank_mask:0xf
	v_mov_b32_dpp v11, v19 row_shr:1 row_mask:0xf bank_mask:0xf
	v_add_f64 v[10:11], v[18:19], v[10:11]
	v_mov_b32_dpp v18, v12 row_shr:1 row_mask:0xf bank_mask:0xf
	v_mov_b32_dpp v19, v13 row_shr:1 row_mask:0xf bank_mask:0xf
	v_add_f64 v[12:13], v[12:13], v[18:19]
	;; [unrolled: 3-line block ×3, first 2 shown]
	v_cmp_eq_u32_e32 vcc, 31, v0
	v_mov_b32_dpp v18, v10 row_shr:2 row_mask:0xf bank_mask:0xf
	v_mov_b32_dpp v19, v11 row_shr:2 row_mask:0xf bank_mask:0xf
	v_add_f64 v[10:11], v[10:11], v[18:19]
	v_mov_b32_dpp v18, v16 row_shr:1 row_mask:0xf bank_mask:0xf
	v_mov_b32_dpp v19, v17 row_shr:1 row_mask:0xf bank_mask:0xf
	v_add_f64 v[16:17], v[16:17], v[18:19]
	v_mov_b32_dpp v18, v12 row_shr:2 row_mask:0xf bank_mask:0xf
	v_mov_b32_dpp v19, v13 row_shr:2 row_mask:0xf bank_mask:0xf
	v_add_f64 v[12:13], v[12:13], v[18:19]
	v_mov_b32_dpp v20, v10 row_shr:4 row_mask:0xf bank_mask:0xe
	v_mov_b32_dpp v21, v11 row_shr:4 row_mask:0xf bank_mask:0xe
	v_add_f64 v[10:11], v[10:11], v[20:21]
	v_mov_b32_dpp v20, v14 row_shr:2 row_mask:0xf bank_mask:0xf
	v_mov_b32_dpp v21, v15 row_shr:2 row_mask:0xf bank_mask:0xf
	;; [unrolled: 1-line block ×3, first 2 shown]
	v_add_f64 v[14:15], v[14:15], v[20:21]
	v_mov_b32_dpp v19, v17 row_shr:2 row_mask:0xf bank_mask:0xf
	v_add_f64 v[16:17], v[16:17], v[18:19]
	v_mov_b32_dpp v20, v12 row_shr:4 row_mask:0xf bank_mask:0xe
	v_mov_b32_dpp v21, v13 row_shr:4 row_mask:0xf bank_mask:0xe
	v_add_f64 v[12:13], v[12:13], v[20:21]
	v_mov_b32_dpp v18, v10 row_shr:8 row_mask:0xf bank_mask:0xc
	v_mov_b32_dpp v19, v11 row_shr:8 row_mask:0xf bank_mask:0xc
	;; [unrolled: 1-line block ×4, first 2 shown]
	v_add_f64 v[14:15], v[14:15], v[20:21]
	v_mov_b32_dpp v20, v16 row_shr:4 row_mask:0xf bank_mask:0xe
	v_mov_b32_dpp v21, v17 row_shr:4 row_mask:0xf bank_mask:0xe
	v_add_f64 v[16:17], v[16:17], v[20:21]
	v_add_f64 v[10:11], v[10:11], v[18:19]
	v_mov_b32_dpp v18, v12 row_shr:8 row_mask:0xf bank_mask:0xc
	v_mov_b32_dpp v19, v13 row_shr:8 row_mask:0xf bank_mask:0xc
	v_add_f64 v[12:13], v[12:13], v[18:19]
	v_mov_b32_dpp v18, v14 row_shr:8 row_mask:0xf bank_mask:0xc
	v_mov_b32_dpp v19, v15 row_shr:8 row_mask:0xf bank_mask:0xc
	;; [unrolled: 3-line block ×3, first 2 shown]
	v_add_f64 v[14:15], v[16:17], v[14:15]
	v_mov_b32_dpp v24, v10 row_bcast:15 row_mask:0xa bank_mask:0xf
	v_mov_b32_dpp v25, v11 row_bcast:15 row_mask:0xa bank_mask:0xf
	;; [unrolled: 1-line block ×8, first 2 shown]
	s_and_b64 exec, exec, vcc
	s_cbranch_execz .LBB286_29
; %bb.25:
	v_cmp_eq_f64_e32 vcc, 0, v[5:6]
	v_cmp_eq_f64_e64 s[0:1], 0, v[7:8]
	v_add_f64 v[10:11], v[10:11], v[24:25]
	v_add_f64 v[16:17], v[12:13], v[16:17]
	;; [unrolled: 1-line block ×4, first 2 shown]
	s_load_dwordx2 s[2:3], s[4:5], 0x48
	s_and_b64 s[0:1], vcc, s[0:1]
	s_and_saveexec_b64 s[4:5], s[0:1]
	s_xor_b64 s[0:1], exec, s[4:5]
	s_cbranch_execz .LBB286_27
; %bb.26:
	v_mul_f64 v[5:6], v[16:17], -v[3:4]
	v_mul_f64 v[7:8], v[1:2], v[16:17]
	v_mul_f64 v[16:17], v[14:15], -v[3:4]
	v_mul_f64 v[14:15], v[1:2], v[14:15]
	v_lshlrev_b32_e32 v9, 1, v9
	s_waitcnt lgkmcnt(0)
	v_mov_b32_e32 v18, s3
	v_fma_f64 v[5:6], v[1:2], v[10:11], v[5:6]
	v_fma_f64 v[7:8], v[3:4], v[10:11], v[7:8]
	;; [unrolled: 1-line block ×4, first 2 shown]
	v_ashrrev_i32_e32 v10, 31, v9
	v_lshlrev_b64 v[9:10], 4, v[9:10]
                                        ; implicit-def: $vgpr16_vgpr17
                                        ; implicit-def: $vgpr12_vgpr13
                                        ; implicit-def: $vgpr14_vgpr15
	v_add_co_u32_e32 v9, vcc, s2, v9
	v_addc_co_u32_e32 v10, vcc, v18, v10, vcc
	global_store_dwordx4 v[9:10], v[5:8], off
	global_store_dwordx4 v[9:10], v[0:3], off offset:16
                                        ; implicit-def: $vgpr9
                                        ; implicit-def: $vgpr10_vgpr11
                                        ; implicit-def: $vgpr7_vgpr8
                                        ; implicit-def: $vgpr3_vgpr4
.LBB286_27:
	s_andn2_saveexec_b64 s[0:1], s[0:1]
	s_cbranch_execz .LBB286_29
; %bb.28:
	v_lshlrev_b32_e32 v18, 1, v9
	v_ashrrev_i32_e32 v19, 31, v18
	v_lshlrev_b64 v[18:19], 4, v[18:19]
	s_waitcnt lgkmcnt(0)
	v_mov_b32_e32 v0, s3
	v_add_co_u32_e32 v26, vcc, s2, v18
	v_addc_co_u32_e32 v27, vcc, v0, v19, vcc
	global_load_dwordx4 v[18:21], v[26:27], off
	global_load_dwordx4 v[22:25], v[26:27], off offset:16
	v_mul_f64 v[28:29], v[16:17], -v[3:4]
	v_mul_f64 v[16:17], v[1:2], v[16:17]
	v_mul_f64 v[30:31], v[14:15], -v[3:4]
	v_mul_f64 v[14:15], v[1:2], v[14:15]
	v_fma_f64 v[28:29], v[1:2], v[10:11], v[28:29]
	v_fma_f64 v[9:10], v[3:4], v[10:11], v[16:17]
	v_fma_f64 v[0:1], v[1:2], v[12:13], v[30:31]
	v_fma_f64 v[2:3], v[3:4], v[12:13], v[14:15]
	s_waitcnt vmcnt(1)
	v_fma_f64 v[11:12], v[5:6], v[18:19], v[28:29]
	v_fma_f64 v[9:10], v[7:8], v[18:19], v[9:10]
	s_waitcnt vmcnt(0)
	v_fma_f64 v[13:14], v[5:6], v[22:23], v[0:1]
	v_fma_f64 v[15:16], v[7:8], v[22:23], v[2:3]
	v_fma_f64 v[0:1], -v[7:8], v[20:21], v[11:12]
	v_fma_f64 v[2:3], v[5:6], v[20:21], v[9:10]
	v_fma_f64 v[7:8], -v[7:8], v[24:25], v[13:14]
	v_fma_f64 v[9:10], v[5:6], v[24:25], v[15:16]
	global_store_dwordx4 v[26:27], v[0:3], off
	global_store_dwordx4 v[26:27], v[7:10], off offset:16
.LBB286_29:
	s_endpgm
	.section	.rodata,"a",@progbits
	.p2align	6, 0x0
	.amdhsa_kernel _ZN9rocsparseL19gebsrmvn_2xn_kernelILj128ELj13ELj32E21rocsparse_complex_numIdEEEvi20rocsparse_direction_NS_24const_host_device_scalarIT2_EEPKiS8_PKS5_SA_S6_PS5_21rocsparse_index_base_b
		.amdhsa_group_segment_fixed_size 0
		.amdhsa_private_segment_fixed_size 0
		.amdhsa_kernarg_size 88
		.amdhsa_user_sgpr_count 6
		.amdhsa_user_sgpr_private_segment_buffer 1
		.amdhsa_user_sgpr_dispatch_ptr 0
		.amdhsa_user_sgpr_queue_ptr 0
		.amdhsa_user_sgpr_kernarg_segment_ptr 1
		.amdhsa_user_sgpr_dispatch_id 0
		.amdhsa_user_sgpr_flat_scratch_init 0
		.amdhsa_user_sgpr_private_segment_size 0
		.amdhsa_uses_dynamic_stack 0
		.amdhsa_system_sgpr_private_segment_wavefront_offset 0
		.amdhsa_system_sgpr_workgroup_id_x 1
		.amdhsa_system_sgpr_workgroup_id_y 0
		.amdhsa_system_sgpr_workgroup_id_z 0
		.amdhsa_system_sgpr_workgroup_info 0
		.amdhsa_system_vgpr_workitem_id 0
		.amdhsa_next_free_vgpr 57
		.amdhsa_next_free_sgpr 16
		.amdhsa_reserve_vcc 1
		.amdhsa_reserve_flat_scratch 0
		.amdhsa_float_round_mode_32 0
		.amdhsa_float_round_mode_16_64 0
		.amdhsa_float_denorm_mode_32 3
		.amdhsa_float_denorm_mode_16_64 3
		.amdhsa_dx10_clamp 1
		.amdhsa_ieee_mode 1
		.amdhsa_fp16_overflow 0
		.amdhsa_exception_fp_ieee_invalid_op 0
		.amdhsa_exception_fp_denorm_src 0
		.amdhsa_exception_fp_ieee_div_zero 0
		.amdhsa_exception_fp_ieee_overflow 0
		.amdhsa_exception_fp_ieee_underflow 0
		.amdhsa_exception_fp_ieee_inexact 0
		.amdhsa_exception_int_div_zero 0
	.end_amdhsa_kernel
	.section	.text._ZN9rocsparseL19gebsrmvn_2xn_kernelILj128ELj13ELj32E21rocsparse_complex_numIdEEEvi20rocsparse_direction_NS_24const_host_device_scalarIT2_EEPKiS8_PKS5_SA_S6_PS5_21rocsparse_index_base_b,"axG",@progbits,_ZN9rocsparseL19gebsrmvn_2xn_kernelILj128ELj13ELj32E21rocsparse_complex_numIdEEEvi20rocsparse_direction_NS_24const_host_device_scalarIT2_EEPKiS8_PKS5_SA_S6_PS5_21rocsparse_index_base_b,comdat
.Lfunc_end286:
	.size	_ZN9rocsparseL19gebsrmvn_2xn_kernelILj128ELj13ELj32E21rocsparse_complex_numIdEEEvi20rocsparse_direction_NS_24const_host_device_scalarIT2_EEPKiS8_PKS5_SA_S6_PS5_21rocsparse_index_base_b, .Lfunc_end286-_ZN9rocsparseL19gebsrmvn_2xn_kernelILj128ELj13ELj32E21rocsparse_complex_numIdEEEvi20rocsparse_direction_NS_24const_host_device_scalarIT2_EEPKiS8_PKS5_SA_S6_PS5_21rocsparse_index_base_b
                                        ; -- End function
	.set _ZN9rocsparseL19gebsrmvn_2xn_kernelILj128ELj13ELj32E21rocsparse_complex_numIdEEEvi20rocsparse_direction_NS_24const_host_device_scalarIT2_EEPKiS8_PKS5_SA_S6_PS5_21rocsparse_index_base_b.num_vgpr, 57
	.set _ZN9rocsparseL19gebsrmvn_2xn_kernelILj128ELj13ELj32E21rocsparse_complex_numIdEEEvi20rocsparse_direction_NS_24const_host_device_scalarIT2_EEPKiS8_PKS5_SA_S6_PS5_21rocsparse_index_base_b.num_agpr, 0
	.set _ZN9rocsparseL19gebsrmvn_2xn_kernelILj128ELj13ELj32E21rocsparse_complex_numIdEEEvi20rocsparse_direction_NS_24const_host_device_scalarIT2_EEPKiS8_PKS5_SA_S6_PS5_21rocsparse_index_base_b.numbered_sgpr, 16
	.set _ZN9rocsparseL19gebsrmvn_2xn_kernelILj128ELj13ELj32E21rocsparse_complex_numIdEEEvi20rocsparse_direction_NS_24const_host_device_scalarIT2_EEPKiS8_PKS5_SA_S6_PS5_21rocsparse_index_base_b.num_named_barrier, 0
	.set _ZN9rocsparseL19gebsrmvn_2xn_kernelILj128ELj13ELj32E21rocsparse_complex_numIdEEEvi20rocsparse_direction_NS_24const_host_device_scalarIT2_EEPKiS8_PKS5_SA_S6_PS5_21rocsparse_index_base_b.private_seg_size, 0
	.set _ZN9rocsparseL19gebsrmvn_2xn_kernelILj128ELj13ELj32E21rocsparse_complex_numIdEEEvi20rocsparse_direction_NS_24const_host_device_scalarIT2_EEPKiS8_PKS5_SA_S6_PS5_21rocsparse_index_base_b.uses_vcc, 1
	.set _ZN9rocsparseL19gebsrmvn_2xn_kernelILj128ELj13ELj32E21rocsparse_complex_numIdEEEvi20rocsparse_direction_NS_24const_host_device_scalarIT2_EEPKiS8_PKS5_SA_S6_PS5_21rocsparse_index_base_b.uses_flat_scratch, 0
	.set _ZN9rocsparseL19gebsrmvn_2xn_kernelILj128ELj13ELj32E21rocsparse_complex_numIdEEEvi20rocsparse_direction_NS_24const_host_device_scalarIT2_EEPKiS8_PKS5_SA_S6_PS5_21rocsparse_index_base_b.has_dyn_sized_stack, 0
	.set _ZN9rocsparseL19gebsrmvn_2xn_kernelILj128ELj13ELj32E21rocsparse_complex_numIdEEEvi20rocsparse_direction_NS_24const_host_device_scalarIT2_EEPKiS8_PKS5_SA_S6_PS5_21rocsparse_index_base_b.has_recursion, 0
	.set _ZN9rocsparseL19gebsrmvn_2xn_kernelILj128ELj13ELj32E21rocsparse_complex_numIdEEEvi20rocsparse_direction_NS_24const_host_device_scalarIT2_EEPKiS8_PKS5_SA_S6_PS5_21rocsparse_index_base_b.has_indirect_call, 0
	.section	.AMDGPU.csdata,"",@progbits
; Kernel info:
; codeLenInByte = 2876
; TotalNumSgprs: 20
; NumVgprs: 57
; ScratchSize: 0
; MemoryBound: 0
; FloatMode: 240
; IeeeMode: 1
; LDSByteSize: 0 bytes/workgroup (compile time only)
; SGPRBlocks: 2
; VGPRBlocks: 14
; NumSGPRsForWavesPerEU: 20
; NumVGPRsForWavesPerEU: 57
; Occupancy: 4
; WaveLimiterHint : 1
; COMPUTE_PGM_RSRC2:SCRATCH_EN: 0
; COMPUTE_PGM_RSRC2:USER_SGPR: 6
; COMPUTE_PGM_RSRC2:TRAP_HANDLER: 0
; COMPUTE_PGM_RSRC2:TGID_X_EN: 1
; COMPUTE_PGM_RSRC2:TGID_Y_EN: 0
; COMPUTE_PGM_RSRC2:TGID_Z_EN: 0
; COMPUTE_PGM_RSRC2:TIDIG_COMP_CNT: 0
	.section	.text._ZN9rocsparseL19gebsrmvn_2xn_kernelILj128ELj13ELj64E21rocsparse_complex_numIdEEEvi20rocsparse_direction_NS_24const_host_device_scalarIT2_EEPKiS8_PKS5_SA_S6_PS5_21rocsparse_index_base_b,"axG",@progbits,_ZN9rocsparseL19gebsrmvn_2xn_kernelILj128ELj13ELj64E21rocsparse_complex_numIdEEEvi20rocsparse_direction_NS_24const_host_device_scalarIT2_EEPKiS8_PKS5_SA_S6_PS5_21rocsparse_index_base_b,comdat
	.globl	_ZN9rocsparseL19gebsrmvn_2xn_kernelILj128ELj13ELj64E21rocsparse_complex_numIdEEEvi20rocsparse_direction_NS_24const_host_device_scalarIT2_EEPKiS8_PKS5_SA_S6_PS5_21rocsparse_index_base_b ; -- Begin function _ZN9rocsparseL19gebsrmvn_2xn_kernelILj128ELj13ELj64E21rocsparse_complex_numIdEEEvi20rocsparse_direction_NS_24const_host_device_scalarIT2_EEPKiS8_PKS5_SA_S6_PS5_21rocsparse_index_base_b
	.p2align	8
	.type	_ZN9rocsparseL19gebsrmvn_2xn_kernelILj128ELj13ELj64E21rocsparse_complex_numIdEEEvi20rocsparse_direction_NS_24const_host_device_scalarIT2_EEPKiS8_PKS5_SA_S6_PS5_21rocsparse_index_base_b,@function
_ZN9rocsparseL19gebsrmvn_2xn_kernelILj128ELj13ELj64E21rocsparse_complex_numIdEEEvi20rocsparse_direction_NS_24const_host_device_scalarIT2_EEPKiS8_PKS5_SA_S6_PS5_21rocsparse_index_base_b: ; @_ZN9rocsparseL19gebsrmvn_2xn_kernelILj128ELj13ELj64E21rocsparse_complex_numIdEEEvi20rocsparse_direction_NS_24const_host_device_scalarIT2_EEPKiS8_PKS5_SA_S6_PS5_21rocsparse_index_base_b
; %bb.0:
	s_load_dwordx2 s[0:1], s[4:5], 0x8
	s_load_dwordx2 s[8:9], s[4:5], 0x38
	;; [unrolled: 1-line block ×3, first 2 shown]
	s_add_u32 s7, s4, 8
	s_addc_u32 s10, s5, 0
	s_add_u32 s11, s4, 56
	s_addc_u32 s12, s5, 0
	s_waitcnt lgkmcnt(0)
	s_bitcmp1_b32 s3, 0
	s_cselect_b32 s1, s10, s1
	s_cselect_b32 s0, s7, s0
	v_mov_b32_e32 v1, s0
	v_mov_b32_e32 v2, s1
	flat_load_dwordx4 v[1:4], v[1:2]
	s_cselect_b32 s0, s12, s9
	s_cselect_b32 s1, s11, s8
	v_mov_b32_e32 v5, s1
	v_mov_b32_e32 v6, s0
	flat_load_dwordx4 v[5:8], v[5:6]
	s_waitcnt vmcnt(0) lgkmcnt(0)
	v_cmp_eq_f64_e32 vcc, 0, v[1:2]
	v_cmp_eq_f64_e64 s[0:1], 0, v[3:4]
	s_and_b64 s[10:11], vcc, s[0:1]
	s_mov_b64 s[0:1], -1
	s_and_saveexec_b64 s[8:9], s[10:11]
	s_cbranch_execz .LBB287_2
; %bb.1:
	v_cmp_neq_f64_e32 vcc, 1.0, v[5:6]
	v_cmp_neq_f64_e64 s[0:1], 0, v[7:8]
	s_or_b64 s[0:1], vcc, s[0:1]
	s_orn2_b64 s[0:1], s[0:1], exec
.LBB287_2:
	s_or_b64 exec, exec, s[8:9]
	s_and_saveexec_b64 s[8:9], s[0:1]
	s_cbranch_execz .LBB287_29
; %bb.3:
	s_load_dwordx2 s[0:1], s[4:5], 0x0
	v_lshrrev_b32_e32 v9, 6, v0
	v_lshl_or_b32 v9, s6, 1, v9
	s_waitcnt lgkmcnt(0)
	v_cmp_gt_i32_e32 vcc, s0, v9
	s_and_b64 exec, exec, vcc
	s_cbranch_execz .LBB287_29
; %bb.4:
	s_load_dwordx8 s[8:15], s[4:5], 0x18
	v_ashrrev_i32_e32 v10, 31, v9
	v_lshlrev_b64 v[10:11], 2, v[9:10]
	v_and_b32_e32 v0, 63, v0
	s_cmp_lg_u32 s1, 0
	s_waitcnt lgkmcnt(0)
	v_mov_b32_e32 v12, s9
	v_add_co_u32_e32 v10, vcc, s8, v10
	v_addc_co_u32_e32 v11, vcc, v12, v11, vcc
	global_load_dwordx2 v[11:12], v[10:11], off
	s_waitcnt vmcnt(0)
	v_subrev_u32_e32 v10, s2, v11
	v_subrev_u32_e32 v33, s2, v12
	v_add_u32_e32 v10, v10, v0
	v_cmp_lt_i32_e64 s[0:1], v10, v33
	s_cbranch_scc0 .LBB287_12
; %bb.5:
	v_mov_b32_e32 v16, 0
	v_mov_b32_e32 v18, 0
	;; [unrolled: 1-line block ×8, first 2 shown]
	s_and_saveexec_b64 s[6:7], s[0:1]
	s_cbranch_execz .LBB287_14
; %bb.6:
	v_mul_lo_u32 v12, v11, 26
	v_mul_lo_u32 v34, v10, 26
	s_mul_i32 s3, s2, 26
	v_mov_b32_e32 v16, 0
	v_mad_u32_u24 v12, v0, 26, v12
	v_subrev_u32_e32 v35, s3, v12
	v_mov_b32_e32 v18, 0
	v_mov_b32_e32 v12, 0
	;; [unrolled: 1-line block ×4, first 2 shown]
	s_mov_b64 s[8:9], 0
	v_mov_b32_e32 v36, s11
	v_mov_b32_e32 v21, 0
	;; [unrolled: 1-line block ×8, first 2 shown]
	s_branch .LBB287_8
.LBB287_7:                              ;   in Loop: Header=BB287_8 Depth=1
	v_add_u32_e32 v22, 64, v22
	v_cmp_ge_i32_e32 vcc, v22, v33
	v_add_u32_e32 v34, 0x680, v34
	s_or_b64 s[8:9], vcc, s[8:9]
	v_add_u32_e32 v35, 0x680, v35
	s_andn2_b64 exec, exec, s[8:9]
	s_cbranch_execz .LBB287_13
.LBB287_8:                              ; =>This Loop Header: Depth=1
                                        ;     Child Loop BB287_10 Depth 2
	v_ashrrev_i32_e32 v23, 31, v22
	v_lshlrev_b64 v[23:24], 2, v[22:23]
	v_mov_b32_e32 v28, v17
	v_add_co_u32_e32 v23, vcc, s10, v23
	v_addc_co_u32_e32 v24, vcc, v36, v24, vcc
	global_load_dword v20, v[23:24], off
	v_mov_b32_e32 v26, v19
	v_mov_b32_e32 v30, v13
	;; [unrolled: 1-line block ×3, first 2 shown]
	s_mov_b32 s3, 0
	v_mov_b32_e32 v27, v16
	v_mov_b32_e32 v25, v18
	;; [unrolled: 1-line block ×4, first 2 shown]
	s_waitcnt vmcnt(0)
	v_subrev_u32_e32 v20, s2, v20
	v_mul_lo_u32 v23, v20, 13
	s_branch .LBB287_10
.LBB287_9:                              ;   in Loop: Header=BB287_8 Depth=1
                                        ; implicit-def: $vgpr31_vgpr32
                                        ; implicit-def: $vgpr29_vgpr30
                                        ; implicit-def: $vgpr25_vgpr26
                                        ; implicit-def: $vgpr27_vgpr28
                                        ; implicit-def: $sgpr3
                                        ; implicit-def: $vgpr23
	s_branch .LBB287_7
.LBB287_10:                             ;   Parent Loop BB287_8 Depth=1
                                        ; =>  This Inner Loop Header: Depth=2
	v_add_u32_e32 v20, s3, v35
	v_lshlrev_b64 v[12:13], 4, v[20:21]
	v_mov_b32_e32 v24, v21
	v_add_co_u32_e32 v43, vcc, s12, v12
	v_addc_co_u32_e32 v44, vcc, v37, v13, vcc
	v_lshlrev_b64 v[12:13], 4, v[23:24]
	s_cmp_eq_u32 s3, 24
	v_add_co_u32_e32 v45, vcc, s14, v12
	v_addc_co_u32_e32 v46, vcc, v38, v13, vcc
	global_load_dwordx4 v[12:15], v[45:46], off
	global_load_dwordx4 v[16:19], v[43:44], off
	global_load_dwordx4 v[39:42], v[43:44], off offset:16
	s_waitcnt vmcnt(1)
	v_fma_f64 v[24:25], v[16:17], v[12:13], v[25:26]
	v_fma_f64 v[26:27], v[18:19], v[12:13], v[27:28]
	s_waitcnt vmcnt(0)
	v_fma_f64 v[28:29], v[39:40], v[12:13], v[29:30]
	v_fma_f64 v[30:31], v[41:42], v[12:13], v[31:32]
	v_fma_f64 v[18:19], -v[18:19], v[14:15], v[24:25]
	v_fma_f64 v[16:17], v[16:17], v[14:15], v[26:27]
	v_fma_f64 v[12:13], -v[41:42], v[14:15], v[28:29]
	v_fma_f64 v[14:15], v[39:40], v[14:15], v[30:31]
	s_cbranch_scc1 .LBB287_9
; %bb.11:                               ;   in Loop: Header=BB287_10 Depth=2
	v_add_u32_e32 v53, s3, v34
	v_add_u32_e32 v20, 2, v53
	v_lshlrev_b64 v[24:25], 4, v[20:21]
	v_mov_b32_e32 v54, s13
	v_add_co_u32_e32 v39, vcc, s12, v24
	v_addc_co_u32_e32 v40, vcc, v54, v25, vcc
	v_add_u32_e32 v20, 1, v23
	global_load_dwordx4 v[24:27], v[39:40], off offset:16
	global_load_dwordx4 v[28:31], v[39:40], off
	v_lshlrev_b64 v[39:40], 4, v[20:21]
	v_mov_b32_e32 v55, s15
	v_add_co_u32_e32 v39, vcc, s14, v39
	v_addc_co_u32_e32 v40, vcc, v55, v40, vcc
	global_load_dwordx4 v[39:42], v[39:40], off
	v_add_u32_e32 v20, 4, v53
	s_add_i32 s3, s3, 8
	s_waitcnt vmcnt(0)
	v_fma_f64 v[43:44], v[28:29], v[39:40], v[18:19]
	v_fma_f64 v[43:44], -v[30:31], v[41:42], v[43:44]
	v_fma_f64 v[30:31], v[30:31], v[39:40], v[16:17]
	v_fma_f64 v[45:46], v[28:29], v[41:42], v[30:31]
	;; [unrolled: 1-line block ×3, first 2 shown]
	v_fma_f64 v[47:48], -v[26:27], v[41:42], v[28:29]
	v_fma_f64 v[26:27], v[26:27], v[39:40], v[14:15]
	v_fma_f64 v[49:50], v[24:25], v[41:42], v[26:27]
	v_lshlrev_b64 v[24:25], 4, v[20:21]
	v_add_u32_e32 v20, 2, v23
	v_add_co_u32_e32 v39, vcc, s12, v24
	v_addc_co_u32_e32 v40, vcc, v54, v25, vcc
	global_load_dwordx4 v[24:27], v[39:40], off offset:16
	global_load_dwordx4 v[28:31], v[39:40], off
	v_lshlrev_b64 v[39:40], 4, v[20:21]
	v_add_u32_e32 v20, 6, v53
	v_add_co_u32_e32 v39, vcc, s14, v39
	v_addc_co_u32_e32 v40, vcc, v55, v40, vcc
	global_load_dwordx4 v[39:42], v[39:40], off
	s_waitcnt vmcnt(0)
	v_fma_f64 v[43:44], v[28:29], v[39:40], v[43:44]
	v_fma_f64 v[51:52], -v[30:31], v[41:42], v[43:44]
	v_fma_f64 v[30:31], v[30:31], v[39:40], v[45:46]
	v_fma_f64 v[31:32], v[28:29], v[41:42], v[30:31]
	;; [unrolled: 1-line block ×3, first 2 shown]
	v_fma_f64 v[47:48], -v[26:27], v[41:42], v[28:29]
	v_fma_f64 v[26:27], v[26:27], v[39:40], v[49:50]
	v_fma_f64 v[49:50], v[24:25], v[41:42], v[26:27]
	v_lshlrev_b64 v[24:25], 4, v[20:21]
	v_add_u32_e32 v20, 3, v23
	v_add_co_u32_e32 v24, vcc, s12, v24
	v_addc_co_u32_e32 v25, vcc, v54, v25, vcc
	global_load_dwordx4 v[39:42], v[24:25], off offset:16
	global_load_dwordx4 v[27:30], v[24:25], off
	v_lshlrev_b64 v[24:25], 4, v[20:21]
	v_add_u32_e32 v23, 4, v23
	v_add_co_u32_e32 v24, vcc, s14, v24
	v_addc_co_u32_e32 v25, vcc, v55, v25, vcc
	global_load_dwordx4 v[43:46], v[24:25], off
	s_waitcnt vmcnt(0)
	v_fma_f64 v[24:25], v[27:28], v[43:44], v[51:52]
	v_fma_f64 v[25:26], -v[29:30], v[45:46], v[24:25]
	v_fma_f64 v[29:30], v[29:30], v[43:44], v[31:32]
	v_fma_f64 v[31:32], v[41:42], v[43:44], v[49:50]
	;; [unrolled: 1-line block ×5, first 2 shown]
	v_fma_f64 v[29:30], -v[41:42], v[45:46], v[29:30]
	s_cbranch_execnz .LBB287_10
	s_branch .LBB287_7
.LBB287_12:
                                        ; implicit-def: $vgpr16_vgpr17
                                        ; implicit-def: $vgpr18_vgpr19
                                        ; implicit-def: $vgpr12_vgpr13
                                        ; implicit-def: $vgpr14_vgpr15
	s_branch .LBB287_15
.LBB287_13:
	s_or_b64 exec, exec, s[8:9]
.LBB287_14:
	s_or_b64 exec, exec, s[6:7]
	s_cbranch_execnz .LBB287_24
.LBB287_15:
	v_mov_b32_e32 v16, 0
	v_mov_b32_e32 v18, 0
	;; [unrolled: 1-line block ×8, first 2 shown]
	s_and_saveexec_b64 s[6:7], s[0:1]
	s_cbranch_execz .LBB287_23
; %bb.16:
	v_mul_lo_u32 v11, v11, 26
	v_mul_lo_u32 v30, v10, 26
	s_mul_i32 s0, s2, 26
	v_mov_b32_e32 v16, 0
	v_mad_u32_u24 v11, v0, 26, v11
	v_mov_b32_e32 v18, 0
	v_mov_b32_e32 v12, 0
	;; [unrolled: 1-line block ×4, first 2 shown]
	v_subrev_u32_e32 v31, s0, v11
	s_mov_b64 s[0:1], 0
	v_mov_b32_e32 v32, s11
	v_mov_b32_e32 v21, 0
	v_mov_b32_e32 v34, s13
	v_mov_b32_e32 v19, 0
	v_mov_b32_e32 v13, 0
	v_mov_b32_e32 v15, 0
	v_mov_b32_e32 v35, s15
	s_branch .LBB287_18
.LBB287_17:                             ;   in Loop: Header=BB287_18 Depth=1
	v_add_u32_e32 v10, 64, v10
	v_cmp_ge_i32_e32 vcc, v10, v33
	v_add_u32_e32 v30, 0x680, v30
	s_or_b64 s[0:1], vcc, s[0:1]
	v_add_u32_e32 v31, 0x680, v31
	s_andn2_b64 exec, exec, s[0:1]
	s_cbranch_execz .LBB287_22
.LBB287_18:                             ; =>This Loop Header: Depth=1
                                        ;     Child Loop BB287_20 Depth 2
	v_ashrrev_i32_e32 v11, 31, v10
	v_lshlrev_b64 v[22:23], 2, v[10:11]
	v_mov_b32_e32 v27, v17
	v_add_co_u32_e32 v22, vcc, s10, v22
	v_addc_co_u32_e32 v23, vcc, v32, v23, vcc
	global_load_dword v11, v[22:23], off
	v_mov_b32_e32 v29, v19
	v_mov_b32_e32 v25, v13
	;; [unrolled: 1-line block ×3, first 2 shown]
	s_mov_b32 s3, 0
	v_mov_b32_e32 v26, v16
	v_mov_b32_e32 v28, v18
	;; [unrolled: 1-line block ×4, first 2 shown]
	s_waitcnt vmcnt(0)
	v_subrev_u32_e32 v11, s2, v11
	v_mul_lo_u32 v11, v11, 13
	s_branch .LBB287_20
.LBB287_19:                             ;   in Loop: Header=BB287_20 Depth=2
	s_andn2_b64 vcc, exec, s[8:9]
	s_cbranch_vccz .LBB287_17
.LBB287_20:                             ;   Parent Loop BB287_18 Depth=1
                                        ; =>  This Inner Loop Header: Depth=2
	v_add_u32_e32 v20, s3, v31
	v_lshlrev_b64 v[12:13], 4, v[20:21]
	v_add_u32_e32 v20, s3, v11
	v_add_co_u32_e32 v12, vcc, s12, v12
	v_lshlrev_b64 v[16:17], 4, v[20:21]
	v_addc_co_u32_e32 v13, vcc, v34, v13, vcc
	v_add_co_u32_e32 v16, vcc, s14, v16
	v_addc_co_u32_e32 v17, vcc, v35, v17, vcc
	v_add_u32_e32 v36, s3, v30
	global_load_dwordx4 v[37:40], v[16:17], off
	v_add_u32_e32 v16, 13, v36
	v_mov_b32_e32 v17, v21
	v_lshlrev_b64 v[16:17], 4, v[16:17]
	global_load_dwordx4 v[12:15], v[12:13], off
	v_add_co_u32_e32 v16, vcc, s12, v16
	v_addc_co_u32_e32 v17, vcc, v34, v17, vcc
	global_load_dwordx4 v[41:44], v[16:17], off
	s_cmp_eq_u32 s3, 12
	s_mov_b64 s[8:9], -1
	s_waitcnt vmcnt(1)
	v_fma_f64 v[16:17], v[12:13], v[37:38], v[28:29]
	v_fma_f64 v[26:27], v[14:15], v[37:38], v[26:27]
                                        ; implicit-def: $vgpr28_vgpr29
	s_waitcnt vmcnt(0)
	v_fma_f64 v[24:25], v[41:42], v[37:38], v[24:25]
	v_fma_f64 v[22:23], v[43:44], v[37:38], v[22:23]
	v_fma_f64 v[18:19], -v[14:15], v[39:40], v[16:17]
	v_fma_f64 v[16:17], v[12:13], v[39:40], v[26:27]
                                        ; implicit-def: $vgpr26_vgpr27
	v_fma_f64 v[12:13], -v[43:44], v[39:40], v[24:25]
	v_fma_f64 v[14:15], v[41:42], v[39:40], v[22:23]
                                        ; implicit-def: $vgpr22_vgpr23
                                        ; implicit-def: $vgpr24_vgpr25
	s_cbranch_scc1 .LBB287_19
; %bb.21:                               ;   in Loop: Header=BB287_20 Depth=2
	v_add_u32_e32 v22, 1, v36
	v_mov_b32_e32 v23, v21
	v_lshlrev_b64 v[22:23], 4, v[22:23]
	v_add_u32_e32 v26, 1, v20
	v_mov_b32_e32 v27, v21
	v_mov_b32_e32 v55, s13
	v_add_co_u32_e32 v22, vcc, s12, v22
	v_lshlrev_b64 v[26:27], 4, v[26:27]
	v_addc_co_u32_e32 v23, vcc, v55, v23, vcc
	v_mov_b32_e32 v56, s15
	v_add_co_u32_e32 v26, vcc, s14, v26
	v_addc_co_u32_e32 v27, vcc, v56, v27, vcc
	global_load_dwordx4 v[22:25], v[22:23], off
	v_add_u32_e32 v37, 14, v36
	global_load_dwordx4 v[26:29], v[26:27], off
	v_mov_b32_e32 v38, v21
	v_lshlrev_b64 v[37:38], 4, v[37:38]
	v_add_u32_e32 v43, 2, v36
	v_add_co_u32_e32 v41, vcc, s12, v37
	v_addc_co_u32_e32 v42, vcc, v55, v38, vcc
	global_load_dwordx4 v[37:40], v[41:42], off
	v_mov_b32_e32 v44, v21
	v_lshlrev_b64 v[43:44], 4, v[43:44]
	v_add_u32_e32 v45, 2, v20
	v_mov_b32_e32 v46, v21
	v_lshlrev_b64 v[45:46], 4, v[45:46]
	v_add_co_u32_e32 v43, vcc, s12, v43
	v_add_u32_e32 v20, 3, v20
	v_addc_co_u32_e32 v44, vcc, v55, v44, vcc
	v_add_co_u32_e32 v45, vcc, s14, v45
	v_addc_co_u32_e32 v46, vcc, v56, v46, vcc
	s_add_i32 s3, s3, 4
	s_mov_b64 s[8:9], 0
	s_waitcnt vmcnt(1)
	v_fma_f64 v[47:48], v[22:23], v[26:27], v[18:19]
	v_fma_f64 v[49:50], v[24:25], v[26:27], v[16:17]
	v_fma_f64 v[47:48], -v[24:25], v[28:29], v[47:48]
	s_waitcnt vmcnt(0)
	v_fma_f64 v[24:25], v[39:40], v[26:27], v[14:15]
	v_fma_f64 v[49:50], v[22:23], v[28:29], v[49:50]
	;; [unrolled: 1-line block ×4, first 2 shown]
	v_lshlrev_b64 v[37:38], 4, v[20:21]
	v_fma_f64 v[51:52], -v[39:40], v[28:29], v[22:23]
	global_load_dwordx4 v[22:25], v[43:44], off
	global_load_dwordx4 v[26:29], v[45:46], off
	v_add_co_u32_e32 v45, vcc, s14, v37
	v_addc_co_u32_e32 v46, vcc, v56, v38, vcc
	global_load_dwordx4 v[37:40], v[41:42], off offset:16
	v_add_u32_e32 v20, 16, v36
	s_waitcnt vmcnt(1)
	v_fma_f64 v[41:42], v[22:23], v[26:27], v[47:48]
	v_fma_f64 v[47:48], v[24:25], v[26:27], v[49:50]
	v_lshlrev_b64 v[49:50], 4, v[20:21]
	v_add_co_u32_e32 v49, vcc, s12, v49
	s_waitcnt vmcnt(0)
	v_fma_f64 v[51:52], v[37:38], v[26:27], v[51:52]
	v_fma_f64 v[26:27], v[39:40], v[26:27], v[53:54]
	v_addc_co_u32_e32 v50, vcc, v55, v50, vcc
	v_fma_f64 v[53:54], -v[24:25], v[28:29], v[41:42]
	v_fma_f64 v[47:48], v[22:23], v[28:29], v[47:48]
	global_load_dwordx4 v[22:25], v[43:44], off offset:16
	v_fma_f64 v[26:27], v[37:38], v[28:29], v[26:27]
	global_load_dwordx4 v[41:44], v[45:46], off
	v_fma_f64 v[45:46], -v[39:40], v[28:29], v[51:52]
	global_load_dwordx4 v[36:39], v[49:50], off
	s_waitcnt vmcnt(1)
	v_fma_f64 v[28:29], v[22:23], v[41:42], v[53:54]
	v_fma_f64 v[47:48], v[24:25], v[41:42], v[47:48]
	s_waitcnt vmcnt(0)
	v_fma_f64 v[45:46], v[36:37], v[41:42], v[45:46]
	v_fma_f64 v[40:41], v[38:39], v[41:42], v[26:27]
	v_fma_f64 v[28:29], -v[24:25], v[43:44], v[28:29]
	v_fma_f64 v[26:27], v[22:23], v[43:44], v[47:48]
	v_fma_f64 v[24:25], -v[38:39], v[43:44], v[45:46]
	v_fma_f64 v[22:23], v[36:37], v[43:44], v[40:41]
	s_branch .LBB287_19
.LBB287_22:
	s_or_b64 exec, exec, s[0:1]
.LBB287_23:
	s_or_b64 exec, exec, s[6:7]
.LBB287_24:
	v_mov_b32_dpp v10, v18 row_shr:1 row_mask:0xf bank_mask:0xf
	v_mov_b32_dpp v11, v19 row_shr:1 row_mask:0xf bank_mask:0xf
	v_add_f64 v[10:11], v[18:19], v[10:11]
	v_mov_b32_dpp v18, v16 row_shr:1 row_mask:0xf bank_mask:0xf
	v_mov_b32_dpp v19, v17 row_shr:1 row_mask:0xf bank_mask:0xf
	v_add_f64 v[16:17], v[16:17], v[18:19]
	;; [unrolled: 3-line block ×3, first 2 shown]
	v_cmp_eq_u32_e32 vcc, 63, v0
	v_mov_b32_dpp v18, v10 row_shr:2 row_mask:0xf bank_mask:0xf
	v_mov_b32_dpp v19, v11 row_shr:2 row_mask:0xf bank_mask:0xf
	v_add_f64 v[10:11], v[10:11], v[18:19]
	v_mov_b32_dpp v18, v12 row_shr:1 row_mask:0xf bank_mask:0xf
	v_mov_b32_dpp v19, v13 row_shr:1 row_mask:0xf bank_mask:0xf
	v_add_f64 v[12:13], v[12:13], v[18:19]
	v_mov_b32_dpp v18, v16 row_shr:2 row_mask:0xf bank_mask:0xf
	v_mov_b32_dpp v19, v10 row_shr:4 row_mask:0xf bank_mask:0xe
	v_mov_b32_dpp v20, v11 row_shr:4 row_mask:0xf bank_mask:0xe
	v_add_f64 v[10:11], v[10:11], v[19:20]
	v_mov_b32_dpp v19, v17 row_shr:2 row_mask:0xf bank_mask:0xf
	;; [unrolled: 4-line block ×3, first 2 shown]
	v_add_f64 v[12:13], v[12:13], v[20:21]
	v_mov_b32_dpp v19, v15 row_shr:2 row_mask:0xf bank_mask:0xf
	v_add_f64 v[14:15], v[14:15], v[18:19]
	v_mov_b32_dpp v20, v10 row_shr:8 row_mask:0xf bank_mask:0xc
	v_mov_b32_dpp v21, v11 row_shr:8 row_mask:0xf bank_mask:0xc
	v_add_f64 v[10:11], v[10:11], v[20:21]
	v_mov_b32_dpp v18, v16 row_shr:4 row_mask:0xf bank_mask:0xe
	v_mov_b32_dpp v19, v17 row_shr:4 row_mask:0xf bank_mask:0xe
	;; [unrolled: 1-line block ×3, first 2 shown]
	v_add_f64 v[16:17], v[16:17], v[18:19]
	v_mov_b32_dpp v21, v13 row_shr:4 row_mask:0xf bank_mask:0xe
	v_add_f64 v[12:13], v[12:13], v[20:21]
	v_mov_b32_dpp v19, v14 row_shr:4 row_mask:0xf bank_mask:0xe
	v_mov_b32_dpp v20, v15 row_shr:4 row_mask:0xf bank_mask:0xe
	v_add_f64 v[14:15], v[14:15], v[19:20]
	v_mov_b32_dpp v18, v10 row_bcast:15 row_mask:0xa bank_mask:0xf
	v_mov_b32_dpp v19, v11 row_bcast:15 row_mask:0xa bank_mask:0xf
	v_mov_b32_dpp v20, v16 row_shr:8 row_mask:0xf bank_mask:0xc
	v_mov_b32_dpp v21, v17 row_shr:8 row_mask:0xf bank_mask:0xc
	v_add_f64 v[16:17], v[16:17], v[20:21]
	v_mov_b32_dpp v20, v12 row_shr:8 row_mask:0xf bank_mask:0xc
	v_mov_b32_dpp v21, v13 row_shr:8 row_mask:0xf bank_mask:0xc
	v_add_f64 v[20:21], v[12:13], v[20:21]
	;; [unrolled: 3-line block ×3, first 2 shown]
	v_add_f64 v[10:11], v[10:11], v[18:19]
	v_mov_b32_dpp v12, v16 row_bcast:15 row_mask:0xa bank_mask:0xf
	v_mov_b32_dpp v13, v17 row_bcast:15 row_mask:0xa bank_mask:0xf
	v_add_f64 v[12:13], v[16:17], v[12:13]
	v_mov_b32_dpp v16, v20 row_bcast:15 row_mask:0xa bank_mask:0xf
	v_mov_b32_dpp v17, v21 row_bcast:15 row_mask:0xa bank_mask:0xf
	;; [unrolled: 3-line block ×4, first 2 shown]
	v_mov_b32_dpp v16, v12 row_bcast:31 row_mask:0xc bank_mask:0xf
	v_mov_b32_dpp v17, v13 row_bcast:31 row_mask:0xc bank_mask:0xf
	;; [unrolled: 1-line block ×6, first 2 shown]
	s_and_b64 exec, exec, vcc
	s_cbranch_execz .LBB287_29
; %bb.25:
	v_cmp_eq_f64_e32 vcc, 0, v[5:6]
	v_cmp_eq_f64_e64 s[0:1], 0, v[7:8]
	v_add_f64 v[10:11], v[10:11], v[24:25]
	v_add_f64 v[16:17], v[12:13], v[16:17]
	;; [unrolled: 1-line block ×4, first 2 shown]
	s_load_dwordx2 s[2:3], s[4:5], 0x48
	s_and_b64 s[0:1], vcc, s[0:1]
	s_and_saveexec_b64 s[4:5], s[0:1]
	s_xor_b64 s[0:1], exec, s[4:5]
	s_cbranch_execz .LBB287_27
; %bb.26:
	v_mul_f64 v[5:6], v[16:17], -v[3:4]
	v_mul_f64 v[7:8], v[1:2], v[16:17]
	v_mul_f64 v[16:17], v[14:15], -v[3:4]
	v_mul_f64 v[14:15], v[1:2], v[14:15]
	v_lshlrev_b32_e32 v9, 1, v9
	s_waitcnt lgkmcnt(0)
	v_mov_b32_e32 v18, s3
	v_fma_f64 v[5:6], v[1:2], v[10:11], v[5:6]
	v_fma_f64 v[7:8], v[3:4], v[10:11], v[7:8]
	;; [unrolled: 1-line block ×4, first 2 shown]
	v_ashrrev_i32_e32 v10, 31, v9
	v_lshlrev_b64 v[9:10], 4, v[9:10]
                                        ; implicit-def: $vgpr16_vgpr17
                                        ; implicit-def: $vgpr12_vgpr13
                                        ; implicit-def: $vgpr14_vgpr15
	v_add_co_u32_e32 v9, vcc, s2, v9
	v_addc_co_u32_e32 v10, vcc, v18, v10, vcc
	global_store_dwordx4 v[9:10], v[5:8], off
	global_store_dwordx4 v[9:10], v[0:3], off offset:16
                                        ; implicit-def: $vgpr9
                                        ; implicit-def: $vgpr10_vgpr11
                                        ; implicit-def: $vgpr7_vgpr8
                                        ; implicit-def: $vgpr3_vgpr4
.LBB287_27:
	s_andn2_saveexec_b64 s[0:1], s[0:1]
	s_cbranch_execz .LBB287_29
; %bb.28:
	v_lshlrev_b32_e32 v18, 1, v9
	v_ashrrev_i32_e32 v19, 31, v18
	v_lshlrev_b64 v[18:19], 4, v[18:19]
	s_waitcnt lgkmcnt(0)
	v_mov_b32_e32 v0, s3
	v_add_co_u32_e32 v26, vcc, s2, v18
	v_addc_co_u32_e32 v27, vcc, v0, v19, vcc
	global_load_dwordx4 v[18:21], v[26:27], off
	global_load_dwordx4 v[22:25], v[26:27], off offset:16
	v_mul_f64 v[28:29], v[16:17], -v[3:4]
	v_mul_f64 v[16:17], v[1:2], v[16:17]
	v_mul_f64 v[30:31], v[14:15], -v[3:4]
	v_mul_f64 v[14:15], v[1:2], v[14:15]
	v_fma_f64 v[28:29], v[1:2], v[10:11], v[28:29]
	v_fma_f64 v[9:10], v[3:4], v[10:11], v[16:17]
	;; [unrolled: 1-line block ×4, first 2 shown]
	s_waitcnt vmcnt(1)
	v_fma_f64 v[11:12], v[5:6], v[18:19], v[28:29]
	v_fma_f64 v[9:10], v[7:8], v[18:19], v[9:10]
	s_waitcnt vmcnt(0)
	v_fma_f64 v[13:14], v[5:6], v[22:23], v[0:1]
	v_fma_f64 v[15:16], v[7:8], v[22:23], v[2:3]
	v_fma_f64 v[0:1], -v[7:8], v[20:21], v[11:12]
	v_fma_f64 v[2:3], v[5:6], v[20:21], v[9:10]
	v_fma_f64 v[7:8], -v[7:8], v[24:25], v[13:14]
	v_fma_f64 v[9:10], v[5:6], v[24:25], v[15:16]
	global_store_dwordx4 v[26:27], v[0:3], off
	global_store_dwordx4 v[26:27], v[7:10], off offset:16
.LBB287_29:
	s_endpgm
	.section	.rodata,"a",@progbits
	.p2align	6, 0x0
	.amdhsa_kernel _ZN9rocsparseL19gebsrmvn_2xn_kernelILj128ELj13ELj64E21rocsparse_complex_numIdEEEvi20rocsparse_direction_NS_24const_host_device_scalarIT2_EEPKiS8_PKS5_SA_S6_PS5_21rocsparse_index_base_b
		.amdhsa_group_segment_fixed_size 0
		.amdhsa_private_segment_fixed_size 0
		.amdhsa_kernarg_size 88
		.amdhsa_user_sgpr_count 6
		.amdhsa_user_sgpr_private_segment_buffer 1
		.amdhsa_user_sgpr_dispatch_ptr 0
		.amdhsa_user_sgpr_queue_ptr 0
		.amdhsa_user_sgpr_kernarg_segment_ptr 1
		.amdhsa_user_sgpr_dispatch_id 0
		.amdhsa_user_sgpr_flat_scratch_init 0
		.amdhsa_user_sgpr_private_segment_size 0
		.amdhsa_uses_dynamic_stack 0
		.amdhsa_system_sgpr_private_segment_wavefront_offset 0
		.amdhsa_system_sgpr_workgroup_id_x 1
		.amdhsa_system_sgpr_workgroup_id_y 0
		.amdhsa_system_sgpr_workgroup_id_z 0
		.amdhsa_system_sgpr_workgroup_info 0
		.amdhsa_system_vgpr_workitem_id 0
		.amdhsa_next_free_vgpr 57
		.amdhsa_next_free_sgpr 16
		.amdhsa_reserve_vcc 1
		.amdhsa_reserve_flat_scratch 0
		.amdhsa_float_round_mode_32 0
		.amdhsa_float_round_mode_16_64 0
		.amdhsa_float_denorm_mode_32 3
		.amdhsa_float_denorm_mode_16_64 3
		.amdhsa_dx10_clamp 1
		.amdhsa_ieee_mode 1
		.amdhsa_fp16_overflow 0
		.amdhsa_exception_fp_ieee_invalid_op 0
		.amdhsa_exception_fp_denorm_src 0
		.amdhsa_exception_fp_ieee_div_zero 0
		.amdhsa_exception_fp_ieee_overflow 0
		.amdhsa_exception_fp_ieee_underflow 0
		.amdhsa_exception_fp_ieee_inexact 0
		.amdhsa_exception_int_div_zero 0
	.end_amdhsa_kernel
	.section	.text._ZN9rocsparseL19gebsrmvn_2xn_kernelILj128ELj13ELj64E21rocsparse_complex_numIdEEEvi20rocsparse_direction_NS_24const_host_device_scalarIT2_EEPKiS8_PKS5_SA_S6_PS5_21rocsparse_index_base_b,"axG",@progbits,_ZN9rocsparseL19gebsrmvn_2xn_kernelILj128ELj13ELj64E21rocsparse_complex_numIdEEEvi20rocsparse_direction_NS_24const_host_device_scalarIT2_EEPKiS8_PKS5_SA_S6_PS5_21rocsparse_index_base_b,comdat
.Lfunc_end287:
	.size	_ZN9rocsparseL19gebsrmvn_2xn_kernelILj128ELj13ELj64E21rocsparse_complex_numIdEEEvi20rocsparse_direction_NS_24const_host_device_scalarIT2_EEPKiS8_PKS5_SA_S6_PS5_21rocsparse_index_base_b, .Lfunc_end287-_ZN9rocsparseL19gebsrmvn_2xn_kernelILj128ELj13ELj64E21rocsparse_complex_numIdEEEvi20rocsparse_direction_NS_24const_host_device_scalarIT2_EEPKiS8_PKS5_SA_S6_PS5_21rocsparse_index_base_b
                                        ; -- End function
	.set _ZN9rocsparseL19gebsrmvn_2xn_kernelILj128ELj13ELj64E21rocsparse_complex_numIdEEEvi20rocsparse_direction_NS_24const_host_device_scalarIT2_EEPKiS8_PKS5_SA_S6_PS5_21rocsparse_index_base_b.num_vgpr, 57
	.set _ZN9rocsparseL19gebsrmvn_2xn_kernelILj128ELj13ELj64E21rocsparse_complex_numIdEEEvi20rocsparse_direction_NS_24const_host_device_scalarIT2_EEPKiS8_PKS5_SA_S6_PS5_21rocsparse_index_base_b.num_agpr, 0
	.set _ZN9rocsparseL19gebsrmvn_2xn_kernelILj128ELj13ELj64E21rocsparse_complex_numIdEEEvi20rocsparse_direction_NS_24const_host_device_scalarIT2_EEPKiS8_PKS5_SA_S6_PS5_21rocsparse_index_base_b.numbered_sgpr, 16
	.set _ZN9rocsparseL19gebsrmvn_2xn_kernelILj128ELj13ELj64E21rocsparse_complex_numIdEEEvi20rocsparse_direction_NS_24const_host_device_scalarIT2_EEPKiS8_PKS5_SA_S6_PS5_21rocsparse_index_base_b.num_named_barrier, 0
	.set _ZN9rocsparseL19gebsrmvn_2xn_kernelILj128ELj13ELj64E21rocsparse_complex_numIdEEEvi20rocsparse_direction_NS_24const_host_device_scalarIT2_EEPKiS8_PKS5_SA_S6_PS5_21rocsparse_index_base_b.private_seg_size, 0
	.set _ZN9rocsparseL19gebsrmvn_2xn_kernelILj128ELj13ELj64E21rocsparse_complex_numIdEEEvi20rocsparse_direction_NS_24const_host_device_scalarIT2_EEPKiS8_PKS5_SA_S6_PS5_21rocsparse_index_base_b.uses_vcc, 1
	.set _ZN9rocsparseL19gebsrmvn_2xn_kernelILj128ELj13ELj64E21rocsparse_complex_numIdEEEvi20rocsparse_direction_NS_24const_host_device_scalarIT2_EEPKiS8_PKS5_SA_S6_PS5_21rocsparse_index_base_b.uses_flat_scratch, 0
	.set _ZN9rocsparseL19gebsrmvn_2xn_kernelILj128ELj13ELj64E21rocsparse_complex_numIdEEEvi20rocsparse_direction_NS_24const_host_device_scalarIT2_EEPKiS8_PKS5_SA_S6_PS5_21rocsparse_index_base_b.has_dyn_sized_stack, 0
	.set _ZN9rocsparseL19gebsrmvn_2xn_kernelILj128ELj13ELj64E21rocsparse_complex_numIdEEEvi20rocsparse_direction_NS_24const_host_device_scalarIT2_EEPKiS8_PKS5_SA_S6_PS5_21rocsparse_index_base_b.has_recursion, 0
	.set _ZN9rocsparseL19gebsrmvn_2xn_kernelILj128ELj13ELj64E21rocsparse_complex_numIdEEEvi20rocsparse_direction_NS_24const_host_device_scalarIT2_EEPKiS8_PKS5_SA_S6_PS5_21rocsparse_index_base_b.has_indirect_call, 0
	.section	.AMDGPU.csdata,"",@progbits
; Kernel info:
; codeLenInByte = 2972
; TotalNumSgprs: 20
; NumVgprs: 57
; ScratchSize: 0
; MemoryBound: 0
; FloatMode: 240
; IeeeMode: 1
; LDSByteSize: 0 bytes/workgroup (compile time only)
; SGPRBlocks: 2
; VGPRBlocks: 14
; NumSGPRsForWavesPerEU: 20
; NumVGPRsForWavesPerEU: 57
; Occupancy: 4
; WaveLimiterHint : 1
; COMPUTE_PGM_RSRC2:SCRATCH_EN: 0
; COMPUTE_PGM_RSRC2:USER_SGPR: 6
; COMPUTE_PGM_RSRC2:TRAP_HANDLER: 0
; COMPUTE_PGM_RSRC2:TGID_X_EN: 1
; COMPUTE_PGM_RSRC2:TGID_Y_EN: 0
; COMPUTE_PGM_RSRC2:TGID_Z_EN: 0
; COMPUTE_PGM_RSRC2:TIDIG_COMP_CNT: 0
	.section	.text._ZN9rocsparseL19gebsrmvn_2xn_kernelILj128ELj14ELj4E21rocsparse_complex_numIdEEEvi20rocsparse_direction_NS_24const_host_device_scalarIT2_EEPKiS8_PKS5_SA_S6_PS5_21rocsparse_index_base_b,"axG",@progbits,_ZN9rocsparseL19gebsrmvn_2xn_kernelILj128ELj14ELj4E21rocsparse_complex_numIdEEEvi20rocsparse_direction_NS_24const_host_device_scalarIT2_EEPKiS8_PKS5_SA_S6_PS5_21rocsparse_index_base_b,comdat
	.globl	_ZN9rocsparseL19gebsrmvn_2xn_kernelILj128ELj14ELj4E21rocsparse_complex_numIdEEEvi20rocsparse_direction_NS_24const_host_device_scalarIT2_EEPKiS8_PKS5_SA_S6_PS5_21rocsparse_index_base_b ; -- Begin function _ZN9rocsparseL19gebsrmvn_2xn_kernelILj128ELj14ELj4E21rocsparse_complex_numIdEEEvi20rocsparse_direction_NS_24const_host_device_scalarIT2_EEPKiS8_PKS5_SA_S6_PS5_21rocsparse_index_base_b
	.p2align	8
	.type	_ZN9rocsparseL19gebsrmvn_2xn_kernelILj128ELj14ELj4E21rocsparse_complex_numIdEEEvi20rocsparse_direction_NS_24const_host_device_scalarIT2_EEPKiS8_PKS5_SA_S6_PS5_21rocsparse_index_base_b,@function
_ZN9rocsparseL19gebsrmvn_2xn_kernelILj128ELj14ELj4E21rocsparse_complex_numIdEEEvi20rocsparse_direction_NS_24const_host_device_scalarIT2_EEPKiS8_PKS5_SA_S6_PS5_21rocsparse_index_base_b: ; @_ZN9rocsparseL19gebsrmvn_2xn_kernelILj128ELj14ELj4E21rocsparse_complex_numIdEEEvi20rocsparse_direction_NS_24const_host_device_scalarIT2_EEPKiS8_PKS5_SA_S6_PS5_21rocsparse_index_base_b
; %bb.0:
	s_load_dwordx2 s[0:1], s[4:5], 0x8
	s_load_dwordx2 s[8:9], s[4:5], 0x38
	;; [unrolled: 1-line block ×3, first 2 shown]
	s_add_u32 s7, s4, 8
	s_addc_u32 s10, s5, 0
	s_add_u32 s11, s4, 56
	s_addc_u32 s12, s5, 0
	s_waitcnt lgkmcnt(0)
	s_bitcmp1_b32 s3, 0
	s_cselect_b32 s1, s10, s1
	s_cselect_b32 s0, s7, s0
	v_mov_b32_e32 v1, s0
	v_mov_b32_e32 v2, s1
	flat_load_dwordx4 v[1:4], v[1:2]
	s_cselect_b32 s0, s12, s9
	s_cselect_b32 s1, s11, s8
	v_mov_b32_e32 v5, s1
	v_mov_b32_e32 v6, s0
	flat_load_dwordx4 v[5:8], v[5:6]
	s_waitcnt vmcnt(0) lgkmcnt(0)
	v_cmp_eq_f64_e32 vcc, 0, v[1:2]
	v_cmp_eq_f64_e64 s[0:1], 0, v[3:4]
	s_and_b64 s[10:11], vcc, s[0:1]
	s_mov_b64 s[0:1], -1
	s_and_saveexec_b64 s[8:9], s[10:11]
	s_cbranch_execz .LBB288_2
; %bb.1:
	v_cmp_neq_f64_e32 vcc, 1.0, v[5:6]
	v_cmp_neq_f64_e64 s[0:1], 0, v[7:8]
	s_or_b64 s[0:1], vcc, s[0:1]
	s_orn2_b64 s[0:1], s[0:1], exec
.LBB288_2:
	s_or_b64 exec, exec, s[8:9]
	s_and_saveexec_b64 s[8:9], s[0:1]
	s_cbranch_execz .LBB288_25
; %bb.3:
	s_load_dwordx2 s[0:1], s[4:5], 0x0
	v_lshrrev_b32_e32 v9, 2, v0
	v_lshl_or_b32 v9, s6, 5, v9
	s_waitcnt lgkmcnt(0)
	v_cmp_gt_i32_e32 vcc, s0, v9
	s_and_b64 exec, exec, vcc
	s_cbranch_execz .LBB288_25
; %bb.4:
	s_load_dwordx8 s[8:15], s[4:5], 0x18
	v_ashrrev_i32_e32 v10, 31, v9
	v_lshlrev_b64 v[10:11], 2, v[9:10]
	v_and_b32_e32 v0, 3, v0
	s_cmp_lg_u32 s1, 0
	s_waitcnt lgkmcnt(0)
	v_mov_b32_e32 v12, s9
	v_add_co_u32_e32 v10, vcc, s8, v10
	v_addc_co_u32_e32 v11, vcc, v12, v11, vcc
	global_load_dwordx2 v[11:12], v[10:11], off
	s_waitcnt vmcnt(0)
	v_subrev_u32_e32 v10, s2, v11
	v_subrev_u32_e32 v24, s2, v12
	v_add_u32_e32 v10, v10, v0
	v_cmp_lt_i32_e64 s[0:1], v10, v24
	s_cbranch_scc0 .LBB288_12
; %bb.5:
	v_mov_b32_e32 v12, 0
	v_mov_b32_e32 v18, 0
	;; [unrolled: 1-line block ×8, first 2 shown]
	s_and_saveexec_b64 s[6:7], s[0:1]
	s_cbranch_execz .LBB288_11
; %bb.6:
	v_mul_lo_u32 v25, v10, 28
	v_mov_b32_e32 v12, 0
	v_mov_b32_e32 v18, 0
	;; [unrolled: 1-line block ×5, first 2 shown]
	s_mov_b64 s[8:9], 0
	v_mov_b32_e32 v26, s11
	v_mov_b32_e32 v21, 0
	;; [unrolled: 1-line block ×8, first 2 shown]
.LBB288_7:                              ; =>This Loop Header: Depth=1
                                        ;     Child Loop BB288_8 Depth 2
	v_ashrrev_i32_e32 v23, 31, v22
	v_lshlrev_b64 v[29:30], 2, v[22:23]
	s_mov_b32 s3, 0
	v_add_co_u32_e32 v29, vcc, s10, v29
	v_addc_co_u32_e32 v30, vcc, v26, v30, vcc
	global_load_dword v20, v[29:30], off
	s_waitcnt vmcnt(0)
	v_subrev_u32_e32 v20, s2, v20
	v_mul_lo_u32 v23, v20, 14
	v_mov_b32_e32 v20, v25
.LBB288_8:                              ;   Parent Loop BB288_7 Depth=1
                                        ; =>  This Inner Loop Header: Depth=2
	v_lshlrev_b64 v[29:30], 4, v[20:21]
	v_add_u32_e32 v31, s3, v23
	v_mov_b32_e32 v32, v21
	v_lshlrev_b64 v[36:37], 4, v[31:32]
	v_add_co_u32_e32 v53, vcc, s12, v29
	v_addc_co_u32_e32 v54, vcc, v27, v30, vcc
	v_add_co_u32_e32 v55, vcc, s14, v36
	global_load_dwordx4 v[29:32], v[53:54], off offset:16
	global_load_dwordx4 v[33:36], v[53:54], off
	v_addc_co_u32_e32 v56, vcc, v28, v37, vcc
	global_load_dwordx4 v[37:40], v[55:56], off
	global_load_dwordx4 v[41:44], v[53:54], off offset:32
	global_load_dwordx4 v[45:48], v[53:54], off offset:48
	;; [unrolled: 1-line block ×3, first 2 shown]
	s_add_i32 s3, s3, 2
	s_cmp_eq_u32 s3, 14
	v_add_u32_e32 v20, 4, v20
	s_waitcnt vmcnt(3)
	v_fma_f64 v[16:17], v[29:30], v[37:38], v[16:17]
	v_fma_f64 v[18:19], v[33:34], v[37:38], v[18:19]
	;; [unrolled: 1-line block ×4, first 2 shown]
	v_fma_f64 v[16:17], -v[31:32], v[39:40], v[16:17]
	v_fma_f64 v[18:19], -v[35:36], v[39:40], v[18:19]
	v_fma_f64 v[12:13], v[33:34], v[39:40], v[12:13]
	v_fma_f64 v[14:15], v[29:30], v[39:40], v[14:15]
	s_waitcnt vmcnt(0)
	v_fma_f64 v[16:17], v[45:46], v[49:50], v[16:17]
	v_fma_f64 v[18:19], v[41:42], v[49:50], v[18:19]
	;; [unrolled: 1-line block ×4, first 2 shown]
	v_fma_f64 v[16:17], -v[47:48], v[51:52], v[16:17]
	v_fma_f64 v[18:19], -v[43:44], v[51:52], v[18:19]
	v_fma_f64 v[12:13], v[41:42], v[51:52], v[12:13]
	v_fma_f64 v[14:15], v[45:46], v[51:52], v[14:15]
	s_cbranch_scc0 .LBB288_8
; %bb.9:                                ;   in Loop: Header=BB288_7 Depth=1
	v_add_u32_e32 v22, 4, v22
	v_cmp_ge_i32_e32 vcc, v22, v24
	s_or_b64 s[8:9], vcc, s[8:9]
	v_add_u32_e32 v25, 0x70, v25
	s_andn2_b64 exec, exec, s[8:9]
	s_cbranch_execnz .LBB288_7
; %bb.10:
	s_or_b64 exec, exec, s[8:9]
.LBB288_11:
	s_or_b64 exec, exec, s[6:7]
	s_cbranch_execz .LBB288_13
	s_branch .LBB288_20
.LBB288_12:
                                        ; implicit-def: $vgpr12_vgpr13
                                        ; implicit-def: $vgpr18_vgpr19
                                        ; implicit-def: $vgpr16_vgpr17
                                        ; implicit-def: $vgpr14_vgpr15
.LBB288_13:
	v_mov_b32_e32 v12, 0
	v_mov_b32_e32 v18, 0
	;; [unrolled: 1-line block ×8, first 2 shown]
	s_and_saveexec_b64 s[6:7], s[0:1]
	s_cbranch_execz .LBB288_19
; %bb.14:
	v_mul_lo_u32 v11, v11, 28
	v_mul_lo_u32 v22, v10, 28
	s_mul_i32 s0, s2, 28
	v_mov_b32_e32 v12, 0
	v_mad_u32_u24 v11, v0, 28, v11
	v_mov_b32_e32 v18, 0
	v_mov_b32_e32 v16, 0
	;; [unrolled: 1-line block ×4, first 2 shown]
	v_subrev_u32_e32 v23, s0, v11
	s_mov_b64 s[0:1], 0
	v_mov_b32_e32 v25, s11
	v_mov_b32_e32 v21, 0
	;; [unrolled: 1-line block ×7, first 2 shown]
.LBB288_15:                             ; =>This Loop Header: Depth=1
                                        ;     Child Loop BB288_16 Depth 2
	v_ashrrev_i32_e32 v11, 31, v10
	v_lshlrev_b64 v[28:29], 2, v[10:11]
	s_mov_b32 s3, 0
	v_add_co_u32_e32 v28, vcc, s10, v28
	v_addc_co_u32_e32 v29, vcc, v25, v29, vcc
	global_load_dword v11, v[28:29], off
	s_waitcnt vmcnt(0)
	v_subrev_u32_e32 v11, s2, v11
	v_mul_lo_u32 v11, v11, 14
.LBB288_16:                             ;   Parent Loop BB288_15 Depth=1
                                        ; =>  This Inner Loop Header: Depth=2
	v_add_u32_e32 v20, s3, v23
	v_lshlrev_b64 v[28:29], 4, v[20:21]
	v_add_u32_e32 v20, s3, v11
	v_lshlrev_b64 v[32:33], 4, v[20:21]
	v_add_co_u32_e32 v52, vcc, s12, v28
	v_addc_co_u32_e32 v53, vcc, v26, v29, vcc
	v_add3_u32 v20, v22, s3, 14
	v_add_co_u32_e32 v54, vcc, s14, v32
	v_lshlrev_b64 v[36:37], 4, v[20:21]
	v_addc_co_u32_e32 v55, vcc, v27, v33, vcc
	global_load_dwordx4 v[28:31], v[52:53], off
	global_load_dwordx4 v[32:35], v[54:55], off
	v_add_co_u32_e32 v56, vcc, s12, v36
	v_addc_co_u32_e32 v57, vcc, v26, v37, vcc
	global_load_dwordx4 v[36:39], v[56:57], off
	global_load_dwordx4 v[40:43], v[52:53], off offset:16
	global_load_dwordx4 v[44:47], v[54:55], off offset:16
	;; [unrolled: 1-line block ×3, first 2 shown]
	s_add_i32 s3, s3, 2
	s_cmp_eq_u32 s3, 14
	s_waitcnt vmcnt(4)
	v_fma_f64 v[18:19], v[28:29], v[32:33], v[18:19]
	v_fma_f64 v[12:13], v[30:31], v[32:33], v[12:13]
	s_waitcnt vmcnt(3)
	v_fma_f64 v[16:17], v[36:37], v[32:33], v[16:17]
	v_fma_f64 v[14:15], v[38:39], v[32:33], v[14:15]
	v_fma_f64 v[18:19], -v[30:31], v[34:35], v[18:19]
	v_fma_f64 v[12:13], v[28:29], v[34:35], v[12:13]
	v_fma_f64 v[16:17], -v[38:39], v[34:35], v[16:17]
	v_fma_f64 v[14:15], v[36:37], v[34:35], v[14:15]
	s_waitcnt vmcnt(1)
	v_fma_f64 v[18:19], v[40:41], v[44:45], v[18:19]
	v_fma_f64 v[12:13], v[42:43], v[44:45], v[12:13]
	s_waitcnt vmcnt(0)
	v_fma_f64 v[16:17], v[48:49], v[44:45], v[16:17]
	v_fma_f64 v[14:15], v[50:51], v[44:45], v[14:15]
	v_fma_f64 v[18:19], -v[42:43], v[46:47], v[18:19]
	v_fma_f64 v[12:13], v[40:41], v[46:47], v[12:13]
	v_fma_f64 v[16:17], -v[50:51], v[46:47], v[16:17]
	v_fma_f64 v[14:15], v[48:49], v[46:47], v[14:15]
	s_cbranch_scc0 .LBB288_16
; %bb.17:                               ;   in Loop: Header=BB288_15 Depth=1
	v_add_u32_e32 v10, 4, v10
	v_cmp_ge_i32_e32 vcc, v10, v24
	v_add_u32_e32 v22, 0x70, v22
	s_or_b64 s[0:1], vcc, s[0:1]
	v_add_u32_e32 v23, 0x70, v23
	s_andn2_b64 exec, exec, s[0:1]
	s_cbranch_execnz .LBB288_15
; %bb.18:
	s_or_b64 exec, exec, s[0:1]
.LBB288_19:
	s_or_b64 exec, exec, s[6:7]
.LBB288_20:
	v_mov_b32_dpp v10, v18 row_shr:1 row_mask:0xf bank_mask:0xf
	v_mov_b32_dpp v11, v19 row_shr:1 row_mask:0xf bank_mask:0xf
	v_add_f64 v[10:11], v[18:19], v[10:11]
	v_mov_b32_dpp v18, v12 row_shr:1 row_mask:0xf bank_mask:0xf
	v_mov_b32_dpp v19, v13 row_shr:1 row_mask:0xf bank_mask:0xf
	v_add_f64 v[12:13], v[12:13], v[18:19]
	;; [unrolled: 3-line block ×4, first 2 shown]
	v_mov_b32_dpp v24, v10 row_shr:2 row_mask:0xf bank_mask:0xf
	v_mov_b32_dpp v25, v11 row_shr:2 row_mask:0xf bank_mask:0xf
	;; [unrolled: 1-line block ×6, first 2 shown]
	v_cmp_eq_u32_e32 vcc, 3, v0
	v_mov_b32_dpp v20, v14 row_shr:2 row_mask:0xf bank_mask:0xf
	v_mov_b32_dpp v21, v15 row_shr:2 row_mask:0xf bank_mask:0xf
	s_and_b64 exec, exec, vcc
	s_cbranch_execz .LBB288_25
; %bb.21:
	v_cmp_eq_f64_e32 vcc, 0, v[5:6]
	v_cmp_eq_f64_e64 s[0:1], 0, v[7:8]
	v_add_f64 v[10:11], v[10:11], v[24:25]
	v_add_f64 v[16:17], v[12:13], v[16:17]
	;; [unrolled: 1-line block ×4, first 2 shown]
	s_load_dwordx2 s[2:3], s[4:5], 0x48
	s_and_b64 s[0:1], vcc, s[0:1]
	s_and_saveexec_b64 s[4:5], s[0:1]
	s_xor_b64 s[0:1], exec, s[4:5]
	s_cbranch_execz .LBB288_23
; %bb.22:
	v_mul_f64 v[5:6], v[16:17], -v[3:4]
	v_mul_f64 v[7:8], v[1:2], v[16:17]
	v_mul_f64 v[16:17], v[14:15], -v[3:4]
	v_mul_f64 v[14:15], v[1:2], v[14:15]
	v_lshlrev_b32_e32 v9, 1, v9
	s_waitcnt lgkmcnt(0)
	v_mov_b32_e32 v18, s3
	v_fma_f64 v[5:6], v[1:2], v[10:11], v[5:6]
	v_fma_f64 v[7:8], v[3:4], v[10:11], v[7:8]
	;; [unrolled: 1-line block ×4, first 2 shown]
	v_ashrrev_i32_e32 v10, 31, v9
	v_lshlrev_b64 v[9:10], 4, v[9:10]
                                        ; implicit-def: $vgpr16_vgpr17
                                        ; implicit-def: $vgpr12_vgpr13
                                        ; implicit-def: $vgpr14_vgpr15
	v_add_co_u32_e32 v9, vcc, s2, v9
	v_addc_co_u32_e32 v10, vcc, v18, v10, vcc
	global_store_dwordx4 v[9:10], v[5:8], off
	global_store_dwordx4 v[9:10], v[0:3], off offset:16
                                        ; implicit-def: $vgpr9
                                        ; implicit-def: $vgpr10_vgpr11
                                        ; implicit-def: $vgpr7_vgpr8
                                        ; implicit-def: $vgpr3_vgpr4
.LBB288_23:
	s_andn2_saveexec_b64 s[0:1], s[0:1]
	s_cbranch_execz .LBB288_25
; %bb.24:
	v_lshlrev_b32_e32 v18, 1, v9
	v_ashrrev_i32_e32 v19, 31, v18
	v_lshlrev_b64 v[18:19], 4, v[18:19]
	s_waitcnt lgkmcnt(0)
	v_mov_b32_e32 v0, s3
	v_add_co_u32_e32 v26, vcc, s2, v18
	v_addc_co_u32_e32 v27, vcc, v0, v19, vcc
	global_load_dwordx4 v[18:21], v[26:27], off
	global_load_dwordx4 v[22:25], v[26:27], off offset:16
	v_mul_f64 v[28:29], v[16:17], -v[3:4]
	v_mul_f64 v[16:17], v[1:2], v[16:17]
	v_mul_f64 v[30:31], v[14:15], -v[3:4]
	v_mul_f64 v[14:15], v[1:2], v[14:15]
	v_fma_f64 v[28:29], v[1:2], v[10:11], v[28:29]
	v_fma_f64 v[9:10], v[3:4], v[10:11], v[16:17]
	;; [unrolled: 1-line block ×4, first 2 shown]
	s_waitcnt vmcnt(1)
	v_fma_f64 v[11:12], v[5:6], v[18:19], v[28:29]
	v_fma_f64 v[9:10], v[7:8], v[18:19], v[9:10]
	s_waitcnt vmcnt(0)
	v_fma_f64 v[13:14], v[5:6], v[22:23], v[0:1]
	v_fma_f64 v[15:16], v[7:8], v[22:23], v[2:3]
	v_fma_f64 v[0:1], -v[7:8], v[20:21], v[11:12]
	v_fma_f64 v[2:3], v[5:6], v[20:21], v[9:10]
	v_fma_f64 v[7:8], -v[7:8], v[24:25], v[13:14]
	v_fma_f64 v[9:10], v[5:6], v[24:25], v[15:16]
	global_store_dwordx4 v[26:27], v[0:3], off
	global_store_dwordx4 v[26:27], v[7:10], off offset:16
.LBB288_25:
	s_endpgm
	.section	.rodata,"a",@progbits
	.p2align	6, 0x0
	.amdhsa_kernel _ZN9rocsparseL19gebsrmvn_2xn_kernelILj128ELj14ELj4E21rocsparse_complex_numIdEEEvi20rocsparse_direction_NS_24const_host_device_scalarIT2_EEPKiS8_PKS5_SA_S6_PS5_21rocsparse_index_base_b
		.amdhsa_group_segment_fixed_size 0
		.amdhsa_private_segment_fixed_size 0
		.amdhsa_kernarg_size 88
		.amdhsa_user_sgpr_count 6
		.amdhsa_user_sgpr_private_segment_buffer 1
		.amdhsa_user_sgpr_dispatch_ptr 0
		.amdhsa_user_sgpr_queue_ptr 0
		.amdhsa_user_sgpr_kernarg_segment_ptr 1
		.amdhsa_user_sgpr_dispatch_id 0
		.amdhsa_user_sgpr_flat_scratch_init 0
		.amdhsa_user_sgpr_private_segment_size 0
		.amdhsa_uses_dynamic_stack 0
		.amdhsa_system_sgpr_private_segment_wavefront_offset 0
		.amdhsa_system_sgpr_workgroup_id_x 1
		.amdhsa_system_sgpr_workgroup_id_y 0
		.amdhsa_system_sgpr_workgroup_id_z 0
		.amdhsa_system_sgpr_workgroup_info 0
		.amdhsa_system_vgpr_workitem_id 0
		.amdhsa_next_free_vgpr 58
		.amdhsa_next_free_sgpr 16
		.amdhsa_reserve_vcc 1
		.amdhsa_reserve_flat_scratch 0
		.amdhsa_float_round_mode_32 0
		.amdhsa_float_round_mode_16_64 0
		.amdhsa_float_denorm_mode_32 3
		.amdhsa_float_denorm_mode_16_64 3
		.amdhsa_dx10_clamp 1
		.amdhsa_ieee_mode 1
		.amdhsa_fp16_overflow 0
		.amdhsa_exception_fp_ieee_invalid_op 0
		.amdhsa_exception_fp_denorm_src 0
		.amdhsa_exception_fp_ieee_div_zero 0
		.amdhsa_exception_fp_ieee_overflow 0
		.amdhsa_exception_fp_ieee_underflow 0
		.amdhsa_exception_fp_ieee_inexact 0
		.amdhsa_exception_int_div_zero 0
	.end_amdhsa_kernel
	.section	.text._ZN9rocsparseL19gebsrmvn_2xn_kernelILj128ELj14ELj4E21rocsparse_complex_numIdEEEvi20rocsparse_direction_NS_24const_host_device_scalarIT2_EEPKiS8_PKS5_SA_S6_PS5_21rocsparse_index_base_b,"axG",@progbits,_ZN9rocsparseL19gebsrmvn_2xn_kernelILj128ELj14ELj4E21rocsparse_complex_numIdEEEvi20rocsparse_direction_NS_24const_host_device_scalarIT2_EEPKiS8_PKS5_SA_S6_PS5_21rocsparse_index_base_b,comdat
.Lfunc_end288:
	.size	_ZN9rocsparseL19gebsrmvn_2xn_kernelILj128ELj14ELj4E21rocsparse_complex_numIdEEEvi20rocsparse_direction_NS_24const_host_device_scalarIT2_EEPKiS8_PKS5_SA_S6_PS5_21rocsparse_index_base_b, .Lfunc_end288-_ZN9rocsparseL19gebsrmvn_2xn_kernelILj128ELj14ELj4E21rocsparse_complex_numIdEEEvi20rocsparse_direction_NS_24const_host_device_scalarIT2_EEPKiS8_PKS5_SA_S6_PS5_21rocsparse_index_base_b
                                        ; -- End function
	.set _ZN9rocsparseL19gebsrmvn_2xn_kernelILj128ELj14ELj4E21rocsparse_complex_numIdEEEvi20rocsparse_direction_NS_24const_host_device_scalarIT2_EEPKiS8_PKS5_SA_S6_PS5_21rocsparse_index_base_b.num_vgpr, 58
	.set _ZN9rocsparseL19gebsrmvn_2xn_kernelILj128ELj14ELj4E21rocsparse_complex_numIdEEEvi20rocsparse_direction_NS_24const_host_device_scalarIT2_EEPKiS8_PKS5_SA_S6_PS5_21rocsparse_index_base_b.num_agpr, 0
	.set _ZN9rocsparseL19gebsrmvn_2xn_kernelILj128ELj14ELj4E21rocsparse_complex_numIdEEEvi20rocsparse_direction_NS_24const_host_device_scalarIT2_EEPKiS8_PKS5_SA_S6_PS5_21rocsparse_index_base_b.numbered_sgpr, 16
	.set _ZN9rocsparseL19gebsrmvn_2xn_kernelILj128ELj14ELj4E21rocsparse_complex_numIdEEEvi20rocsparse_direction_NS_24const_host_device_scalarIT2_EEPKiS8_PKS5_SA_S6_PS5_21rocsparse_index_base_b.num_named_barrier, 0
	.set _ZN9rocsparseL19gebsrmvn_2xn_kernelILj128ELj14ELj4E21rocsparse_complex_numIdEEEvi20rocsparse_direction_NS_24const_host_device_scalarIT2_EEPKiS8_PKS5_SA_S6_PS5_21rocsparse_index_base_b.private_seg_size, 0
	.set _ZN9rocsparseL19gebsrmvn_2xn_kernelILj128ELj14ELj4E21rocsparse_complex_numIdEEEvi20rocsparse_direction_NS_24const_host_device_scalarIT2_EEPKiS8_PKS5_SA_S6_PS5_21rocsparse_index_base_b.uses_vcc, 1
	.set _ZN9rocsparseL19gebsrmvn_2xn_kernelILj128ELj14ELj4E21rocsparse_complex_numIdEEEvi20rocsparse_direction_NS_24const_host_device_scalarIT2_EEPKiS8_PKS5_SA_S6_PS5_21rocsparse_index_base_b.uses_flat_scratch, 0
	.set _ZN9rocsparseL19gebsrmvn_2xn_kernelILj128ELj14ELj4E21rocsparse_complex_numIdEEEvi20rocsparse_direction_NS_24const_host_device_scalarIT2_EEPKiS8_PKS5_SA_S6_PS5_21rocsparse_index_base_b.has_dyn_sized_stack, 0
	.set _ZN9rocsparseL19gebsrmvn_2xn_kernelILj128ELj14ELj4E21rocsparse_complex_numIdEEEvi20rocsparse_direction_NS_24const_host_device_scalarIT2_EEPKiS8_PKS5_SA_S6_PS5_21rocsparse_index_base_b.has_recursion, 0
	.set _ZN9rocsparseL19gebsrmvn_2xn_kernelILj128ELj14ELj4E21rocsparse_complex_numIdEEEvi20rocsparse_direction_NS_24const_host_device_scalarIT2_EEPKiS8_PKS5_SA_S6_PS5_21rocsparse_index_base_b.has_indirect_call, 0
	.section	.AMDGPU.csdata,"",@progbits
; Kernel info:
; codeLenInByte = 1764
; TotalNumSgprs: 20
; NumVgprs: 58
; ScratchSize: 0
; MemoryBound: 0
; FloatMode: 240
; IeeeMode: 1
; LDSByteSize: 0 bytes/workgroup (compile time only)
; SGPRBlocks: 2
; VGPRBlocks: 14
; NumSGPRsForWavesPerEU: 20
; NumVGPRsForWavesPerEU: 58
; Occupancy: 4
; WaveLimiterHint : 1
; COMPUTE_PGM_RSRC2:SCRATCH_EN: 0
; COMPUTE_PGM_RSRC2:USER_SGPR: 6
; COMPUTE_PGM_RSRC2:TRAP_HANDLER: 0
; COMPUTE_PGM_RSRC2:TGID_X_EN: 1
; COMPUTE_PGM_RSRC2:TGID_Y_EN: 0
; COMPUTE_PGM_RSRC2:TGID_Z_EN: 0
; COMPUTE_PGM_RSRC2:TIDIG_COMP_CNT: 0
	.section	.text._ZN9rocsparseL19gebsrmvn_2xn_kernelILj128ELj14ELj8E21rocsparse_complex_numIdEEEvi20rocsparse_direction_NS_24const_host_device_scalarIT2_EEPKiS8_PKS5_SA_S6_PS5_21rocsparse_index_base_b,"axG",@progbits,_ZN9rocsparseL19gebsrmvn_2xn_kernelILj128ELj14ELj8E21rocsparse_complex_numIdEEEvi20rocsparse_direction_NS_24const_host_device_scalarIT2_EEPKiS8_PKS5_SA_S6_PS5_21rocsparse_index_base_b,comdat
	.globl	_ZN9rocsparseL19gebsrmvn_2xn_kernelILj128ELj14ELj8E21rocsparse_complex_numIdEEEvi20rocsparse_direction_NS_24const_host_device_scalarIT2_EEPKiS8_PKS5_SA_S6_PS5_21rocsparse_index_base_b ; -- Begin function _ZN9rocsparseL19gebsrmvn_2xn_kernelILj128ELj14ELj8E21rocsparse_complex_numIdEEEvi20rocsparse_direction_NS_24const_host_device_scalarIT2_EEPKiS8_PKS5_SA_S6_PS5_21rocsparse_index_base_b
	.p2align	8
	.type	_ZN9rocsparseL19gebsrmvn_2xn_kernelILj128ELj14ELj8E21rocsparse_complex_numIdEEEvi20rocsparse_direction_NS_24const_host_device_scalarIT2_EEPKiS8_PKS5_SA_S6_PS5_21rocsparse_index_base_b,@function
_ZN9rocsparseL19gebsrmvn_2xn_kernelILj128ELj14ELj8E21rocsparse_complex_numIdEEEvi20rocsparse_direction_NS_24const_host_device_scalarIT2_EEPKiS8_PKS5_SA_S6_PS5_21rocsparse_index_base_b: ; @_ZN9rocsparseL19gebsrmvn_2xn_kernelILj128ELj14ELj8E21rocsparse_complex_numIdEEEvi20rocsparse_direction_NS_24const_host_device_scalarIT2_EEPKiS8_PKS5_SA_S6_PS5_21rocsparse_index_base_b
; %bb.0:
	s_load_dwordx2 s[0:1], s[4:5], 0x8
	s_load_dwordx2 s[8:9], s[4:5], 0x38
	;; [unrolled: 1-line block ×3, first 2 shown]
	s_add_u32 s7, s4, 8
	s_addc_u32 s10, s5, 0
	s_add_u32 s11, s4, 56
	s_addc_u32 s12, s5, 0
	s_waitcnt lgkmcnt(0)
	s_bitcmp1_b32 s3, 0
	s_cselect_b32 s1, s10, s1
	s_cselect_b32 s0, s7, s0
	v_mov_b32_e32 v1, s0
	v_mov_b32_e32 v2, s1
	flat_load_dwordx4 v[1:4], v[1:2]
	s_cselect_b32 s0, s12, s9
	s_cselect_b32 s1, s11, s8
	v_mov_b32_e32 v5, s1
	v_mov_b32_e32 v6, s0
	flat_load_dwordx4 v[5:8], v[5:6]
	s_waitcnt vmcnt(0) lgkmcnt(0)
	v_cmp_eq_f64_e32 vcc, 0, v[1:2]
	v_cmp_eq_f64_e64 s[0:1], 0, v[3:4]
	s_and_b64 s[10:11], vcc, s[0:1]
	s_mov_b64 s[0:1], -1
	s_and_saveexec_b64 s[8:9], s[10:11]
	s_cbranch_execz .LBB289_2
; %bb.1:
	v_cmp_neq_f64_e32 vcc, 1.0, v[5:6]
	v_cmp_neq_f64_e64 s[0:1], 0, v[7:8]
	s_or_b64 s[0:1], vcc, s[0:1]
	s_orn2_b64 s[0:1], s[0:1], exec
.LBB289_2:
	s_or_b64 exec, exec, s[8:9]
	s_and_saveexec_b64 s[8:9], s[0:1]
	s_cbranch_execz .LBB289_25
; %bb.3:
	s_load_dwordx2 s[0:1], s[4:5], 0x0
	v_lshrrev_b32_e32 v9, 3, v0
	v_lshl_or_b32 v9, s6, 4, v9
	s_waitcnt lgkmcnt(0)
	v_cmp_gt_i32_e32 vcc, s0, v9
	s_and_b64 exec, exec, vcc
	s_cbranch_execz .LBB289_25
; %bb.4:
	s_load_dwordx8 s[8:15], s[4:5], 0x18
	v_ashrrev_i32_e32 v10, 31, v9
	v_lshlrev_b64 v[10:11], 2, v[9:10]
	v_and_b32_e32 v0, 7, v0
	s_cmp_lg_u32 s1, 0
	s_waitcnt lgkmcnt(0)
	v_mov_b32_e32 v12, s9
	v_add_co_u32_e32 v10, vcc, s8, v10
	v_addc_co_u32_e32 v11, vcc, v12, v11, vcc
	global_load_dwordx2 v[11:12], v[10:11], off
	s_waitcnt vmcnt(0)
	v_subrev_u32_e32 v10, s2, v11
	v_subrev_u32_e32 v24, s2, v12
	v_add_u32_e32 v10, v10, v0
	v_cmp_lt_i32_e64 s[0:1], v10, v24
	s_cbranch_scc0 .LBB289_12
; %bb.5:
	v_mov_b32_e32 v12, 0
	v_mov_b32_e32 v18, 0
	;; [unrolled: 1-line block ×8, first 2 shown]
	s_and_saveexec_b64 s[6:7], s[0:1]
	s_cbranch_execz .LBB289_11
; %bb.6:
	v_mul_lo_u32 v25, v10, 28
	v_mov_b32_e32 v12, 0
	v_mov_b32_e32 v18, 0
	;; [unrolled: 1-line block ×5, first 2 shown]
	s_mov_b64 s[8:9], 0
	v_mov_b32_e32 v26, s11
	v_mov_b32_e32 v21, 0
	;; [unrolled: 1-line block ×8, first 2 shown]
.LBB289_7:                              ; =>This Loop Header: Depth=1
                                        ;     Child Loop BB289_8 Depth 2
	v_ashrrev_i32_e32 v23, 31, v22
	v_lshlrev_b64 v[29:30], 2, v[22:23]
	s_mov_b32 s3, 0
	v_add_co_u32_e32 v29, vcc, s10, v29
	v_addc_co_u32_e32 v30, vcc, v26, v30, vcc
	global_load_dword v20, v[29:30], off
	s_waitcnt vmcnt(0)
	v_subrev_u32_e32 v20, s2, v20
	v_mul_lo_u32 v23, v20, 14
	v_mov_b32_e32 v20, v25
.LBB289_8:                              ;   Parent Loop BB289_7 Depth=1
                                        ; =>  This Inner Loop Header: Depth=2
	v_lshlrev_b64 v[29:30], 4, v[20:21]
	v_add_u32_e32 v31, s3, v23
	v_mov_b32_e32 v32, v21
	v_lshlrev_b64 v[36:37], 4, v[31:32]
	v_add_co_u32_e32 v53, vcc, s12, v29
	v_addc_co_u32_e32 v54, vcc, v27, v30, vcc
	v_add_co_u32_e32 v55, vcc, s14, v36
	global_load_dwordx4 v[29:32], v[53:54], off offset:16
	global_load_dwordx4 v[33:36], v[53:54], off
	v_addc_co_u32_e32 v56, vcc, v28, v37, vcc
	global_load_dwordx4 v[37:40], v[55:56], off
	global_load_dwordx4 v[41:44], v[53:54], off offset:32
	global_load_dwordx4 v[45:48], v[53:54], off offset:48
	;; [unrolled: 1-line block ×3, first 2 shown]
	s_add_i32 s3, s3, 2
	s_cmp_eq_u32 s3, 14
	v_add_u32_e32 v20, 4, v20
	s_waitcnt vmcnt(3)
	v_fma_f64 v[16:17], v[29:30], v[37:38], v[16:17]
	v_fma_f64 v[18:19], v[33:34], v[37:38], v[18:19]
	;; [unrolled: 1-line block ×4, first 2 shown]
	v_fma_f64 v[16:17], -v[31:32], v[39:40], v[16:17]
	v_fma_f64 v[18:19], -v[35:36], v[39:40], v[18:19]
	v_fma_f64 v[12:13], v[33:34], v[39:40], v[12:13]
	v_fma_f64 v[14:15], v[29:30], v[39:40], v[14:15]
	s_waitcnt vmcnt(0)
	v_fma_f64 v[16:17], v[45:46], v[49:50], v[16:17]
	v_fma_f64 v[18:19], v[41:42], v[49:50], v[18:19]
	;; [unrolled: 1-line block ×4, first 2 shown]
	v_fma_f64 v[16:17], -v[47:48], v[51:52], v[16:17]
	v_fma_f64 v[18:19], -v[43:44], v[51:52], v[18:19]
	v_fma_f64 v[12:13], v[41:42], v[51:52], v[12:13]
	v_fma_f64 v[14:15], v[45:46], v[51:52], v[14:15]
	s_cbranch_scc0 .LBB289_8
; %bb.9:                                ;   in Loop: Header=BB289_7 Depth=1
	v_add_u32_e32 v22, 8, v22
	v_cmp_ge_i32_e32 vcc, v22, v24
	s_or_b64 s[8:9], vcc, s[8:9]
	v_add_u32_e32 v25, 0xe0, v25
	s_andn2_b64 exec, exec, s[8:9]
	s_cbranch_execnz .LBB289_7
; %bb.10:
	s_or_b64 exec, exec, s[8:9]
.LBB289_11:
	s_or_b64 exec, exec, s[6:7]
	s_cbranch_execz .LBB289_13
	s_branch .LBB289_20
.LBB289_12:
                                        ; implicit-def: $vgpr12_vgpr13
                                        ; implicit-def: $vgpr18_vgpr19
                                        ; implicit-def: $vgpr16_vgpr17
                                        ; implicit-def: $vgpr14_vgpr15
.LBB289_13:
	v_mov_b32_e32 v12, 0
	v_mov_b32_e32 v18, 0
	;; [unrolled: 1-line block ×8, first 2 shown]
	s_and_saveexec_b64 s[6:7], s[0:1]
	s_cbranch_execz .LBB289_19
; %bb.14:
	v_mul_lo_u32 v11, v11, 28
	v_mul_lo_u32 v22, v10, 28
	s_mul_i32 s0, s2, 28
	v_mov_b32_e32 v12, 0
	v_mad_u32_u24 v11, v0, 28, v11
	v_mov_b32_e32 v18, 0
	v_mov_b32_e32 v16, 0
	;; [unrolled: 1-line block ×4, first 2 shown]
	v_subrev_u32_e32 v23, s0, v11
	s_mov_b64 s[0:1], 0
	v_mov_b32_e32 v25, s11
	v_mov_b32_e32 v21, 0
	;; [unrolled: 1-line block ×7, first 2 shown]
.LBB289_15:                             ; =>This Loop Header: Depth=1
                                        ;     Child Loop BB289_16 Depth 2
	v_ashrrev_i32_e32 v11, 31, v10
	v_lshlrev_b64 v[28:29], 2, v[10:11]
	s_mov_b32 s3, 0
	v_add_co_u32_e32 v28, vcc, s10, v28
	v_addc_co_u32_e32 v29, vcc, v25, v29, vcc
	global_load_dword v11, v[28:29], off
	s_waitcnt vmcnt(0)
	v_subrev_u32_e32 v11, s2, v11
	v_mul_lo_u32 v11, v11, 14
.LBB289_16:                             ;   Parent Loop BB289_15 Depth=1
                                        ; =>  This Inner Loop Header: Depth=2
	v_add_u32_e32 v20, s3, v23
	v_lshlrev_b64 v[28:29], 4, v[20:21]
	v_add_u32_e32 v20, s3, v11
	v_lshlrev_b64 v[32:33], 4, v[20:21]
	v_add_co_u32_e32 v52, vcc, s12, v28
	v_addc_co_u32_e32 v53, vcc, v26, v29, vcc
	v_add3_u32 v20, v22, s3, 14
	v_add_co_u32_e32 v54, vcc, s14, v32
	v_lshlrev_b64 v[36:37], 4, v[20:21]
	v_addc_co_u32_e32 v55, vcc, v27, v33, vcc
	global_load_dwordx4 v[28:31], v[52:53], off
	global_load_dwordx4 v[32:35], v[54:55], off
	v_add_co_u32_e32 v56, vcc, s12, v36
	v_addc_co_u32_e32 v57, vcc, v26, v37, vcc
	global_load_dwordx4 v[36:39], v[56:57], off
	global_load_dwordx4 v[40:43], v[52:53], off offset:16
	global_load_dwordx4 v[44:47], v[54:55], off offset:16
	;; [unrolled: 1-line block ×3, first 2 shown]
	s_add_i32 s3, s3, 2
	s_cmp_eq_u32 s3, 14
	s_waitcnt vmcnt(4)
	v_fma_f64 v[18:19], v[28:29], v[32:33], v[18:19]
	v_fma_f64 v[12:13], v[30:31], v[32:33], v[12:13]
	s_waitcnt vmcnt(3)
	v_fma_f64 v[16:17], v[36:37], v[32:33], v[16:17]
	v_fma_f64 v[14:15], v[38:39], v[32:33], v[14:15]
	v_fma_f64 v[18:19], -v[30:31], v[34:35], v[18:19]
	v_fma_f64 v[12:13], v[28:29], v[34:35], v[12:13]
	v_fma_f64 v[16:17], -v[38:39], v[34:35], v[16:17]
	v_fma_f64 v[14:15], v[36:37], v[34:35], v[14:15]
	s_waitcnt vmcnt(1)
	v_fma_f64 v[18:19], v[40:41], v[44:45], v[18:19]
	v_fma_f64 v[12:13], v[42:43], v[44:45], v[12:13]
	s_waitcnt vmcnt(0)
	v_fma_f64 v[16:17], v[48:49], v[44:45], v[16:17]
	v_fma_f64 v[14:15], v[50:51], v[44:45], v[14:15]
	v_fma_f64 v[18:19], -v[42:43], v[46:47], v[18:19]
	v_fma_f64 v[12:13], v[40:41], v[46:47], v[12:13]
	v_fma_f64 v[16:17], -v[50:51], v[46:47], v[16:17]
	v_fma_f64 v[14:15], v[48:49], v[46:47], v[14:15]
	s_cbranch_scc0 .LBB289_16
; %bb.17:                               ;   in Loop: Header=BB289_15 Depth=1
	v_add_u32_e32 v10, 8, v10
	v_cmp_ge_i32_e32 vcc, v10, v24
	v_add_u32_e32 v22, 0xe0, v22
	s_or_b64 s[0:1], vcc, s[0:1]
	v_add_u32_e32 v23, 0xe0, v23
	s_andn2_b64 exec, exec, s[0:1]
	s_cbranch_execnz .LBB289_15
; %bb.18:
	s_or_b64 exec, exec, s[0:1]
.LBB289_19:
	s_or_b64 exec, exec, s[6:7]
.LBB289_20:
	v_mov_b32_dpp v10, v18 row_shr:1 row_mask:0xf bank_mask:0xf
	v_mov_b32_dpp v11, v19 row_shr:1 row_mask:0xf bank_mask:0xf
	v_add_f64 v[10:11], v[18:19], v[10:11]
	v_mov_b32_dpp v18, v12 row_shr:1 row_mask:0xf bank_mask:0xf
	v_mov_b32_dpp v19, v13 row_shr:1 row_mask:0xf bank_mask:0xf
	;; [unrolled: 1-line block ×4, first 2 shown]
	v_add_f64 v[12:13], v[12:13], v[18:19]
	v_add_f64 v[16:17], v[16:17], v[20:21]
	v_mov_b32_dpp v20, v14 row_shr:1 row_mask:0xf bank_mask:0xf
	v_mov_b32_dpp v21, v15 row_shr:1 row_mask:0xf bank_mask:0xf
	v_add_f64 v[14:15], v[14:15], v[20:21]
	v_mov_b32_dpp v18, v10 row_shr:2 row_mask:0xf bank_mask:0xf
	v_mov_b32_dpp v19, v11 row_shr:2 row_mask:0xf bank_mask:0xf
	;; [unrolled: 3-line block ×6, first 2 shown]
	v_mov_b32_dpp v16, v12 row_shr:4 row_mask:0xf bank_mask:0xe
	v_mov_b32_dpp v17, v13 row_shr:4 row_mask:0xf bank_mask:0xe
	;; [unrolled: 1-line block ×4, first 2 shown]
	v_cmp_eq_u32_e32 vcc, 7, v0
	v_mov_b32_dpp v20, v14 row_shr:4 row_mask:0xf bank_mask:0xe
	v_mov_b32_dpp v21, v15 row_shr:4 row_mask:0xf bank_mask:0xe
	s_and_b64 exec, exec, vcc
	s_cbranch_execz .LBB289_25
; %bb.21:
	v_cmp_eq_f64_e32 vcc, 0, v[5:6]
	v_cmp_eq_f64_e64 s[0:1], 0, v[7:8]
	v_add_f64 v[10:11], v[10:11], v[24:25]
	v_add_f64 v[16:17], v[12:13], v[16:17]
	;; [unrolled: 1-line block ×4, first 2 shown]
	s_load_dwordx2 s[2:3], s[4:5], 0x48
	s_and_b64 s[0:1], vcc, s[0:1]
	s_and_saveexec_b64 s[4:5], s[0:1]
	s_xor_b64 s[0:1], exec, s[4:5]
	s_cbranch_execz .LBB289_23
; %bb.22:
	v_mul_f64 v[5:6], v[16:17], -v[3:4]
	v_mul_f64 v[7:8], v[1:2], v[16:17]
	v_mul_f64 v[16:17], v[14:15], -v[3:4]
	v_mul_f64 v[14:15], v[1:2], v[14:15]
	v_lshlrev_b32_e32 v9, 1, v9
	s_waitcnt lgkmcnt(0)
	v_mov_b32_e32 v18, s3
	v_fma_f64 v[5:6], v[1:2], v[10:11], v[5:6]
	v_fma_f64 v[7:8], v[3:4], v[10:11], v[7:8]
	;; [unrolled: 1-line block ×4, first 2 shown]
	v_ashrrev_i32_e32 v10, 31, v9
	v_lshlrev_b64 v[9:10], 4, v[9:10]
                                        ; implicit-def: $vgpr16_vgpr17
                                        ; implicit-def: $vgpr12_vgpr13
                                        ; implicit-def: $vgpr14_vgpr15
	v_add_co_u32_e32 v9, vcc, s2, v9
	v_addc_co_u32_e32 v10, vcc, v18, v10, vcc
	global_store_dwordx4 v[9:10], v[5:8], off
	global_store_dwordx4 v[9:10], v[0:3], off offset:16
                                        ; implicit-def: $vgpr9
                                        ; implicit-def: $vgpr10_vgpr11
                                        ; implicit-def: $vgpr7_vgpr8
                                        ; implicit-def: $vgpr3_vgpr4
.LBB289_23:
	s_andn2_saveexec_b64 s[0:1], s[0:1]
	s_cbranch_execz .LBB289_25
; %bb.24:
	v_lshlrev_b32_e32 v18, 1, v9
	v_ashrrev_i32_e32 v19, 31, v18
	v_lshlrev_b64 v[18:19], 4, v[18:19]
	s_waitcnt lgkmcnt(0)
	v_mov_b32_e32 v0, s3
	v_add_co_u32_e32 v26, vcc, s2, v18
	v_addc_co_u32_e32 v27, vcc, v0, v19, vcc
	global_load_dwordx4 v[18:21], v[26:27], off
	global_load_dwordx4 v[22:25], v[26:27], off offset:16
	v_mul_f64 v[28:29], v[16:17], -v[3:4]
	v_mul_f64 v[16:17], v[1:2], v[16:17]
	v_mul_f64 v[30:31], v[14:15], -v[3:4]
	v_mul_f64 v[14:15], v[1:2], v[14:15]
	v_fma_f64 v[28:29], v[1:2], v[10:11], v[28:29]
	v_fma_f64 v[9:10], v[3:4], v[10:11], v[16:17]
	;; [unrolled: 1-line block ×4, first 2 shown]
	s_waitcnt vmcnt(1)
	v_fma_f64 v[11:12], v[5:6], v[18:19], v[28:29]
	v_fma_f64 v[9:10], v[7:8], v[18:19], v[9:10]
	s_waitcnt vmcnt(0)
	v_fma_f64 v[13:14], v[5:6], v[22:23], v[0:1]
	v_fma_f64 v[15:16], v[7:8], v[22:23], v[2:3]
	v_fma_f64 v[0:1], -v[7:8], v[20:21], v[11:12]
	v_fma_f64 v[2:3], v[5:6], v[20:21], v[9:10]
	v_fma_f64 v[7:8], -v[7:8], v[24:25], v[13:14]
	v_fma_f64 v[9:10], v[5:6], v[24:25], v[15:16]
	global_store_dwordx4 v[26:27], v[0:3], off
	global_store_dwordx4 v[26:27], v[7:10], off offset:16
.LBB289_25:
	s_endpgm
	.section	.rodata,"a",@progbits
	.p2align	6, 0x0
	.amdhsa_kernel _ZN9rocsparseL19gebsrmvn_2xn_kernelILj128ELj14ELj8E21rocsparse_complex_numIdEEEvi20rocsparse_direction_NS_24const_host_device_scalarIT2_EEPKiS8_PKS5_SA_S6_PS5_21rocsparse_index_base_b
		.amdhsa_group_segment_fixed_size 0
		.amdhsa_private_segment_fixed_size 0
		.amdhsa_kernarg_size 88
		.amdhsa_user_sgpr_count 6
		.amdhsa_user_sgpr_private_segment_buffer 1
		.amdhsa_user_sgpr_dispatch_ptr 0
		.amdhsa_user_sgpr_queue_ptr 0
		.amdhsa_user_sgpr_kernarg_segment_ptr 1
		.amdhsa_user_sgpr_dispatch_id 0
		.amdhsa_user_sgpr_flat_scratch_init 0
		.amdhsa_user_sgpr_private_segment_size 0
		.amdhsa_uses_dynamic_stack 0
		.amdhsa_system_sgpr_private_segment_wavefront_offset 0
		.amdhsa_system_sgpr_workgroup_id_x 1
		.amdhsa_system_sgpr_workgroup_id_y 0
		.amdhsa_system_sgpr_workgroup_id_z 0
		.amdhsa_system_sgpr_workgroup_info 0
		.amdhsa_system_vgpr_workitem_id 0
		.amdhsa_next_free_vgpr 58
		.amdhsa_next_free_sgpr 16
		.amdhsa_reserve_vcc 1
		.amdhsa_reserve_flat_scratch 0
		.amdhsa_float_round_mode_32 0
		.amdhsa_float_round_mode_16_64 0
		.amdhsa_float_denorm_mode_32 3
		.amdhsa_float_denorm_mode_16_64 3
		.amdhsa_dx10_clamp 1
		.amdhsa_ieee_mode 1
		.amdhsa_fp16_overflow 0
		.amdhsa_exception_fp_ieee_invalid_op 0
		.amdhsa_exception_fp_denorm_src 0
		.amdhsa_exception_fp_ieee_div_zero 0
		.amdhsa_exception_fp_ieee_overflow 0
		.amdhsa_exception_fp_ieee_underflow 0
		.amdhsa_exception_fp_ieee_inexact 0
		.amdhsa_exception_int_div_zero 0
	.end_amdhsa_kernel
	.section	.text._ZN9rocsparseL19gebsrmvn_2xn_kernelILj128ELj14ELj8E21rocsparse_complex_numIdEEEvi20rocsparse_direction_NS_24const_host_device_scalarIT2_EEPKiS8_PKS5_SA_S6_PS5_21rocsparse_index_base_b,"axG",@progbits,_ZN9rocsparseL19gebsrmvn_2xn_kernelILj128ELj14ELj8E21rocsparse_complex_numIdEEEvi20rocsparse_direction_NS_24const_host_device_scalarIT2_EEPKiS8_PKS5_SA_S6_PS5_21rocsparse_index_base_b,comdat
.Lfunc_end289:
	.size	_ZN9rocsparseL19gebsrmvn_2xn_kernelILj128ELj14ELj8E21rocsparse_complex_numIdEEEvi20rocsparse_direction_NS_24const_host_device_scalarIT2_EEPKiS8_PKS5_SA_S6_PS5_21rocsparse_index_base_b, .Lfunc_end289-_ZN9rocsparseL19gebsrmvn_2xn_kernelILj128ELj14ELj8E21rocsparse_complex_numIdEEEvi20rocsparse_direction_NS_24const_host_device_scalarIT2_EEPKiS8_PKS5_SA_S6_PS5_21rocsparse_index_base_b
                                        ; -- End function
	.set _ZN9rocsparseL19gebsrmvn_2xn_kernelILj128ELj14ELj8E21rocsparse_complex_numIdEEEvi20rocsparse_direction_NS_24const_host_device_scalarIT2_EEPKiS8_PKS5_SA_S6_PS5_21rocsparse_index_base_b.num_vgpr, 58
	.set _ZN9rocsparseL19gebsrmvn_2xn_kernelILj128ELj14ELj8E21rocsparse_complex_numIdEEEvi20rocsparse_direction_NS_24const_host_device_scalarIT2_EEPKiS8_PKS5_SA_S6_PS5_21rocsparse_index_base_b.num_agpr, 0
	.set _ZN9rocsparseL19gebsrmvn_2xn_kernelILj128ELj14ELj8E21rocsparse_complex_numIdEEEvi20rocsparse_direction_NS_24const_host_device_scalarIT2_EEPKiS8_PKS5_SA_S6_PS5_21rocsparse_index_base_b.numbered_sgpr, 16
	.set _ZN9rocsparseL19gebsrmvn_2xn_kernelILj128ELj14ELj8E21rocsparse_complex_numIdEEEvi20rocsparse_direction_NS_24const_host_device_scalarIT2_EEPKiS8_PKS5_SA_S6_PS5_21rocsparse_index_base_b.num_named_barrier, 0
	.set _ZN9rocsparseL19gebsrmvn_2xn_kernelILj128ELj14ELj8E21rocsparse_complex_numIdEEEvi20rocsparse_direction_NS_24const_host_device_scalarIT2_EEPKiS8_PKS5_SA_S6_PS5_21rocsparse_index_base_b.private_seg_size, 0
	.set _ZN9rocsparseL19gebsrmvn_2xn_kernelILj128ELj14ELj8E21rocsparse_complex_numIdEEEvi20rocsparse_direction_NS_24const_host_device_scalarIT2_EEPKiS8_PKS5_SA_S6_PS5_21rocsparse_index_base_b.uses_vcc, 1
	.set _ZN9rocsparseL19gebsrmvn_2xn_kernelILj128ELj14ELj8E21rocsparse_complex_numIdEEEvi20rocsparse_direction_NS_24const_host_device_scalarIT2_EEPKiS8_PKS5_SA_S6_PS5_21rocsparse_index_base_b.uses_flat_scratch, 0
	.set _ZN9rocsparseL19gebsrmvn_2xn_kernelILj128ELj14ELj8E21rocsparse_complex_numIdEEEvi20rocsparse_direction_NS_24const_host_device_scalarIT2_EEPKiS8_PKS5_SA_S6_PS5_21rocsparse_index_base_b.has_dyn_sized_stack, 0
	.set _ZN9rocsparseL19gebsrmvn_2xn_kernelILj128ELj14ELj8E21rocsparse_complex_numIdEEEvi20rocsparse_direction_NS_24const_host_device_scalarIT2_EEPKiS8_PKS5_SA_S6_PS5_21rocsparse_index_base_b.has_recursion, 0
	.set _ZN9rocsparseL19gebsrmvn_2xn_kernelILj128ELj14ELj8E21rocsparse_complex_numIdEEEvi20rocsparse_direction_NS_24const_host_device_scalarIT2_EEPKiS8_PKS5_SA_S6_PS5_21rocsparse_index_base_b.has_indirect_call, 0
	.section	.AMDGPU.csdata,"",@progbits
; Kernel info:
; codeLenInByte = 1860
; TotalNumSgprs: 20
; NumVgprs: 58
; ScratchSize: 0
; MemoryBound: 0
; FloatMode: 240
; IeeeMode: 1
; LDSByteSize: 0 bytes/workgroup (compile time only)
; SGPRBlocks: 2
; VGPRBlocks: 14
; NumSGPRsForWavesPerEU: 20
; NumVGPRsForWavesPerEU: 58
; Occupancy: 4
; WaveLimiterHint : 1
; COMPUTE_PGM_RSRC2:SCRATCH_EN: 0
; COMPUTE_PGM_RSRC2:USER_SGPR: 6
; COMPUTE_PGM_RSRC2:TRAP_HANDLER: 0
; COMPUTE_PGM_RSRC2:TGID_X_EN: 1
; COMPUTE_PGM_RSRC2:TGID_Y_EN: 0
; COMPUTE_PGM_RSRC2:TGID_Z_EN: 0
; COMPUTE_PGM_RSRC2:TIDIG_COMP_CNT: 0
	.section	.text._ZN9rocsparseL19gebsrmvn_2xn_kernelILj128ELj14ELj16E21rocsparse_complex_numIdEEEvi20rocsparse_direction_NS_24const_host_device_scalarIT2_EEPKiS8_PKS5_SA_S6_PS5_21rocsparse_index_base_b,"axG",@progbits,_ZN9rocsparseL19gebsrmvn_2xn_kernelILj128ELj14ELj16E21rocsparse_complex_numIdEEEvi20rocsparse_direction_NS_24const_host_device_scalarIT2_EEPKiS8_PKS5_SA_S6_PS5_21rocsparse_index_base_b,comdat
	.globl	_ZN9rocsparseL19gebsrmvn_2xn_kernelILj128ELj14ELj16E21rocsparse_complex_numIdEEEvi20rocsparse_direction_NS_24const_host_device_scalarIT2_EEPKiS8_PKS5_SA_S6_PS5_21rocsparse_index_base_b ; -- Begin function _ZN9rocsparseL19gebsrmvn_2xn_kernelILj128ELj14ELj16E21rocsparse_complex_numIdEEEvi20rocsparse_direction_NS_24const_host_device_scalarIT2_EEPKiS8_PKS5_SA_S6_PS5_21rocsparse_index_base_b
	.p2align	8
	.type	_ZN9rocsparseL19gebsrmvn_2xn_kernelILj128ELj14ELj16E21rocsparse_complex_numIdEEEvi20rocsparse_direction_NS_24const_host_device_scalarIT2_EEPKiS8_PKS5_SA_S6_PS5_21rocsparse_index_base_b,@function
_ZN9rocsparseL19gebsrmvn_2xn_kernelILj128ELj14ELj16E21rocsparse_complex_numIdEEEvi20rocsparse_direction_NS_24const_host_device_scalarIT2_EEPKiS8_PKS5_SA_S6_PS5_21rocsparse_index_base_b: ; @_ZN9rocsparseL19gebsrmvn_2xn_kernelILj128ELj14ELj16E21rocsparse_complex_numIdEEEvi20rocsparse_direction_NS_24const_host_device_scalarIT2_EEPKiS8_PKS5_SA_S6_PS5_21rocsparse_index_base_b
; %bb.0:
	s_load_dwordx2 s[0:1], s[4:5], 0x8
	s_load_dwordx2 s[8:9], s[4:5], 0x38
	;; [unrolled: 1-line block ×3, first 2 shown]
	s_add_u32 s7, s4, 8
	s_addc_u32 s10, s5, 0
	s_add_u32 s11, s4, 56
	s_addc_u32 s12, s5, 0
	s_waitcnt lgkmcnt(0)
	s_bitcmp1_b32 s3, 0
	s_cselect_b32 s1, s10, s1
	s_cselect_b32 s0, s7, s0
	v_mov_b32_e32 v1, s0
	v_mov_b32_e32 v2, s1
	flat_load_dwordx4 v[1:4], v[1:2]
	s_cselect_b32 s0, s12, s9
	s_cselect_b32 s1, s11, s8
	v_mov_b32_e32 v5, s1
	v_mov_b32_e32 v6, s0
	flat_load_dwordx4 v[5:8], v[5:6]
	s_waitcnt vmcnt(0) lgkmcnt(0)
	v_cmp_eq_f64_e32 vcc, 0, v[1:2]
	v_cmp_eq_f64_e64 s[0:1], 0, v[3:4]
	s_and_b64 s[10:11], vcc, s[0:1]
	s_mov_b64 s[0:1], -1
	s_and_saveexec_b64 s[8:9], s[10:11]
	s_cbranch_execz .LBB290_2
; %bb.1:
	v_cmp_neq_f64_e32 vcc, 1.0, v[5:6]
	v_cmp_neq_f64_e64 s[0:1], 0, v[7:8]
	s_or_b64 s[0:1], vcc, s[0:1]
	s_orn2_b64 s[0:1], s[0:1], exec
.LBB290_2:
	s_or_b64 exec, exec, s[8:9]
	s_and_saveexec_b64 s[8:9], s[0:1]
	s_cbranch_execz .LBB290_25
; %bb.3:
	s_load_dwordx2 s[0:1], s[4:5], 0x0
	v_lshrrev_b32_e32 v9, 4, v0
	v_lshl_or_b32 v9, s6, 3, v9
	s_waitcnt lgkmcnt(0)
	v_cmp_gt_i32_e32 vcc, s0, v9
	s_and_b64 exec, exec, vcc
	s_cbranch_execz .LBB290_25
; %bb.4:
	s_load_dwordx8 s[8:15], s[4:5], 0x18
	v_ashrrev_i32_e32 v10, 31, v9
	v_lshlrev_b64 v[10:11], 2, v[9:10]
	v_and_b32_e32 v0, 15, v0
	s_cmp_lg_u32 s1, 0
	s_waitcnt lgkmcnt(0)
	v_mov_b32_e32 v12, s9
	v_add_co_u32_e32 v10, vcc, s8, v10
	v_addc_co_u32_e32 v11, vcc, v12, v11, vcc
	global_load_dwordx2 v[13:14], v[10:11], off
	s_waitcnt vmcnt(0)
	v_subrev_u32_e32 v10, s2, v13
	v_subrev_u32_e32 v24, s2, v14
	v_add_u32_e32 v12, v10, v0
	v_cmp_lt_i32_e64 s[0:1], v12, v24
	s_cbranch_scc0 .LBB290_12
; %bb.5:
	v_mov_b32_e32 v10, 0
	v_mov_b32_e32 v18, 0
	;; [unrolled: 1-line block ×8, first 2 shown]
	s_and_saveexec_b64 s[6:7], s[0:1]
	s_cbranch_execz .LBB290_11
; %bb.6:
	v_mul_lo_u32 v25, v12, 28
	v_mov_b32_e32 v10, 0
	v_mov_b32_e32 v18, 0
	;; [unrolled: 1-line block ×5, first 2 shown]
	s_mov_b64 s[8:9], 0
	v_mov_b32_e32 v26, s11
	v_mov_b32_e32 v21, 0
	;; [unrolled: 1-line block ×8, first 2 shown]
.LBB290_7:                              ; =>This Loop Header: Depth=1
                                        ;     Child Loop BB290_8 Depth 2
	v_ashrrev_i32_e32 v23, 31, v22
	v_lshlrev_b64 v[29:30], 2, v[22:23]
	s_mov_b32 s3, 0
	v_add_co_u32_e32 v29, vcc, s10, v29
	v_addc_co_u32_e32 v30, vcc, v26, v30, vcc
	global_load_dword v20, v[29:30], off
	s_waitcnt vmcnt(0)
	v_subrev_u32_e32 v20, s2, v20
	v_mul_lo_u32 v23, v20, 14
	v_mov_b32_e32 v20, v25
.LBB290_8:                              ;   Parent Loop BB290_7 Depth=1
                                        ; =>  This Inner Loop Header: Depth=2
	v_lshlrev_b64 v[29:30], 4, v[20:21]
	v_add_u32_e32 v31, s3, v23
	v_mov_b32_e32 v32, v21
	v_lshlrev_b64 v[36:37], 4, v[31:32]
	v_add_co_u32_e32 v53, vcc, s12, v29
	v_addc_co_u32_e32 v54, vcc, v27, v30, vcc
	v_add_co_u32_e32 v55, vcc, s14, v36
	global_load_dwordx4 v[29:32], v[53:54], off offset:16
	global_load_dwordx4 v[33:36], v[53:54], off
	v_addc_co_u32_e32 v56, vcc, v28, v37, vcc
	global_load_dwordx4 v[37:40], v[55:56], off
	global_load_dwordx4 v[41:44], v[53:54], off offset:32
	global_load_dwordx4 v[45:48], v[53:54], off offset:48
	;; [unrolled: 1-line block ×3, first 2 shown]
	s_add_i32 s3, s3, 2
	s_cmp_eq_u32 s3, 14
	v_add_u32_e32 v20, 4, v20
	s_waitcnt vmcnt(3)
	v_fma_f64 v[16:17], v[29:30], v[37:38], v[16:17]
	v_fma_f64 v[18:19], v[33:34], v[37:38], v[18:19]
	;; [unrolled: 1-line block ×4, first 2 shown]
	v_fma_f64 v[16:17], -v[31:32], v[39:40], v[16:17]
	v_fma_f64 v[18:19], -v[35:36], v[39:40], v[18:19]
	v_fma_f64 v[10:11], v[33:34], v[39:40], v[10:11]
	v_fma_f64 v[14:15], v[29:30], v[39:40], v[14:15]
	s_waitcnt vmcnt(0)
	v_fma_f64 v[16:17], v[45:46], v[49:50], v[16:17]
	v_fma_f64 v[18:19], v[41:42], v[49:50], v[18:19]
	;; [unrolled: 1-line block ×4, first 2 shown]
	v_fma_f64 v[16:17], -v[47:48], v[51:52], v[16:17]
	v_fma_f64 v[18:19], -v[43:44], v[51:52], v[18:19]
	v_fma_f64 v[10:11], v[41:42], v[51:52], v[10:11]
	v_fma_f64 v[14:15], v[45:46], v[51:52], v[14:15]
	s_cbranch_scc0 .LBB290_8
; %bb.9:                                ;   in Loop: Header=BB290_7 Depth=1
	v_add_u32_e32 v22, 16, v22
	v_cmp_ge_i32_e32 vcc, v22, v24
	s_or_b64 s[8:9], vcc, s[8:9]
	v_add_u32_e32 v25, 0x1c0, v25
	s_andn2_b64 exec, exec, s[8:9]
	s_cbranch_execnz .LBB290_7
; %bb.10:
	s_or_b64 exec, exec, s[8:9]
.LBB290_11:
	s_or_b64 exec, exec, s[6:7]
	s_cbranch_execz .LBB290_13
	s_branch .LBB290_20
.LBB290_12:
                                        ; implicit-def: $vgpr10_vgpr11
                                        ; implicit-def: $vgpr18_vgpr19
                                        ; implicit-def: $vgpr16_vgpr17
                                        ; implicit-def: $vgpr14_vgpr15
.LBB290_13:
	v_mov_b32_e32 v10, 0
	v_mov_b32_e32 v18, 0
	;; [unrolled: 1-line block ×8, first 2 shown]
	s_and_saveexec_b64 s[6:7], s[0:1]
	s_cbranch_execz .LBB290_19
; %bb.14:
	v_mul_lo_u32 v13, v13, 28
	v_mul_lo_u32 v22, v12, 28
	s_mul_i32 s0, s2, 28
	v_mov_b32_e32 v10, 0
	v_mad_u32_u24 v13, v0, 28, v13
	v_mov_b32_e32 v18, 0
	v_mov_b32_e32 v16, 0
	;; [unrolled: 1-line block ×4, first 2 shown]
	v_subrev_u32_e32 v23, s0, v13
	s_mov_b64 s[0:1], 0
	v_mov_b32_e32 v25, s11
	v_mov_b32_e32 v21, 0
	;; [unrolled: 1-line block ×7, first 2 shown]
.LBB290_15:                             ; =>This Loop Header: Depth=1
                                        ;     Child Loop BB290_16 Depth 2
	v_ashrrev_i32_e32 v13, 31, v12
	v_lshlrev_b64 v[28:29], 2, v[12:13]
	s_mov_b32 s3, 0
	v_add_co_u32_e32 v28, vcc, s10, v28
	v_addc_co_u32_e32 v29, vcc, v25, v29, vcc
	global_load_dword v13, v[28:29], off
	s_waitcnt vmcnt(0)
	v_subrev_u32_e32 v13, s2, v13
	v_mul_lo_u32 v13, v13, 14
.LBB290_16:                             ;   Parent Loop BB290_15 Depth=1
                                        ; =>  This Inner Loop Header: Depth=2
	v_add_u32_e32 v20, s3, v23
	v_lshlrev_b64 v[28:29], 4, v[20:21]
	v_add_u32_e32 v20, s3, v13
	v_lshlrev_b64 v[32:33], 4, v[20:21]
	v_add_co_u32_e32 v52, vcc, s12, v28
	v_addc_co_u32_e32 v53, vcc, v26, v29, vcc
	v_add3_u32 v20, v22, s3, 14
	v_add_co_u32_e32 v54, vcc, s14, v32
	v_lshlrev_b64 v[36:37], 4, v[20:21]
	v_addc_co_u32_e32 v55, vcc, v27, v33, vcc
	global_load_dwordx4 v[28:31], v[52:53], off
	global_load_dwordx4 v[32:35], v[54:55], off
	v_add_co_u32_e32 v56, vcc, s12, v36
	v_addc_co_u32_e32 v57, vcc, v26, v37, vcc
	global_load_dwordx4 v[36:39], v[56:57], off
	global_load_dwordx4 v[40:43], v[52:53], off offset:16
	global_load_dwordx4 v[44:47], v[54:55], off offset:16
	;; [unrolled: 1-line block ×3, first 2 shown]
	s_add_i32 s3, s3, 2
	s_cmp_eq_u32 s3, 14
	s_waitcnt vmcnt(4)
	v_fma_f64 v[18:19], v[28:29], v[32:33], v[18:19]
	v_fma_f64 v[10:11], v[30:31], v[32:33], v[10:11]
	s_waitcnt vmcnt(3)
	v_fma_f64 v[16:17], v[36:37], v[32:33], v[16:17]
	v_fma_f64 v[14:15], v[38:39], v[32:33], v[14:15]
	v_fma_f64 v[18:19], -v[30:31], v[34:35], v[18:19]
	v_fma_f64 v[10:11], v[28:29], v[34:35], v[10:11]
	v_fma_f64 v[16:17], -v[38:39], v[34:35], v[16:17]
	v_fma_f64 v[14:15], v[36:37], v[34:35], v[14:15]
	s_waitcnt vmcnt(1)
	v_fma_f64 v[18:19], v[40:41], v[44:45], v[18:19]
	v_fma_f64 v[10:11], v[42:43], v[44:45], v[10:11]
	s_waitcnt vmcnt(0)
	v_fma_f64 v[16:17], v[48:49], v[44:45], v[16:17]
	v_fma_f64 v[14:15], v[50:51], v[44:45], v[14:15]
	v_fma_f64 v[18:19], -v[42:43], v[46:47], v[18:19]
	v_fma_f64 v[10:11], v[40:41], v[46:47], v[10:11]
	v_fma_f64 v[16:17], -v[50:51], v[46:47], v[16:17]
	v_fma_f64 v[14:15], v[48:49], v[46:47], v[14:15]
	s_cbranch_scc0 .LBB290_16
; %bb.17:                               ;   in Loop: Header=BB290_15 Depth=1
	v_add_u32_e32 v12, 16, v12
	v_cmp_ge_i32_e32 vcc, v12, v24
	v_add_u32_e32 v22, 0x1c0, v22
	s_or_b64 s[0:1], vcc, s[0:1]
	v_add_u32_e32 v23, 0x1c0, v23
	s_andn2_b64 exec, exec, s[0:1]
	s_cbranch_execnz .LBB290_15
; %bb.18:
	s_or_b64 exec, exec, s[0:1]
.LBB290_19:
	s_or_b64 exec, exec, s[6:7]
.LBB290_20:
	v_mov_b32_dpp v12, v18 row_shr:1 row_mask:0xf bank_mask:0xf
	v_mov_b32_dpp v13, v19 row_shr:1 row_mask:0xf bank_mask:0xf
	v_add_f64 v[12:13], v[18:19], v[12:13]
	v_mov_b32_dpp v18, v10 row_shr:1 row_mask:0xf bank_mask:0xf
	v_mov_b32_dpp v19, v11 row_shr:1 row_mask:0xf bank_mask:0xf
	;; [unrolled: 1-line block ×3, first 2 shown]
	v_add_f64 v[10:11], v[10:11], v[18:19]
	v_mov_b32_dpp v21, v17 row_shr:1 row_mask:0xf bank_mask:0xf
	v_add_f64 v[16:17], v[16:17], v[20:21]
	v_cmp_eq_u32_e32 vcc, 15, v0
	v_mov_b32_dpp v18, v12 row_shr:2 row_mask:0xf bank_mask:0xf
	v_mov_b32_dpp v19, v13 row_shr:2 row_mask:0xf bank_mask:0xf
	v_add_f64 v[12:13], v[12:13], v[18:19]
	v_mov_b32_dpp v18, v14 row_shr:1 row_mask:0xf bank_mask:0xf
	v_mov_b32_dpp v19, v15 row_shr:1 row_mask:0xf bank_mask:0xf
	v_add_f64 v[14:15], v[14:15], v[18:19]
	;; [unrolled: 3-line block ×4, first 2 shown]
	v_mov_b32_dpp v20, v12 row_shr:4 row_mask:0xf bank_mask:0xe
	v_mov_b32_dpp v10, v14 row_shr:2 row_mask:0xf bank_mask:0xf
	;; [unrolled: 1-line block ×3, first 2 shown]
	v_add_f64 v[14:15], v[14:15], v[10:11]
	v_mov_b32_dpp v21, v13 row_shr:4 row_mask:0xf bank_mask:0xe
	v_add_f64 v[10:11], v[12:13], v[20:21]
	v_mov_b32_dpp v12, v18 row_shr:4 row_mask:0xf bank_mask:0xe
	v_mov_b32_dpp v13, v19 row_shr:4 row_mask:0xf bank_mask:0xe
	v_add_f64 v[12:13], v[18:19], v[12:13]
	v_mov_b32_dpp v18, v16 row_shr:4 row_mask:0xf bank_mask:0xe
	;; [unrolled: 3-line block ×4, first 2 shown]
	v_mov_b32_dpp v25, v11 row_shr:8 row_mask:0xf bank_mask:0xc
	v_mov_b32_dpp v16, v12 row_shr:8 row_mask:0xf bank_mask:0xc
	;; [unrolled: 1-line block ×7, first 2 shown]
	s_and_b64 exec, exec, vcc
	s_cbranch_execz .LBB290_25
; %bb.21:
	v_cmp_eq_f64_e32 vcc, 0, v[5:6]
	v_cmp_eq_f64_e64 s[0:1], 0, v[7:8]
	v_add_f64 v[10:11], v[10:11], v[24:25]
	v_add_f64 v[16:17], v[12:13], v[16:17]
	;; [unrolled: 1-line block ×4, first 2 shown]
	s_load_dwordx2 s[2:3], s[4:5], 0x48
	s_and_b64 s[0:1], vcc, s[0:1]
	s_and_saveexec_b64 s[4:5], s[0:1]
	s_xor_b64 s[0:1], exec, s[4:5]
	s_cbranch_execz .LBB290_23
; %bb.22:
	v_mul_f64 v[5:6], v[16:17], -v[3:4]
	v_mul_f64 v[7:8], v[1:2], v[16:17]
	v_mul_f64 v[16:17], v[14:15], -v[3:4]
	v_mul_f64 v[14:15], v[1:2], v[14:15]
	v_lshlrev_b32_e32 v9, 1, v9
	s_waitcnt lgkmcnt(0)
	v_mov_b32_e32 v18, s3
	v_fma_f64 v[5:6], v[1:2], v[10:11], v[5:6]
	v_fma_f64 v[7:8], v[3:4], v[10:11], v[7:8]
	;; [unrolled: 1-line block ×4, first 2 shown]
	v_ashrrev_i32_e32 v10, 31, v9
	v_lshlrev_b64 v[9:10], 4, v[9:10]
                                        ; implicit-def: $vgpr16_vgpr17
                                        ; implicit-def: $vgpr12_vgpr13
                                        ; implicit-def: $vgpr14_vgpr15
	v_add_co_u32_e32 v9, vcc, s2, v9
	v_addc_co_u32_e32 v10, vcc, v18, v10, vcc
	global_store_dwordx4 v[9:10], v[5:8], off
	global_store_dwordx4 v[9:10], v[0:3], off offset:16
                                        ; implicit-def: $vgpr9
                                        ; implicit-def: $vgpr10_vgpr11
                                        ; implicit-def: $vgpr7_vgpr8
                                        ; implicit-def: $vgpr3_vgpr4
.LBB290_23:
	s_andn2_saveexec_b64 s[0:1], s[0:1]
	s_cbranch_execz .LBB290_25
; %bb.24:
	v_lshlrev_b32_e32 v18, 1, v9
	v_ashrrev_i32_e32 v19, 31, v18
	v_lshlrev_b64 v[18:19], 4, v[18:19]
	s_waitcnt lgkmcnt(0)
	v_mov_b32_e32 v0, s3
	v_add_co_u32_e32 v26, vcc, s2, v18
	v_addc_co_u32_e32 v27, vcc, v0, v19, vcc
	global_load_dwordx4 v[18:21], v[26:27], off
	global_load_dwordx4 v[22:25], v[26:27], off offset:16
	v_mul_f64 v[28:29], v[16:17], -v[3:4]
	v_mul_f64 v[16:17], v[1:2], v[16:17]
	v_mul_f64 v[30:31], v[14:15], -v[3:4]
	v_mul_f64 v[14:15], v[1:2], v[14:15]
	v_fma_f64 v[28:29], v[1:2], v[10:11], v[28:29]
	v_fma_f64 v[9:10], v[3:4], v[10:11], v[16:17]
	;; [unrolled: 1-line block ×4, first 2 shown]
	s_waitcnt vmcnt(1)
	v_fma_f64 v[11:12], v[5:6], v[18:19], v[28:29]
	v_fma_f64 v[9:10], v[7:8], v[18:19], v[9:10]
	s_waitcnt vmcnt(0)
	v_fma_f64 v[13:14], v[5:6], v[22:23], v[0:1]
	v_fma_f64 v[15:16], v[7:8], v[22:23], v[2:3]
	v_fma_f64 v[0:1], -v[7:8], v[20:21], v[11:12]
	v_fma_f64 v[2:3], v[5:6], v[20:21], v[9:10]
	v_fma_f64 v[7:8], -v[7:8], v[24:25], v[13:14]
	v_fma_f64 v[9:10], v[5:6], v[24:25], v[15:16]
	global_store_dwordx4 v[26:27], v[0:3], off
	global_store_dwordx4 v[26:27], v[7:10], off offset:16
.LBB290_25:
	s_endpgm
	.section	.rodata,"a",@progbits
	.p2align	6, 0x0
	.amdhsa_kernel _ZN9rocsparseL19gebsrmvn_2xn_kernelILj128ELj14ELj16E21rocsparse_complex_numIdEEEvi20rocsparse_direction_NS_24const_host_device_scalarIT2_EEPKiS8_PKS5_SA_S6_PS5_21rocsparse_index_base_b
		.amdhsa_group_segment_fixed_size 0
		.amdhsa_private_segment_fixed_size 0
		.amdhsa_kernarg_size 88
		.amdhsa_user_sgpr_count 6
		.amdhsa_user_sgpr_private_segment_buffer 1
		.amdhsa_user_sgpr_dispatch_ptr 0
		.amdhsa_user_sgpr_queue_ptr 0
		.amdhsa_user_sgpr_kernarg_segment_ptr 1
		.amdhsa_user_sgpr_dispatch_id 0
		.amdhsa_user_sgpr_flat_scratch_init 0
		.amdhsa_user_sgpr_private_segment_size 0
		.amdhsa_uses_dynamic_stack 0
		.amdhsa_system_sgpr_private_segment_wavefront_offset 0
		.amdhsa_system_sgpr_workgroup_id_x 1
		.amdhsa_system_sgpr_workgroup_id_y 0
		.amdhsa_system_sgpr_workgroup_id_z 0
		.amdhsa_system_sgpr_workgroup_info 0
		.amdhsa_system_vgpr_workitem_id 0
		.amdhsa_next_free_vgpr 58
		.amdhsa_next_free_sgpr 16
		.amdhsa_reserve_vcc 1
		.amdhsa_reserve_flat_scratch 0
		.amdhsa_float_round_mode_32 0
		.amdhsa_float_round_mode_16_64 0
		.amdhsa_float_denorm_mode_32 3
		.amdhsa_float_denorm_mode_16_64 3
		.amdhsa_dx10_clamp 1
		.amdhsa_ieee_mode 1
		.amdhsa_fp16_overflow 0
		.amdhsa_exception_fp_ieee_invalid_op 0
		.amdhsa_exception_fp_denorm_src 0
		.amdhsa_exception_fp_ieee_div_zero 0
		.amdhsa_exception_fp_ieee_overflow 0
		.amdhsa_exception_fp_ieee_underflow 0
		.amdhsa_exception_fp_ieee_inexact 0
		.amdhsa_exception_int_div_zero 0
	.end_amdhsa_kernel
	.section	.text._ZN9rocsparseL19gebsrmvn_2xn_kernelILj128ELj14ELj16E21rocsparse_complex_numIdEEEvi20rocsparse_direction_NS_24const_host_device_scalarIT2_EEPKiS8_PKS5_SA_S6_PS5_21rocsparse_index_base_b,"axG",@progbits,_ZN9rocsparseL19gebsrmvn_2xn_kernelILj128ELj14ELj16E21rocsparse_complex_numIdEEEvi20rocsparse_direction_NS_24const_host_device_scalarIT2_EEPKiS8_PKS5_SA_S6_PS5_21rocsparse_index_base_b,comdat
.Lfunc_end290:
	.size	_ZN9rocsparseL19gebsrmvn_2xn_kernelILj128ELj14ELj16E21rocsparse_complex_numIdEEEvi20rocsparse_direction_NS_24const_host_device_scalarIT2_EEPKiS8_PKS5_SA_S6_PS5_21rocsparse_index_base_b, .Lfunc_end290-_ZN9rocsparseL19gebsrmvn_2xn_kernelILj128ELj14ELj16E21rocsparse_complex_numIdEEEvi20rocsparse_direction_NS_24const_host_device_scalarIT2_EEPKiS8_PKS5_SA_S6_PS5_21rocsparse_index_base_b
                                        ; -- End function
	.set _ZN9rocsparseL19gebsrmvn_2xn_kernelILj128ELj14ELj16E21rocsparse_complex_numIdEEEvi20rocsparse_direction_NS_24const_host_device_scalarIT2_EEPKiS8_PKS5_SA_S6_PS5_21rocsparse_index_base_b.num_vgpr, 58
	.set _ZN9rocsparseL19gebsrmvn_2xn_kernelILj128ELj14ELj16E21rocsparse_complex_numIdEEEvi20rocsparse_direction_NS_24const_host_device_scalarIT2_EEPKiS8_PKS5_SA_S6_PS5_21rocsparse_index_base_b.num_agpr, 0
	.set _ZN9rocsparseL19gebsrmvn_2xn_kernelILj128ELj14ELj16E21rocsparse_complex_numIdEEEvi20rocsparse_direction_NS_24const_host_device_scalarIT2_EEPKiS8_PKS5_SA_S6_PS5_21rocsparse_index_base_b.numbered_sgpr, 16
	.set _ZN9rocsparseL19gebsrmvn_2xn_kernelILj128ELj14ELj16E21rocsparse_complex_numIdEEEvi20rocsparse_direction_NS_24const_host_device_scalarIT2_EEPKiS8_PKS5_SA_S6_PS5_21rocsparse_index_base_b.num_named_barrier, 0
	.set _ZN9rocsparseL19gebsrmvn_2xn_kernelILj128ELj14ELj16E21rocsparse_complex_numIdEEEvi20rocsparse_direction_NS_24const_host_device_scalarIT2_EEPKiS8_PKS5_SA_S6_PS5_21rocsparse_index_base_b.private_seg_size, 0
	.set _ZN9rocsparseL19gebsrmvn_2xn_kernelILj128ELj14ELj16E21rocsparse_complex_numIdEEEvi20rocsparse_direction_NS_24const_host_device_scalarIT2_EEPKiS8_PKS5_SA_S6_PS5_21rocsparse_index_base_b.uses_vcc, 1
	.set _ZN9rocsparseL19gebsrmvn_2xn_kernelILj128ELj14ELj16E21rocsparse_complex_numIdEEEvi20rocsparse_direction_NS_24const_host_device_scalarIT2_EEPKiS8_PKS5_SA_S6_PS5_21rocsparse_index_base_b.uses_flat_scratch, 0
	.set _ZN9rocsparseL19gebsrmvn_2xn_kernelILj128ELj14ELj16E21rocsparse_complex_numIdEEEvi20rocsparse_direction_NS_24const_host_device_scalarIT2_EEPKiS8_PKS5_SA_S6_PS5_21rocsparse_index_base_b.has_dyn_sized_stack, 0
	.set _ZN9rocsparseL19gebsrmvn_2xn_kernelILj128ELj14ELj16E21rocsparse_complex_numIdEEEvi20rocsparse_direction_NS_24const_host_device_scalarIT2_EEPKiS8_PKS5_SA_S6_PS5_21rocsparse_index_base_b.has_recursion, 0
	.set _ZN9rocsparseL19gebsrmvn_2xn_kernelILj128ELj14ELj16E21rocsparse_complex_numIdEEEvi20rocsparse_direction_NS_24const_host_device_scalarIT2_EEPKiS8_PKS5_SA_S6_PS5_21rocsparse_index_base_b.has_indirect_call, 0
	.section	.AMDGPU.csdata,"",@progbits
; Kernel info:
; codeLenInByte = 1956
; TotalNumSgprs: 20
; NumVgprs: 58
; ScratchSize: 0
; MemoryBound: 0
; FloatMode: 240
; IeeeMode: 1
; LDSByteSize: 0 bytes/workgroup (compile time only)
; SGPRBlocks: 2
; VGPRBlocks: 14
; NumSGPRsForWavesPerEU: 20
; NumVGPRsForWavesPerEU: 58
; Occupancy: 4
; WaveLimiterHint : 1
; COMPUTE_PGM_RSRC2:SCRATCH_EN: 0
; COMPUTE_PGM_RSRC2:USER_SGPR: 6
; COMPUTE_PGM_RSRC2:TRAP_HANDLER: 0
; COMPUTE_PGM_RSRC2:TGID_X_EN: 1
; COMPUTE_PGM_RSRC2:TGID_Y_EN: 0
; COMPUTE_PGM_RSRC2:TGID_Z_EN: 0
; COMPUTE_PGM_RSRC2:TIDIG_COMP_CNT: 0
	.section	.text._ZN9rocsparseL19gebsrmvn_2xn_kernelILj128ELj14ELj32E21rocsparse_complex_numIdEEEvi20rocsparse_direction_NS_24const_host_device_scalarIT2_EEPKiS8_PKS5_SA_S6_PS5_21rocsparse_index_base_b,"axG",@progbits,_ZN9rocsparseL19gebsrmvn_2xn_kernelILj128ELj14ELj32E21rocsparse_complex_numIdEEEvi20rocsparse_direction_NS_24const_host_device_scalarIT2_EEPKiS8_PKS5_SA_S6_PS5_21rocsparse_index_base_b,comdat
	.globl	_ZN9rocsparseL19gebsrmvn_2xn_kernelILj128ELj14ELj32E21rocsparse_complex_numIdEEEvi20rocsparse_direction_NS_24const_host_device_scalarIT2_EEPKiS8_PKS5_SA_S6_PS5_21rocsparse_index_base_b ; -- Begin function _ZN9rocsparseL19gebsrmvn_2xn_kernelILj128ELj14ELj32E21rocsparse_complex_numIdEEEvi20rocsparse_direction_NS_24const_host_device_scalarIT2_EEPKiS8_PKS5_SA_S6_PS5_21rocsparse_index_base_b
	.p2align	8
	.type	_ZN9rocsparseL19gebsrmvn_2xn_kernelILj128ELj14ELj32E21rocsparse_complex_numIdEEEvi20rocsparse_direction_NS_24const_host_device_scalarIT2_EEPKiS8_PKS5_SA_S6_PS5_21rocsparse_index_base_b,@function
_ZN9rocsparseL19gebsrmvn_2xn_kernelILj128ELj14ELj32E21rocsparse_complex_numIdEEEvi20rocsparse_direction_NS_24const_host_device_scalarIT2_EEPKiS8_PKS5_SA_S6_PS5_21rocsparse_index_base_b: ; @_ZN9rocsparseL19gebsrmvn_2xn_kernelILj128ELj14ELj32E21rocsparse_complex_numIdEEEvi20rocsparse_direction_NS_24const_host_device_scalarIT2_EEPKiS8_PKS5_SA_S6_PS5_21rocsparse_index_base_b
; %bb.0:
	s_load_dwordx2 s[0:1], s[4:5], 0x8
	s_load_dwordx2 s[8:9], s[4:5], 0x38
	;; [unrolled: 1-line block ×3, first 2 shown]
	s_add_u32 s7, s4, 8
	s_addc_u32 s10, s5, 0
	s_add_u32 s11, s4, 56
	s_addc_u32 s12, s5, 0
	s_waitcnt lgkmcnt(0)
	s_bitcmp1_b32 s3, 0
	s_cselect_b32 s1, s10, s1
	s_cselect_b32 s0, s7, s0
	v_mov_b32_e32 v1, s0
	v_mov_b32_e32 v2, s1
	flat_load_dwordx4 v[1:4], v[1:2]
	s_cselect_b32 s0, s12, s9
	s_cselect_b32 s1, s11, s8
	v_mov_b32_e32 v5, s1
	v_mov_b32_e32 v6, s0
	flat_load_dwordx4 v[5:8], v[5:6]
	s_waitcnt vmcnt(0) lgkmcnt(0)
	v_cmp_eq_f64_e32 vcc, 0, v[1:2]
	v_cmp_eq_f64_e64 s[0:1], 0, v[3:4]
	s_and_b64 s[10:11], vcc, s[0:1]
	s_mov_b64 s[0:1], -1
	s_and_saveexec_b64 s[8:9], s[10:11]
	s_cbranch_execz .LBB291_2
; %bb.1:
	v_cmp_neq_f64_e32 vcc, 1.0, v[5:6]
	v_cmp_neq_f64_e64 s[0:1], 0, v[7:8]
	s_or_b64 s[0:1], vcc, s[0:1]
	s_orn2_b64 s[0:1], s[0:1], exec
.LBB291_2:
	s_or_b64 exec, exec, s[8:9]
	s_and_saveexec_b64 s[8:9], s[0:1]
	s_cbranch_execz .LBB291_25
; %bb.3:
	s_load_dwordx2 s[0:1], s[4:5], 0x0
	v_lshrrev_b32_e32 v9, 5, v0
	v_lshl_or_b32 v9, s6, 2, v9
	s_waitcnt lgkmcnt(0)
	v_cmp_gt_i32_e32 vcc, s0, v9
	s_and_b64 exec, exec, vcc
	s_cbranch_execz .LBB291_25
; %bb.4:
	s_load_dwordx8 s[8:15], s[4:5], 0x18
	v_ashrrev_i32_e32 v10, 31, v9
	v_lshlrev_b64 v[10:11], 2, v[9:10]
	v_and_b32_e32 v0, 31, v0
	s_cmp_lg_u32 s1, 0
	s_waitcnt lgkmcnt(0)
	v_mov_b32_e32 v12, s9
	v_add_co_u32_e32 v10, vcc, s8, v10
	v_addc_co_u32_e32 v11, vcc, v12, v11, vcc
	global_load_dwordx2 v[17:18], v[10:11], off
	s_waitcnt vmcnt(0)
	v_subrev_u32_e32 v10, s2, v17
	v_subrev_u32_e32 v24, s2, v18
	v_add_u32_e32 v16, v10, v0
	v_cmp_lt_i32_e64 s[0:1], v16, v24
	s_cbranch_scc0 .LBB291_12
; %bb.5:
	v_mov_b32_e32 v10, 0
	v_mov_b32_e32 v18, 0
	;; [unrolled: 1-line block ×8, first 2 shown]
	s_and_saveexec_b64 s[6:7], s[0:1]
	s_cbranch_execz .LBB291_11
; %bb.6:
	v_mul_lo_u32 v25, v16, 28
	v_mov_b32_e32 v10, 0
	v_mov_b32_e32 v18, 0
	;; [unrolled: 1-line block ×5, first 2 shown]
	s_mov_b64 s[8:9], 0
	v_mov_b32_e32 v26, s11
	v_mov_b32_e32 v21, 0
	;; [unrolled: 1-line block ×8, first 2 shown]
.LBB291_7:                              ; =>This Loop Header: Depth=1
                                        ;     Child Loop BB291_8 Depth 2
	v_ashrrev_i32_e32 v23, 31, v22
	v_lshlrev_b64 v[29:30], 2, v[22:23]
	s_mov_b32 s3, 0
	v_add_co_u32_e32 v29, vcc, s10, v29
	v_addc_co_u32_e32 v30, vcc, v26, v30, vcc
	global_load_dword v20, v[29:30], off
	s_waitcnt vmcnt(0)
	v_subrev_u32_e32 v20, s2, v20
	v_mul_lo_u32 v23, v20, 14
	v_mov_b32_e32 v20, v25
.LBB291_8:                              ;   Parent Loop BB291_7 Depth=1
                                        ; =>  This Inner Loop Header: Depth=2
	v_lshlrev_b64 v[29:30], 4, v[20:21]
	v_add_u32_e32 v31, s3, v23
	v_mov_b32_e32 v32, v21
	v_lshlrev_b64 v[36:37], 4, v[31:32]
	v_add_co_u32_e32 v53, vcc, s12, v29
	v_addc_co_u32_e32 v54, vcc, v27, v30, vcc
	v_add_co_u32_e32 v55, vcc, s14, v36
	global_load_dwordx4 v[29:32], v[53:54], off offset:16
	global_load_dwordx4 v[33:36], v[53:54], off
	v_addc_co_u32_e32 v56, vcc, v28, v37, vcc
	global_load_dwordx4 v[37:40], v[55:56], off
	global_load_dwordx4 v[41:44], v[53:54], off offset:32
	global_load_dwordx4 v[45:48], v[53:54], off offset:48
	;; [unrolled: 1-line block ×3, first 2 shown]
	s_add_i32 s3, s3, 2
	s_cmp_eq_u32 s3, 14
	v_add_u32_e32 v20, 4, v20
	s_waitcnt vmcnt(3)
	v_fma_f64 v[14:15], v[29:30], v[37:38], v[14:15]
	v_fma_f64 v[18:19], v[33:34], v[37:38], v[18:19]
	;; [unrolled: 1-line block ×4, first 2 shown]
	v_fma_f64 v[14:15], -v[31:32], v[39:40], v[14:15]
	v_fma_f64 v[18:19], -v[35:36], v[39:40], v[18:19]
	v_fma_f64 v[10:11], v[33:34], v[39:40], v[10:11]
	v_fma_f64 v[12:13], v[29:30], v[39:40], v[12:13]
	s_waitcnt vmcnt(0)
	v_fma_f64 v[14:15], v[45:46], v[49:50], v[14:15]
	v_fma_f64 v[18:19], v[41:42], v[49:50], v[18:19]
	v_fma_f64 v[10:11], v[43:44], v[49:50], v[10:11]
	v_fma_f64 v[12:13], v[47:48], v[49:50], v[12:13]
	v_fma_f64 v[14:15], -v[47:48], v[51:52], v[14:15]
	v_fma_f64 v[18:19], -v[43:44], v[51:52], v[18:19]
	v_fma_f64 v[10:11], v[41:42], v[51:52], v[10:11]
	v_fma_f64 v[12:13], v[45:46], v[51:52], v[12:13]
	s_cbranch_scc0 .LBB291_8
; %bb.9:                                ;   in Loop: Header=BB291_7 Depth=1
	v_add_u32_e32 v22, 32, v22
	v_cmp_ge_i32_e32 vcc, v22, v24
	s_or_b64 s[8:9], vcc, s[8:9]
	v_add_u32_e32 v25, 0x380, v25
	s_andn2_b64 exec, exec, s[8:9]
	s_cbranch_execnz .LBB291_7
; %bb.10:
	s_or_b64 exec, exec, s[8:9]
.LBB291_11:
	s_or_b64 exec, exec, s[6:7]
	s_cbranch_execz .LBB291_13
	s_branch .LBB291_20
.LBB291_12:
                                        ; implicit-def: $vgpr10_vgpr11
                                        ; implicit-def: $vgpr18_vgpr19
                                        ; implicit-def: $vgpr14_vgpr15
                                        ; implicit-def: $vgpr12_vgpr13
.LBB291_13:
	v_mov_b32_e32 v10, 0
	v_mov_b32_e32 v18, 0
	;; [unrolled: 1-line block ×8, first 2 shown]
	s_and_saveexec_b64 s[6:7], s[0:1]
	s_cbranch_execz .LBB291_19
; %bb.14:
	v_mul_lo_u32 v12, v17, 28
	v_mul_lo_u32 v22, v16, 28
	s_mul_i32 s0, s2, 28
	v_mov_b32_e32 v10, 0
	v_mad_u32_u24 v12, v0, 28, v12
	v_subrev_u32_e32 v23, s0, v12
	v_mov_b32_e32 v18, 0
	v_mov_b32_e32 v14, 0
	;; [unrolled: 1-line block ×4, first 2 shown]
	s_mov_b64 s[0:1], 0
	v_mov_b32_e32 v25, s11
	v_mov_b32_e32 v21, 0
	;; [unrolled: 1-line block ×7, first 2 shown]
.LBB291_15:                             ; =>This Loop Header: Depth=1
                                        ;     Child Loop BB291_16 Depth 2
	v_ashrrev_i32_e32 v17, 31, v16
	v_lshlrev_b64 v[28:29], 2, v[16:17]
	s_mov_b32 s3, 0
	v_add_co_u32_e32 v28, vcc, s10, v28
	v_addc_co_u32_e32 v29, vcc, v25, v29, vcc
	global_load_dword v17, v[28:29], off
	s_waitcnt vmcnt(0)
	v_subrev_u32_e32 v17, s2, v17
	v_mul_lo_u32 v17, v17, 14
.LBB291_16:                             ;   Parent Loop BB291_15 Depth=1
                                        ; =>  This Inner Loop Header: Depth=2
	v_add_u32_e32 v20, s3, v23
	v_lshlrev_b64 v[28:29], 4, v[20:21]
	v_add_u32_e32 v20, s3, v17
	v_lshlrev_b64 v[32:33], 4, v[20:21]
	v_add_co_u32_e32 v52, vcc, s12, v28
	v_addc_co_u32_e32 v53, vcc, v26, v29, vcc
	v_add3_u32 v20, v22, s3, 14
	v_add_co_u32_e32 v54, vcc, s14, v32
	v_lshlrev_b64 v[36:37], 4, v[20:21]
	v_addc_co_u32_e32 v55, vcc, v27, v33, vcc
	global_load_dwordx4 v[28:31], v[52:53], off
	global_load_dwordx4 v[32:35], v[54:55], off
	v_add_co_u32_e32 v56, vcc, s12, v36
	v_addc_co_u32_e32 v57, vcc, v26, v37, vcc
	global_load_dwordx4 v[36:39], v[56:57], off
	global_load_dwordx4 v[40:43], v[52:53], off offset:16
	global_load_dwordx4 v[44:47], v[54:55], off offset:16
	global_load_dwordx4 v[48:51], v[56:57], off offset:16
	s_add_i32 s3, s3, 2
	s_cmp_eq_u32 s3, 14
	s_waitcnt vmcnt(4)
	v_fma_f64 v[18:19], v[28:29], v[32:33], v[18:19]
	v_fma_f64 v[10:11], v[30:31], v[32:33], v[10:11]
	s_waitcnt vmcnt(3)
	v_fma_f64 v[14:15], v[36:37], v[32:33], v[14:15]
	v_fma_f64 v[12:13], v[38:39], v[32:33], v[12:13]
	v_fma_f64 v[18:19], -v[30:31], v[34:35], v[18:19]
	v_fma_f64 v[10:11], v[28:29], v[34:35], v[10:11]
	v_fma_f64 v[14:15], -v[38:39], v[34:35], v[14:15]
	v_fma_f64 v[12:13], v[36:37], v[34:35], v[12:13]
	s_waitcnt vmcnt(1)
	v_fma_f64 v[18:19], v[40:41], v[44:45], v[18:19]
	v_fma_f64 v[10:11], v[42:43], v[44:45], v[10:11]
	s_waitcnt vmcnt(0)
	v_fma_f64 v[14:15], v[48:49], v[44:45], v[14:15]
	v_fma_f64 v[12:13], v[50:51], v[44:45], v[12:13]
	v_fma_f64 v[18:19], -v[42:43], v[46:47], v[18:19]
	v_fma_f64 v[10:11], v[40:41], v[46:47], v[10:11]
	v_fma_f64 v[14:15], -v[50:51], v[46:47], v[14:15]
	v_fma_f64 v[12:13], v[48:49], v[46:47], v[12:13]
	s_cbranch_scc0 .LBB291_16
; %bb.17:                               ;   in Loop: Header=BB291_15 Depth=1
	v_add_u32_e32 v16, 32, v16
	v_cmp_ge_i32_e32 vcc, v16, v24
	v_add_u32_e32 v22, 0x380, v22
	s_or_b64 s[0:1], vcc, s[0:1]
	v_add_u32_e32 v23, 0x380, v23
	s_andn2_b64 exec, exec, s[0:1]
	s_cbranch_execnz .LBB291_15
; %bb.18:
	s_or_b64 exec, exec, s[0:1]
.LBB291_19:
	s_or_b64 exec, exec, s[6:7]
.LBB291_20:
	v_mov_b32_dpp v16, v18 row_shr:1 row_mask:0xf bank_mask:0xf
	v_mov_b32_dpp v17, v19 row_shr:1 row_mask:0xf bank_mask:0xf
	v_add_f64 v[16:17], v[18:19], v[16:17]
	v_mov_b32_dpp v18, v10 row_shr:1 row_mask:0xf bank_mask:0xf
	v_mov_b32_dpp v19, v11 row_shr:1 row_mask:0xf bank_mask:0xf
	v_add_f64 v[10:11], v[10:11], v[18:19]
	;; [unrolled: 3-line block ×3, first 2 shown]
	v_cmp_eq_u32_e32 vcc, 31, v0
	v_mov_b32_dpp v18, v16 row_shr:2 row_mask:0xf bank_mask:0xf
	v_mov_b32_dpp v19, v17 row_shr:2 row_mask:0xf bank_mask:0xf
	v_add_f64 v[16:17], v[16:17], v[18:19]
	v_mov_b32_dpp v18, v12 row_shr:1 row_mask:0xf bank_mask:0xf
	v_mov_b32_dpp v19, v13 row_shr:1 row_mask:0xf bank_mask:0xf
	v_add_f64 v[12:13], v[12:13], v[18:19]
	v_mov_b32_dpp v18, v10 row_shr:2 row_mask:0xf bank_mask:0xf
	v_mov_b32_dpp v19, v11 row_shr:2 row_mask:0xf bank_mask:0xf
	v_add_f64 v[10:11], v[10:11], v[18:19]
	v_mov_b32_dpp v20, v16 row_shr:4 row_mask:0xf bank_mask:0xe
	v_mov_b32_dpp v21, v17 row_shr:4 row_mask:0xf bank_mask:0xe
	v_add_f64 v[16:17], v[16:17], v[20:21]
	v_mov_b32_dpp v20, v14 row_shr:2 row_mask:0xf bank_mask:0xf
	v_mov_b32_dpp v21, v15 row_shr:2 row_mask:0xf bank_mask:0xf
	;; [unrolled: 1-line block ×3, first 2 shown]
	v_add_f64 v[14:15], v[14:15], v[20:21]
	v_mov_b32_dpp v19, v13 row_shr:2 row_mask:0xf bank_mask:0xf
	v_add_f64 v[12:13], v[12:13], v[18:19]
	v_mov_b32_dpp v20, v10 row_shr:4 row_mask:0xf bank_mask:0xe
	v_mov_b32_dpp v21, v11 row_shr:4 row_mask:0xf bank_mask:0xe
	v_add_f64 v[20:21], v[10:11], v[20:21]
	v_mov_b32_dpp v18, v16 row_shr:8 row_mask:0xf bank_mask:0xc
	v_mov_b32_dpp v19, v17 row_shr:8 row_mask:0xf bank_mask:0xc
	;; [unrolled: 1-line block ×4, first 2 shown]
	v_add_f64 v[14:15], v[14:15], v[10:11]
	v_mov_b32_dpp v10, v12 row_shr:4 row_mask:0xf bank_mask:0xe
	v_mov_b32_dpp v11, v13 row_shr:4 row_mask:0xf bank_mask:0xe
	v_add_f64 v[22:23], v[12:13], v[10:11]
	v_add_f64 v[10:11], v[16:17], v[18:19]
	v_mov_b32_dpp v12, v20 row_shr:8 row_mask:0xf bank_mask:0xc
	v_mov_b32_dpp v13, v21 row_shr:8 row_mask:0xf bank_mask:0xc
	v_add_f64 v[12:13], v[20:21], v[12:13]
	v_mov_b32_dpp v16, v14 row_shr:8 row_mask:0xf bank_mask:0xc
	v_mov_b32_dpp v17, v15 row_shr:8 row_mask:0xf bank_mask:0xc
	v_add_f64 v[18:19], v[14:15], v[16:17]
	v_mov_b32_dpp v14, v22 row_shr:8 row_mask:0xf bank_mask:0xc
	v_mov_b32_dpp v15, v23 row_shr:8 row_mask:0xf bank_mask:0xc
	v_add_f64 v[14:15], v[22:23], v[14:15]
	v_mov_b32_dpp v24, v10 row_bcast:15 row_mask:0xa bank_mask:0xf
	v_mov_b32_dpp v25, v11 row_bcast:15 row_mask:0xa bank_mask:0xf
	;; [unrolled: 1-line block ×8, first 2 shown]
	s_and_b64 exec, exec, vcc
	s_cbranch_execz .LBB291_25
; %bb.21:
	v_cmp_eq_f64_e32 vcc, 0, v[5:6]
	v_cmp_eq_f64_e64 s[0:1], 0, v[7:8]
	v_add_f64 v[10:11], v[10:11], v[24:25]
	v_add_f64 v[16:17], v[12:13], v[16:17]
	;; [unrolled: 1-line block ×4, first 2 shown]
	s_load_dwordx2 s[2:3], s[4:5], 0x48
	s_and_b64 s[0:1], vcc, s[0:1]
	s_and_saveexec_b64 s[4:5], s[0:1]
	s_xor_b64 s[0:1], exec, s[4:5]
	s_cbranch_execz .LBB291_23
; %bb.22:
	v_mul_f64 v[5:6], v[16:17], -v[3:4]
	v_mul_f64 v[7:8], v[1:2], v[16:17]
	v_mul_f64 v[16:17], v[14:15], -v[3:4]
	v_mul_f64 v[14:15], v[1:2], v[14:15]
	v_lshlrev_b32_e32 v9, 1, v9
	s_waitcnt lgkmcnt(0)
	v_mov_b32_e32 v18, s3
	v_fma_f64 v[5:6], v[1:2], v[10:11], v[5:6]
	v_fma_f64 v[7:8], v[3:4], v[10:11], v[7:8]
	v_fma_f64 v[0:1], v[1:2], v[12:13], v[16:17]
	v_fma_f64 v[2:3], v[3:4], v[12:13], v[14:15]
	v_ashrrev_i32_e32 v10, 31, v9
	v_lshlrev_b64 v[9:10], 4, v[9:10]
                                        ; implicit-def: $vgpr16_vgpr17
                                        ; implicit-def: $vgpr12_vgpr13
                                        ; implicit-def: $vgpr14_vgpr15
	v_add_co_u32_e32 v9, vcc, s2, v9
	v_addc_co_u32_e32 v10, vcc, v18, v10, vcc
	global_store_dwordx4 v[9:10], v[5:8], off
	global_store_dwordx4 v[9:10], v[0:3], off offset:16
                                        ; implicit-def: $vgpr9
                                        ; implicit-def: $vgpr10_vgpr11
                                        ; implicit-def: $vgpr7_vgpr8
                                        ; implicit-def: $vgpr3_vgpr4
.LBB291_23:
	s_andn2_saveexec_b64 s[0:1], s[0:1]
	s_cbranch_execz .LBB291_25
; %bb.24:
	v_lshlrev_b32_e32 v18, 1, v9
	v_ashrrev_i32_e32 v19, 31, v18
	v_lshlrev_b64 v[18:19], 4, v[18:19]
	s_waitcnt lgkmcnt(0)
	v_mov_b32_e32 v0, s3
	v_add_co_u32_e32 v26, vcc, s2, v18
	v_addc_co_u32_e32 v27, vcc, v0, v19, vcc
	global_load_dwordx4 v[18:21], v[26:27], off
	global_load_dwordx4 v[22:25], v[26:27], off offset:16
	v_mul_f64 v[28:29], v[16:17], -v[3:4]
	v_mul_f64 v[16:17], v[1:2], v[16:17]
	v_mul_f64 v[30:31], v[14:15], -v[3:4]
	v_mul_f64 v[14:15], v[1:2], v[14:15]
	v_fma_f64 v[28:29], v[1:2], v[10:11], v[28:29]
	v_fma_f64 v[9:10], v[3:4], v[10:11], v[16:17]
	;; [unrolled: 1-line block ×4, first 2 shown]
	s_waitcnt vmcnt(1)
	v_fma_f64 v[11:12], v[5:6], v[18:19], v[28:29]
	v_fma_f64 v[9:10], v[7:8], v[18:19], v[9:10]
	s_waitcnt vmcnt(0)
	v_fma_f64 v[13:14], v[5:6], v[22:23], v[0:1]
	v_fma_f64 v[15:16], v[7:8], v[22:23], v[2:3]
	v_fma_f64 v[0:1], -v[7:8], v[20:21], v[11:12]
	v_fma_f64 v[2:3], v[5:6], v[20:21], v[9:10]
	v_fma_f64 v[7:8], -v[7:8], v[24:25], v[13:14]
	v_fma_f64 v[9:10], v[5:6], v[24:25], v[15:16]
	global_store_dwordx4 v[26:27], v[0:3], off
	global_store_dwordx4 v[26:27], v[7:10], off offset:16
.LBB291_25:
	s_endpgm
	.section	.rodata,"a",@progbits
	.p2align	6, 0x0
	.amdhsa_kernel _ZN9rocsparseL19gebsrmvn_2xn_kernelILj128ELj14ELj32E21rocsparse_complex_numIdEEEvi20rocsparse_direction_NS_24const_host_device_scalarIT2_EEPKiS8_PKS5_SA_S6_PS5_21rocsparse_index_base_b
		.amdhsa_group_segment_fixed_size 0
		.amdhsa_private_segment_fixed_size 0
		.amdhsa_kernarg_size 88
		.amdhsa_user_sgpr_count 6
		.amdhsa_user_sgpr_private_segment_buffer 1
		.amdhsa_user_sgpr_dispatch_ptr 0
		.amdhsa_user_sgpr_queue_ptr 0
		.amdhsa_user_sgpr_kernarg_segment_ptr 1
		.amdhsa_user_sgpr_dispatch_id 0
		.amdhsa_user_sgpr_flat_scratch_init 0
		.amdhsa_user_sgpr_private_segment_size 0
		.amdhsa_uses_dynamic_stack 0
		.amdhsa_system_sgpr_private_segment_wavefront_offset 0
		.amdhsa_system_sgpr_workgroup_id_x 1
		.amdhsa_system_sgpr_workgroup_id_y 0
		.amdhsa_system_sgpr_workgroup_id_z 0
		.amdhsa_system_sgpr_workgroup_info 0
		.amdhsa_system_vgpr_workitem_id 0
		.amdhsa_next_free_vgpr 58
		.amdhsa_next_free_sgpr 16
		.amdhsa_reserve_vcc 1
		.amdhsa_reserve_flat_scratch 0
		.amdhsa_float_round_mode_32 0
		.amdhsa_float_round_mode_16_64 0
		.amdhsa_float_denorm_mode_32 3
		.amdhsa_float_denorm_mode_16_64 3
		.amdhsa_dx10_clamp 1
		.amdhsa_ieee_mode 1
		.amdhsa_fp16_overflow 0
		.amdhsa_exception_fp_ieee_invalid_op 0
		.amdhsa_exception_fp_denorm_src 0
		.amdhsa_exception_fp_ieee_div_zero 0
		.amdhsa_exception_fp_ieee_overflow 0
		.amdhsa_exception_fp_ieee_underflow 0
		.amdhsa_exception_fp_ieee_inexact 0
		.amdhsa_exception_int_div_zero 0
	.end_amdhsa_kernel
	.section	.text._ZN9rocsparseL19gebsrmvn_2xn_kernelILj128ELj14ELj32E21rocsparse_complex_numIdEEEvi20rocsparse_direction_NS_24const_host_device_scalarIT2_EEPKiS8_PKS5_SA_S6_PS5_21rocsparse_index_base_b,"axG",@progbits,_ZN9rocsparseL19gebsrmvn_2xn_kernelILj128ELj14ELj32E21rocsparse_complex_numIdEEEvi20rocsparse_direction_NS_24const_host_device_scalarIT2_EEPKiS8_PKS5_SA_S6_PS5_21rocsparse_index_base_b,comdat
.Lfunc_end291:
	.size	_ZN9rocsparseL19gebsrmvn_2xn_kernelILj128ELj14ELj32E21rocsparse_complex_numIdEEEvi20rocsparse_direction_NS_24const_host_device_scalarIT2_EEPKiS8_PKS5_SA_S6_PS5_21rocsparse_index_base_b, .Lfunc_end291-_ZN9rocsparseL19gebsrmvn_2xn_kernelILj128ELj14ELj32E21rocsparse_complex_numIdEEEvi20rocsparse_direction_NS_24const_host_device_scalarIT2_EEPKiS8_PKS5_SA_S6_PS5_21rocsparse_index_base_b
                                        ; -- End function
	.set _ZN9rocsparseL19gebsrmvn_2xn_kernelILj128ELj14ELj32E21rocsparse_complex_numIdEEEvi20rocsparse_direction_NS_24const_host_device_scalarIT2_EEPKiS8_PKS5_SA_S6_PS5_21rocsparse_index_base_b.num_vgpr, 58
	.set _ZN9rocsparseL19gebsrmvn_2xn_kernelILj128ELj14ELj32E21rocsparse_complex_numIdEEEvi20rocsparse_direction_NS_24const_host_device_scalarIT2_EEPKiS8_PKS5_SA_S6_PS5_21rocsparse_index_base_b.num_agpr, 0
	.set _ZN9rocsparseL19gebsrmvn_2xn_kernelILj128ELj14ELj32E21rocsparse_complex_numIdEEEvi20rocsparse_direction_NS_24const_host_device_scalarIT2_EEPKiS8_PKS5_SA_S6_PS5_21rocsparse_index_base_b.numbered_sgpr, 16
	.set _ZN9rocsparseL19gebsrmvn_2xn_kernelILj128ELj14ELj32E21rocsparse_complex_numIdEEEvi20rocsparse_direction_NS_24const_host_device_scalarIT2_EEPKiS8_PKS5_SA_S6_PS5_21rocsparse_index_base_b.num_named_barrier, 0
	.set _ZN9rocsparseL19gebsrmvn_2xn_kernelILj128ELj14ELj32E21rocsparse_complex_numIdEEEvi20rocsparse_direction_NS_24const_host_device_scalarIT2_EEPKiS8_PKS5_SA_S6_PS5_21rocsparse_index_base_b.private_seg_size, 0
	.set _ZN9rocsparseL19gebsrmvn_2xn_kernelILj128ELj14ELj32E21rocsparse_complex_numIdEEEvi20rocsparse_direction_NS_24const_host_device_scalarIT2_EEPKiS8_PKS5_SA_S6_PS5_21rocsparse_index_base_b.uses_vcc, 1
	.set _ZN9rocsparseL19gebsrmvn_2xn_kernelILj128ELj14ELj32E21rocsparse_complex_numIdEEEvi20rocsparse_direction_NS_24const_host_device_scalarIT2_EEPKiS8_PKS5_SA_S6_PS5_21rocsparse_index_base_b.uses_flat_scratch, 0
	.set _ZN9rocsparseL19gebsrmvn_2xn_kernelILj128ELj14ELj32E21rocsparse_complex_numIdEEEvi20rocsparse_direction_NS_24const_host_device_scalarIT2_EEPKiS8_PKS5_SA_S6_PS5_21rocsparse_index_base_b.has_dyn_sized_stack, 0
	.set _ZN9rocsparseL19gebsrmvn_2xn_kernelILj128ELj14ELj32E21rocsparse_complex_numIdEEEvi20rocsparse_direction_NS_24const_host_device_scalarIT2_EEPKiS8_PKS5_SA_S6_PS5_21rocsparse_index_base_b.has_recursion, 0
	.set _ZN9rocsparseL19gebsrmvn_2xn_kernelILj128ELj14ELj32E21rocsparse_complex_numIdEEEvi20rocsparse_direction_NS_24const_host_device_scalarIT2_EEPKiS8_PKS5_SA_S6_PS5_21rocsparse_index_base_b.has_indirect_call, 0
	.section	.AMDGPU.csdata,"",@progbits
; Kernel info:
; codeLenInByte = 2052
; TotalNumSgprs: 20
; NumVgprs: 58
; ScratchSize: 0
; MemoryBound: 0
; FloatMode: 240
; IeeeMode: 1
; LDSByteSize: 0 bytes/workgroup (compile time only)
; SGPRBlocks: 2
; VGPRBlocks: 14
; NumSGPRsForWavesPerEU: 20
; NumVGPRsForWavesPerEU: 58
; Occupancy: 4
; WaveLimiterHint : 1
; COMPUTE_PGM_RSRC2:SCRATCH_EN: 0
; COMPUTE_PGM_RSRC2:USER_SGPR: 6
; COMPUTE_PGM_RSRC2:TRAP_HANDLER: 0
; COMPUTE_PGM_RSRC2:TGID_X_EN: 1
; COMPUTE_PGM_RSRC2:TGID_Y_EN: 0
; COMPUTE_PGM_RSRC2:TGID_Z_EN: 0
; COMPUTE_PGM_RSRC2:TIDIG_COMP_CNT: 0
	.section	.text._ZN9rocsparseL19gebsrmvn_2xn_kernelILj128ELj14ELj64E21rocsparse_complex_numIdEEEvi20rocsparse_direction_NS_24const_host_device_scalarIT2_EEPKiS8_PKS5_SA_S6_PS5_21rocsparse_index_base_b,"axG",@progbits,_ZN9rocsparseL19gebsrmvn_2xn_kernelILj128ELj14ELj64E21rocsparse_complex_numIdEEEvi20rocsparse_direction_NS_24const_host_device_scalarIT2_EEPKiS8_PKS5_SA_S6_PS5_21rocsparse_index_base_b,comdat
	.globl	_ZN9rocsparseL19gebsrmvn_2xn_kernelILj128ELj14ELj64E21rocsparse_complex_numIdEEEvi20rocsparse_direction_NS_24const_host_device_scalarIT2_EEPKiS8_PKS5_SA_S6_PS5_21rocsparse_index_base_b ; -- Begin function _ZN9rocsparseL19gebsrmvn_2xn_kernelILj128ELj14ELj64E21rocsparse_complex_numIdEEEvi20rocsparse_direction_NS_24const_host_device_scalarIT2_EEPKiS8_PKS5_SA_S6_PS5_21rocsparse_index_base_b
	.p2align	8
	.type	_ZN9rocsparseL19gebsrmvn_2xn_kernelILj128ELj14ELj64E21rocsparse_complex_numIdEEEvi20rocsparse_direction_NS_24const_host_device_scalarIT2_EEPKiS8_PKS5_SA_S6_PS5_21rocsparse_index_base_b,@function
_ZN9rocsparseL19gebsrmvn_2xn_kernelILj128ELj14ELj64E21rocsparse_complex_numIdEEEvi20rocsparse_direction_NS_24const_host_device_scalarIT2_EEPKiS8_PKS5_SA_S6_PS5_21rocsparse_index_base_b: ; @_ZN9rocsparseL19gebsrmvn_2xn_kernelILj128ELj14ELj64E21rocsparse_complex_numIdEEEvi20rocsparse_direction_NS_24const_host_device_scalarIT2_EEPKiS8_PKS5_SA_S6_PS5_21rocsparse_index_base_b
; %bb.0:
	s_load_dwordx2 s[0:1], s[4:5], 0x8
	s_load_dwordx2 s[8:9], s[4:5], 0x38
	;; [unrolled: 1-line block ×3, first 2 shown]
	s_add_u32 s7, s4, 8
	s_addc_u32 s10, s5, 0
	s_add_u32 s11, s4, 56
	s_addc_u32 s12, s5, 0
	s_waitcnt lgkmcnt(0)
	s_bitcmp1_b32 s3, 0
	s_cselect_b32 s1, s10, s1
	s_cselect_b32 s0, s7, s0
	v_mov_b32_e32 v1, s0
	v_mov_b32_e32 v2, s1
	flat_load_dwordx4 v[1:4], v[1:2]
	s_cselect_b32 s0, s12, s9
	s_cselect_b32 s1, s11, s8
	v_mov_b32_e32 v5, s1
	v_mov_b32_e32 v6, s0
	flat_load_dwordx4 v[5:8], v[5:6]
	s_waitcnt vmcnt(0) lgkmcnt(0)
	v_cmp_eq_f64_e32 vcc, 0, v[1:2]
	v_cmp_eq_f64_e64 s[0:1], 0, v[3:4]
	s_and_b64 s[10:11], vcc, s[0:1]
	s_mov_b64 s[0:1], -1
	s_and_saveexec_b64 s[8:9], s[10:11]
	s_cbranch_execz .LBB292_2
; %bb.1:
	v_cmp_neq_f64_e32 vcc, 1.0, v[5:6]
	v_cmp_neq_f64_e64 s[0:1], 0, v[7:8]
	s_or_b64 s[0:1], vcc, s[0:1]
	s_orn2_b64 s[0:1], s[0:1], exec
.LBB292_2:
	s_or_b64 exec, exec, s[8:9]
	s_and_saveexec_b64 s[8:9], s[0:1]
	s_cbranch_execz .LBB292_25
; %bb.3:
	s_load_dwordx2 s[0:1], s[4:5], 0x0
	v_lshrrev_b32_e32 v9, 6, v0
	v_lshl_or_b32 v9, s6, 1, v9
	s_waitcnt lgkmcnt(0)
	v_cmp_gt_i32_e32 vcc, s0, v9
	s_and_b64 exec, exec, vcc
	s_cbranch_execz .LBB292_25
; %bb.4:
	s_load_dwordx8 s[8:15], s[4:5], 0x18
	v_ashrrev_i32_e32 v10, 31, v9
	v_lshlrev_b64 v[10:11], 2, v[9:10]
	v_and_b32_e32 v0, 63, v0
	s_cmp_lg_u32 s1, 0
	s_waitcnt lgkmcnt(0)
	v_mov_b32_e32 v12, s9
	v_add_co_u32_e32 v10, vcc, s8, v10
	v_addc_co_u32_e32 v11, vcc, v12, v11, vcc
	global_load_dwordx2 v[17:18], v[10:11], off
	s_waitcnt vmcnt(0)
	v_subrev_u32_e32 v10, s2, v17
	v_subrev_u32_e32 v24, s2, v18
	v_add_u32_e32 v16, v10, v0
	v_cmp_lt_i32_e64 s[0:1], v16, v24
	s_cbranch_scc0 .LBB292_12
; %bb.5:
	v_mov_b32_e32 v14, 0
	v_mov_b32_e32 v18, 0
	;; [unrolled: 1-line block ×8, first 2 shown]
	s_and_saveexec_b64 s[6:7], s[0:1]
	s_cbranch_execz .LBB292_11
; %bb.6:
	v_mul_lo_u32 v25, v16, 28
	v_mov_b32_e32 v14, 0
	v_mov_b32_e32 v18, 0
	;; [unrolled: 1-line block ×5, first 2 shown]
	s_mov_b64 s[8:9], 0
	v_mov_b32_e32 v26, s11
	v_mov_b32_e32 v21, 0
	;; [unrolled: 1-line block ×8, first 2 shown]
.LBB292_7:                              ; =>This Loop Header: Depth=1
                                        ;     Child Loop BB292_8 Depth 2
	v_ashrrev_i32_e32 v23, 31, v22
	v_lshlrev_b64 v[29:30], 2, v[22:23]
	s_mov_b32 s3, 0
	v_add_co_u32_e32 v29, vcc, s10, v29
	v_addc_co_u32_e32 v30, vcc, v26, v30, vcc
	global_load_dword v20, v[29:30], off
	s_waitcnt vmcnt(0)
	v_subrev_u32_e32 v20, s2, v20
	v_mul_lo_u32 v23, v20, 14
	v_mov_b32_e32 v20, v25
.LBB292_8:                              ;   Parent Loop BB292_7 Depth=1
                                        ; =>  This Inner Loop Header: Depth=2
	v_lshlrev_b64 v[29:30], 4, v[20:21]
	v_add_u32_e32 v31, s3, v23
	v_mov_b32_e32 v32, v21
	v_lshlrev_b64 v[36:37], 4, v[31:32]
	v_add_co_u32_e32 v53, vcc, s12, v29
	v_addc_co_u32_e32 v54, vcc, v27, v30, vcc
	v_add_co_u32_e32 v55, vcc, s14, v36
	global_load_dwordx4 v[29:32], v[53:54], off offset:16
	global_load_dwordx4 v[33:36], v[53:54], off
	v_addc_co_u32_e32 v56, vcc, v28, v37, vcc
	global_load_dwordx4 v[37:40], v[55:56], off
	global_load_dwordx4 v[41:44], v[53:54], off offset:32
	global_load_dwordx4 v[45:48], v[53:54], off offset:48
	;; [unrolled: 1-line block ×3, first 2 shown]
	s_add_i32 s3, s3, 2
	s_cmp_eq_u32 s3, 14
	v_add_u32_e32 v20, 4, v20
	s_waitcnt vmcnt(3)
	v_fma_f64 v[12:13], v[29:30], v[37:38], v[12:13]
	v_fma_f64 v[18:19], v[33:34], v[37:38], v[18:19]
	;; [unrolled: 1-line block ×4, first 2 shown]
	v_fma_f64 v[12:13], -v[31:32], v[39:40], v[12:13]
	v_fma_f64 v[18:19], -v[35:36], v[39:40], v[18:19]
	v_fma_f64 v[14:15], v[33:34], v[39:40], v[14:15]
	v_fma_f64 v[10:11], v[29:30], v[39:40], v[10:11]
	s_waitcnt vmcnt(0)
	v_fma_f64 v[12:13], v[45:46], v[49:50], v[12:13]
	v_fma_f64 v[18:19], v[41:42], v[49:50], v[18:19]
	;; [unrolled: 1-line block ×4, first 2 shown]
	v_fma_f64 v[12:13], -v[47:48], v[51:52], v[12:13]
	v_fma_f64 v[18:19], -v[43:44], v[51:52], v[18:19]
	v_fma_f64 v[14:15], v[41:42], v[51:52], v[14:15]
	v_fma_f64 v[10:11], v[45:46], v[51:52], v[10:11]
	s_cbranch_scc0 .LBB292_8
; %bb.9:                                ;   in Loop: Header=BB292_7 Depth=1
	v_add_u32_e32 v22, 64, v22
	v_cmp_ge_i32_e32 vcc, v22, v24
	s_or_b64 s[8:9], vcc, s[8:9]
	v_add_u32_e32 v25, 0x700, v25
	s_andn2_b64 exec, exec, s[8:9]
	s_cbranch_execnz .LBB292_7
; %bb.10:
	s_or_b64 exec, exec, s[8:9]
.LBB292_11:
	s_or_b64 exec, exec, s[6:7]
	s_cbranch_execz .LBB292_13
	s_branch .LBB292_20
.LBB292_12:
                                        ; implicit-def: $vgpr14_vgpr15
                                        ; implicit-def: $vgpr18_vgpr19
                                        ; implicit-def: $vgpr12_vgpr13
                                        ; implicit-def: $vgpr10_vgpr11
.LBB292_13:
	v_mov_b32_e32 v14, 0
	v_mov_b32_e32 v18, 0
	;; [unrolled: 1-line block ×8, first 2 shown]
	s_and_saveexec_b64 s[6:7], s[0:1]
	s_cbranch_execz .LBB292_19
; %bb.14:
	v_mul_lo_u32 v10, v17, 28
	v_mul_lo_u32 v22, v16, 28
	s_mul_i32 s0, s2, 28
	v_mov_b32_e32 v14, 0
	v_mad_u32_u24 v10, v0, 28, v10
	v_subrev_u32_e32 v23, s0, v10
	v_mov_b32_e32 v18, 0
	v_mov_b32_e32 v12, 0
	;; [unrolled: 1-line block ×4, first 2 shown]
	s_mov_b64 s[0:1], 0
	v_mov_b32_e32 v25, s11
	v_mov_b32_e32 v21, 0
	;; [unrolled: 1-line block ×7, first 2 shown]
.LBB292_15:                             ; =>This Loop Header: Depth=1
                                        ;     Child Loop BB292_16 Depth 2
	v_ashrrev_i32_e32 v17, 31, v16
	v_lshlrev_b64 v[28:29], 2, v[16:17]
	s_mov_b32 s3, 0
	v_add_co_u32_e32 v28, vcc, s10, v28
	v_addc_co_u32_e32 v29, vcc, v25, v29, vcc
	global_load_dword v17, v[28:29], off
	s_waitcnt vmcnt(0)
	v_subrev_u32_e32 v17, s2, v17
	v_mul_lo_u32 v17, v17, 14
.LBB292_16:                             ;   Parent Loop BB292_15 Depth=1
                                        ; =>  This Inner Loop Header: Depth=2
	v_add_u32_e32 v20, s3, v23
	v_lshlrev_b64 v[28:29], 4, v[20:21]
	v_add_u32_e32 v20, s3, v17
	v_lshlrev_b64 v[32:33], 4, v[20:21]
	v_add_co_u32_e32 v52, vcc, s12, v28
	v_addc_co_u32_e32 v53, vcc, v26, v29, vcc
	v_add3_u32 v20, v22, s3, 14
	v_add_co_u32_e32 v54, vcc, s14, v32
	v_lshlrev_b64 v[36:37], 4, v[20:21]
	v_addc_co_u32_e32 v55, vcc, v27, v33, vcc
	global_load_dwordx4 v[28:31], v[52:53], off
	global_load_dwordx4 v[32:35], v[54:55], off
	v_add_co_u32_e32 v56, vcc, s12, v36
	v_addc_co_u32_e32 v57, vcc, v26, v37, vcc
	global_load_dwordx4 v[36:39], v[56:57], off
	global_load_dwordx4 v[40:43], v[52:53], off offset:16
	global_load_dwordx4 v[44:47], v[54:55], off offset:16
	;; [unrolled: 1-line block ×3, first 2 shown]
	s_add_i32 s3, s3, 2
	s_cmp_eq_u32 s3, 14
	s_waitcnt vmcnt(4)
	v_fma_f64 v[18:19], v[28:29], v[32:33], v[18:19]
	v_fma_f64 v[14:15], v[30:31], v[32:33], v[14:15]
	s_waitcnt vmcnt(3)
	v_fma_f64 v[12:13], v[36:37], v[32:33], v[12:13]
	v_fma_f64 v[10:11], v[38:39], v[32:33], v[10:11]
	v_fma_f64 v[18:19], -v[30:31], v[34:35], v[18:19]
	v_fma_f64 v[14:15], v[28:29], v[34:35], v[14:15]
	v_fma_f64 v[12:13], -v[38:39], v[34:35], v[12:13]
	v_fma_f64 v[10:11], v[36:37], v[34:35], v[10:11]
	s_waitcnt vmcnt(1)
	v_fma_f64 v[18:19], v[40:41], v[44:45], v[18:19]
	v_fma_f64 v[14:15], v[42:43], v[44:45], v[14:15]
	s_waitcnt vmcnt(0)
	v_fma_f64 v[12:13], v[48:49], v[44:45], v[12:13]
	v_fma_f64 v[10:11], v[50:51], v[44:45], v[10:11]
	v_fma_f64 v[18:19], -v[42:43], v[46:47], v[18:19]
	v_fma_f64 v[14:15], v[40:41], v[46:47], v[14:15]
	v_fma_f64 v[12:13], -v[50:51], v[46:47], v[12:13]
	v_fma_f64 v[10:11], v[48:49], v[46:47], v[10:11]
	s_cbranch_scc0 .LBB292_16
; %bb.17:                               ;   in Loop: Header=BB292_15 Depth=1
	v_add_u32_e32 v16, 64, v16
	v_cmp_ge_i32_e32 vcc, v16, v24
	v_add_u32_e32 v22, 0x700, v22
	s_or_b64 s[0:1], vcc, s[0:1]
	v_add_u32_e32 v23, 0x700, v23
	s_andn2_b64 exec, exec, s[0:1]
	s_cbranch_execnz .LBB292_15
; %bb.18:
	s_or_b64 exec, exec, s[0:1]
.LBB292_19:
	s_or_b64 exec, exec, s[6:7]
.LBB292_20:
	v_mov_b32_dpp v16, v18 row_shr:1 row_mask:0xf bank_mask:0xf
	v_mov_b32_dpp v17, v19 row_shr:1 row_mask:0xf bank_mask:0xf
	v_add_f64 v[16:17], v[18:19], v[16:17]
	v_mov_b32_dpp v18, v14 row_shr:1 row_mask:0xf bank_mask:0xf
	v_mov_b32_dpp v19, v15 row_shr:1 row_mask:0xf bank_mask:0xf
	v_add_f64 v[14:15], v[14:15], v[18:19]
	;; [unrolled: 3-line block ×3, first 2 shown]
	v_cmp_eq_u32_e32 vcc, 63, v0
	v_mov_b32_dpp v18, v16 row_shr:2 row_mask:0xf bank_mask:0xf
	v_mov_b32_dpp v19, v17 row_shr:2 row_mask:0xf bank_mask:0xf
	v_add_f64 v[16:17], v[16:17], v[18:19]
	v_mov_b32_dpp v18, v12 row_shr:1 row_mask:0xf bank_mask:0xf
	v_mov_b32_dpp v19, v13 row_shr:1 row_mask:0xf bank_mask:0xf
	v_add_f64 v[12:13], v[12:13], v[18:19]
	v_mov_b32_dpp v18, v14 row_shr:2 row_mask:0xf bank_mask:0xf
	v_mov_b32_dpp v19, v16 row_shr:4 row_mask:0xf bank_mask:0xe
	v_mov_b32_dpp v20, v17 row_shr:4 row_mask:0xf bank_mask:0xe
	v_add_f64 v[16:17], v[16:17], v[19:20]
	v_mov_b32_dpp v19, v15 row_shr:2 row_mask:0xf bank_mask:0xf
	;; [unrolled: 4-line block ×3, first 2 shown]
	v_add_f64 v[12:13], v[12:13], v[20:21]
	v_mov_b32_dpp v19, v11 row_shr:2 row_mask:0xf bank_mask:0xf
	v_add_f64 v[10:11], v[10:11], v[18:19]
	v_mov_b32_dpp v20, v16 row_shr:8 row_mask:0xf bank_mask:0xc
	v_mov_b32_dpp v21, v17 row_shr:8 row_mask:0xf bank_mask:0xc
	v_add_f64 v[16:17], v[16:17], v[20:21]
	v_mov_b32_dpp v18, v14 row_shr:4 row_mask:0xf bank_mask:0xe
	v_mov_b32_dpp v19, v15 row_shr:4 row_mask:0xf bank_mask:0xe
	;; [unrolled: 1-line block ×3, first 2 shown]
	v_add_f64 v[14:15], v[14:15], v[18:19]
	v_mov_b32_dpp v21, v13 row_shr:4 row_mask:0xf bank_mask:0xe
	v_add_f64 v[12:13], v[12:13], v[20:21]
	v_mov_b32_dpp v19, v10 row_shr:4 row_mask:0xf bank_mask:0xe
	v_mov_b32_dpp v20, v11 row_shr:4 row_mask:0xf bank_mask:0xe
	v_add_f64 v[10:11], v[10:11], v[19:20]
	v_mov_b32_dpp v18, v16 row_bcast:15 row_mask:0xa bank_mask:0xf
	v_mov_b32_dpp v19, v17 row_bcast:15 row_mask:0xa bank_mask:0xf
	v_mov_b32_dpp v20, v14 row_shr:8 row_mask:0xf bank_mask:0xc
	v_mov_b32_dpp v21, v15 row_shr:8 row_mask:0xf bank_mask:0xc
	v_add_f64 v[14:15], v[14:15], v[20:21]
	v_mov_b32_dpp v20, v12 row_shr:8 row_mask:0xf bank_mask:0xc
	v_mov_b32_dpp v21, v13 row_shr:8 row_mask:0xf bank_mask:0xc
	v_add_f64 v[20:21], v[12:13], v[20:21]
	v_mov_b32_dpp v12, v10 row_shr:8 row_mask:0xf bank_mask:0xc
	v_mov_b32_dpp v13, v11 row_shr:8 row_mask:0xf bank_mask:0xc
	v_add_f64 v[22:23], v[10:11], v[12:13]
	v_add_f64 v[10:11], v[16:17], v[18:19]
	v_mov_b32_dpp v12, v14 row_bcast:15 row_mask:0xa bank_mask:0xf
	v_mov_b32_dpp v13, v15 row_bcast:15 row_mask:0xa bank_mask:0xf
	v_add_f64 v[12:13], v[14:15], v[12:13]
	v_mov_b32_dpp v14, v20 row_bcast:15 row_mask:0xa bank_mask:0xf
	v_mov_b32_dpp v15, v21 row_bcast:15 row_mask:0xa bank_mask:0xf
	;; [unrolled: 3-line block ×4, first 2 shown]
	v_mov_b32_dpp v16, v12 row_bcast:31 row_mask:0xc bank_mask:0xf
	v_mov_b32_dpp v17, v13 row_bcast:31 row_mask:0xc bank_mask:0xf
	;; [unrolled: 1-line block ×6, first 2 shown]
	s_and_b64 exec, exec, vcc
	s_cbranch_execz .LBB292_25
; %bb.21:
	v_cmp_eq_f64_e32 vcc, 0, v[5:6]
	v_cmp_eq_f64_e64 s[0:1], 0, v[7:8]
	v_add_f64 v[10:11], v[10:11], v[24:25]
	v_add_f64 v[16:17], v[12:13], v[16:17]
	;; [unrolled: 1-line block ×4, first 2 shown]
	s_load_dwordx2 s[2:3], s[4:5], 0x48
	s_and_b64 s[0:1], vcc, s[0:1]
	s_and_saveexec_b64 s[4:5], s[0:1]
	s_xor_b64 s[0:1], exec, s[4:5]
	s_cbranch_execz .LBB292_23
; %bb.22:
	v_mul_f64 v[5:6], v[16:17], -v[3:4]
	v_mul_f64 v[7:8], v[1:2], v[16:17]
	v_mul_f64 v[16:17], v[14:15], -v[3:4]
	v_mul_f64 v[14:15], v[1:2], v[14:15]
	v_lshlrev_b32_e32 v9, 1, v9
	s_waitcnt lgkmcnt(0)
	v_mov_b32_e32 v18, s3
	v_fma_f64 v[5:6], v[1:2], v[10:11], v[5:6]
	v_fma_f64 v[7:8], v[3:4], v[10:11], v[7:8]
	;; [unrolled: 1-line block ×4, first 2 shown]
	v_ashrrev_i32_e32 v10, 31, v9
	v_lshlrev_b64 v[9:10], 4, v[9:10]
                                        ; implicit-def: $vgpr16_vgpr17
                                        ; implicit-def: $vgpr12_vgpr13
                                        ; implicit-def: $vgpr14_vgpr15
	v_add_co_u32_e32 v9, vcc, s2, v9
	v_addc_co_u32_e32 v10, vcc, v18, v10, vcc
	global_store_dwordx4 v[9:10], v[5:8], off
	global_store_dwordx4 v[9:10], v[0:3], off offset:16
                                        ; implicit-def: $vgpr9
                                        ; implicit-def: $vgpr10_vgpr11
                                        ; implicit-def: $vgpr7_vgpr8
                                        ; implicit-def: $vgpr3_vgpr4
.LBB292_23:
	s_andn2_saveexec_b64 s[0:1], s[0:1]
	s_cbranch_execz .LBB292_25
; %bb.24:
	v_lshlrev_b32_e32 v18, 1, v9
	v_ashrrev_i32_e32 v19, 31, v18
	v_lshlrev_b64 v[18:19], 4, v[18:19]
	s_waitcnt lgkmcnt(0)
	v_mov_b32_e32 v0, s3
	v_add_co_u32_e32 v26, vcc, s2, v18
	v_addc_co_u32_e32 v27, vcc, v0, v19, vcc
	global_load_dwordx4 v[18:21], v[26:27], off
	global_load_dwordx4 v[22:25], v[26:27], off offset:16
	v_mul_f64 v[28:29], v[16:17], -v[3:4]
	v_mul_f64 v[16:17], v[1:2], v[16:17]
	v_mul_f64 v[30:31], v[14:15], -v[3:4]
	v_mul_f64 v[14:15], v[1:2], v[14:15]
	v_fma_f64 v[28:29], v[1:2], v[10:11], v[28:29]
	v_fma_f64 v[9:10], v[3:4], v[10:11], v[16:17]
	;; [unrolled: 1-line block ×4, first 2 shown]
	s_waitcnt vmcnt(1)
	v_fma_f64 v[11:12], v[5:6], v[18:19], v[28:29]
	v_fma_f64 v[9:10], v[7:8], v[18:19], v[9:10]
	s_waitcnt vmcnt(0)
	v_fma_f64 v[13:14], v[5:6], v[22:23], v[0:1]
	v_fma_f64 v[15:16], v[7:8], v[22:23], v[2:3]
	v_fma_f64 v[0:1], -v[7:8], v[20:21], v[11:12]
	v_fma_f64 v[2:3], v[5:6], v[20:21], v[9:10]
	v_fma_f64 v[7:8], -v[7:8], v[24:25], v[13:14]
	v_fma_f64 v[9:10], v[5:6], v[24:25], v[15:16]
	global_store_dwordx4 v[26:27], v[0:3], off
	global_store_dwordx4 v[26:27], v[7:10], off offset:16
.LBB292_25:
	s_endpgm
	.section	.rodata,"a",@progbits
	.p2align	6, 0x0
	.amdhsa_kernel _ZN9rocsparseL19gebsrmvn_2xn_kernelILj128ELj14ELj64E21rocsparse_complex_numIdEEEvi20rocsparse_direction_NS_24const_host_device_scalarIT2_EEPKiS8_PKS5_SA_S6_PS5_21rocsparse_index_base_b
		.amdhsa_group_segment_fixed_size 0
		.amdhsa_private_segment_fixed_size 0
		.amdhsa_kernarg_size 88
		.amdhsa_user_sgpr_count 6
		.amdhsa_user_sgpr_private_segment_buffer 1
		.amdhsa_user_sgpr_dispatch_ptr 0
		.amdhsa_user_sgpr_queue_ptr 0
		.amdhsa_user_sgpr_kernarg_segment_ptr 1
		.amdhsa_user_sgpr_dispatch_id 0
		.amdhsa_user_sgpr_flat_scratch_init 0
		.amdhsa_user_sgpr_private_segment_size 0
		.amdhsa_uses_dynamic_stack 0
		.amdhsa_system_sgpr_private_segment_wavefront_offset 0
		.amdhsa_system_sgpr_workgroup_id_x 1
		.amdhsa_system_sgpr_workgroup_id_y 0
		.amdhsa_system_sgpr_workgroup_id_z 0
		.amdhsa_system_sgpr_workgroup_info 0
		.amdhsa_system_vgpr_workitem_id 0
		.amdhsa_next_free_vgpr 58
		.amdhsa_next_free_sgpr 16
		.amdhsa_reserve_vcc 1
		.amdhsa_reserve_flat_scratch 0
		.amdhsa_float_round_mode_32 0
		.amdhsa_float_round_mode_16_64 0
		.amdhsa_float_denorm_mode_32 3
		.amdhsa_float_denorm_mode_16_64 3
		.amdhsa_dx10_clamp 1
		.amdhsa_ieee_mode 1
		.amdhsa_fp16_overflow 0
		.amdhsa_exception_fp_ieee_invalid_op 0
		.amdhsa_exception_fp_denorm_src 0
		.amdhsa_exception_fp_ieee_div_zero 0
		.amdhsa_exception_fp_ieee_overflow 0
		.amdhsa_exception_fp_ieee_underflow 0
		.amdhsa_exception_fp_ieee_inexact 0
		.amdhsa_exception_int_div_zero 0
	.end_amdhsa_kernel
	.section	.text._ZN9rocsparseL19gebsrmvn_2xn_kernelILj128ELj14ELj64E21rocsparse_complex_numIdEEEvi20rocsparse_direction_NS_24const_host_device_scalarIT2_EEPKiS8_PKS5_SA_S6_PS5_21rocsparse_index_base_b,"axG",@progbits,_ZN9rocsparseL19gebsrmvn_2xn_kernelILj128ELj14ELj64E21rocsparse_complex_numIdEEEvi20rocsparse_direction_NS_24const_host_device_scalarIT2_EEPKiS8_PKS5_SA_S6_PS5_21rocsparse_index_base_b,comdat
.Lfunc_end292:
	.size	_ZN9rocsparseL19gebsrmvn_2xn_kernelILj128ELj14ELj64E21rocsparse_complex_numIdEEEvi20rocsparse_direction_NS_24const_host_device_scalarIT2_EEPKiS8_PKS5_SA_S6_PS5_21rocsparse_index_base_b, .Lfunc_end292-_ZN9rocsparseL19gebsrmvn_2xn_kernelILj128ELj14ELj64E21rocsparse_complex_numIdEEEvi20rocsparse_direction_NS_24const_host_device_scalarIT2_EEPKiS8_PKS5_SA_S6_PS5_21rocsparse_index_base_b
                                        ; -- End function
	.set _ZN9rocsparseL19gebsrmvn_2xn_kernelILj128ELj14ELj64E21rocsparse_complex_numIdEEEvi20rocsparse_direction_NS_24const_host_device_scalarIT2_EEPKiS8_PKS5_SA_S6_PS5_21rocsparse_index_base_b.num_vgpr, 58
	.set _ZN9rocsparseL19gebsrmvn_2xn_kernelILj128ELj14ELj64E21rocsparse_complex_numIdEEEvi20rocsparse_direction_NS_24const_host_device_scalarIT2_EEPKiS8_PKS5_SA_S6_PS5_21rocsparse_index_base_b.num_agpr, 0
	.set _ZN9rocsparseL19gebsrmvn_2xn_kernelILj128ELj14ELj64E21rocsparse_complex_numIdEEEvi20rocsparse_direction_NS_24const_host_device_scalarIT2_EEPKiS8_PKS5_SA_S6_PS5_21rocsparse_index_base_b.numbered_sgpr, 16
	.set _ZN9rocsparseL19gebsrmvn_2xn_kernelILj128ELj14ELj64E21rocsparse_complex_numIdEEEvi20rocsparse_direction_NS_24const_host_device_scalarIT2_EEPKiS8_PKS5_SA_S6_PS5_21rocsparse_index_base_b.num_named_barrier, 0
	.set _ZN9rocsparseL19gebsrmvn_2xn_kernelILj128ELj14ELj64E21rocsparse_complex_numIdEEEvi20rocsparse_direction_NS_24const_host_device_scalarIT2_EEPKiS8_PKS5_SA_S6_PS5_21rocsparse_index_base_b.private_seg_size, 0
	.set _ZN9rocsparseL19gebsrmvn_2xn_kernelILj128ELj14ELj64E21rocsparse_complex_numIdEEEvi20rocsparse_direction_NS_24const_host_device_scalarIT2_EEPKiS8_PKS5_SA_S6_PS5_21rocsparse_index_base_b.uses_vcc, 1
	.set _ZN9rocsparseL19gebsrmvn_2xn_kernelILj128ELj14ELj64E21rocsparse_complex_numIdEEEvi20rocsparse_direction_NS_24const_host_device_scalarIT2_EEPKiS8_PKS5_SA_S6_PS5_21rocsparse_index_base_b.uses_flat_scratch, 0
	.set _ZN9rocsparseL19gebsrmvn_2xn_kernelILj128ELj14ELj64E21rocsparse_complex_numIdEEEvi20rocsparse_direction_NS_24const_host_device_scalarIT2_EEPKiS8_PKS5_SA_S6_PS5_21rocsparse_index_base_b.has_dyn_sized_stack, 0
	.set _ZN9rocsparseL19gebsrmvn_2xn_kernelILj128ELj14ELj64E21rocsparse_complex_numIdEEEvi20rocsparse_direction_NS_24const_host_device_scalarIT2_EEPKiS8_PKS5_SA_S6_PS5_21rocsparse_index_base_b.has_recursion, 0
	.set _ZN9rocsparseL19gebsrmvn_2xn_kernelILj128ELj14ELj64E21rocsparse_complex_numIdEEEvi20rocsparse_direction_NS_24const_host_device_scalarIT2_EEPKiS8_PKS5_SA_S6_PS5_21rocsparse_index_base_b.has_indirect_call, 0
	.section	.AMDGPU.csdata,"",@progbits
; Kernel info:
; codeLenInByte = 2148
; TotalNumSgprs: 20
; NumVgprs: 58
; ScratchSize: 0
; MemoryBound: 0
; FloatMode: 240
; IeeeMode: 1
; LDSByteSize: 0 bytes/workgroup (compile time only)
; SGPRBlocks: 2
; VGPRBlocks: 14
; NumSGPRsForWavesPerEU: 20
; NumVGPRsForWavesPerEU: 58
; Occupancy: 4
; WaveLimiterHint : 1
; COMPUTE_PGM_RSRC2:SCRATCH_EN: 0
; COMPUTE_PGM_RSRC2:USER_SGPR: 6
; COMPUTE_PGM_RSRC2:TRAP_HANDLER: 0
; COMPUTE_PGM_RSRC2:TGID_X_EN: 1
; COMPUTE_PGM_RSRC2:TGID_Y_EN: 0
; COMPUTE_PGM_RSRC2:TGID_Z_EN: 0
; COMPUTE_PGM_RSRC2:TIDIG_COMP_CNT: 0
	.section	.text._ZN9rocsparseL19gebsrmvn_2xn_kernelILj128ELj15ELj4E21rocsparse_complex_numIdEEEvi20rocsparse_direction_NS_24const_host_device_scalarIT2_EEPKiS8_PKS5_SA_S6_PS5_21rocsparse_index_base_b,"axG",@progbits,_ZN9rocsparseL19gebsrmvn_2xn_kernelILj128ELj15ELj4E21rocsparse_complex_numIdEEEvi20rocsparse_direction_NS_24const_host_device_scalarIT2_EEPKiS8_PKS5_SA_S6_PS5_21rocsparse_index_base_b,comdat
	.globl	_ZN9rocsparseL19gebsrmvn_2xn_kernelILj128ELj15ELj4E21rocsparse_complex_numIdEEEvi20rocsparse_direction_NS_24const_host_device_scalarIT2_EEPKiS8_PKS5_SA_S6_PS5_21rocsparse_index_base_b ; -- Begin function _ZN9rocsparseL19gebsrmvn_2xn_kernelILj128ELj15ELj4E21rocsparse_complex_numIdEEEvi20rocsparse_direction_NS_24const_host_device_scalarIT2_EEPKiS8_PKS5_SA_S6_PS5_21rocsparse_index_base_b
	.p2align	8
	.type	_ZN9rocsparseL19gebsrmvn_2xn_kernelILj128ELj15ELj4E21rocsparse_complex_numIdEEEvi20rocsparse_direction_NS_24const_host_device_scalarIT2_EEPKiS8_PKS5_SA_S6_PS5_21rocsparse_index_base_b,@function
_ZN9rocsparseL19gebsrmvn_2xn_kernelILj128ELj15ELj4E21rocsparse_complex_numIdEEEvi20rocsparse_direction_NS_24const_host_device_scalarIT2_EEPKiS8_PKS5_SA_S6_PS5_21rocsparse_index_base_b: ; @_ZN9rocsparseL19gebsrmvn_2xn_kernelILj128ELj15ELj4E21rocsparse_complex_numIdEEEvi20rocsparse_direction_NS_24const_host_device_scalarIT2_EEPKiS8_PKS5_SA_S6_PS5_21rocsparse_index_base_b
; %bb.0:
	s_load_dwordx2 s[0:1], s[4:5], 0x8
	s_load_dwordx2 s[2:3], s[4:5], 0x38
	;; [unrolled: 1-line block ×3, first 2 shown]
	s_add_u32 s7, s4, 8
	s_addc_u32 s8, s5, 0
	s_add_u32 s9, s4, 56
	s_addc_u32 s10, s5, 0
	s_waitcnt lgkmcnt(0)
	s_bitcmp1_b32 s17, 0
	s_cselect_b32 s1, s8, s1
	s_cselect_b32 s0, s7, s0
	v_mov_b32_e32 v1, s0
	v_mov_b32_e32 v2, s1
	flat_load_dwordx4 v[1:4], v[1:2]
	s_cselect_b32 s0, s10, s3
	s_cselect_b32 s1, s9, s2
	v_mov_b32_e32 v5, s1
	v_mov_b32_e32 v6, s0
	flat_load_dwordx4 v[5:8], v[5:6]
	s_waitcnt vmcnt(0) lgkmcnt(0)
	v_cmp_eq_f64_e32 vcc, 0, v[1:2]
	v_cmp_eq_f64_e64 s[0:1], 0, v[3:4]
	s_and_b64 s[8:9], vcc, s[0:1]
	s_mov_b64 s[0:1], -1
	s_and_saveexec_b64 s[2:3], s[8:9]
	s_cbranch_execz .LBB293_2
; %bb.1:
	v_cmp_neq_f64_e32 vcc, 1.0, v[5:6]
	v_cmp_neq_f64_e64 s[0:1], 0, v[7:8]
	s_or_b64 s[0:1], vcc, s[0:1]
	s_orn2_b64 s[0:1], s[0:1], exec
.LBB293_2:
	s_or_b64 exec, exec, s[2:3]
	s_and_saveexec_b64 s[2:3], s[0:1]
	s_cbranch_execz .LBB293_25
; %bb.3:
	s_load_dwordx2 s[0:1], s[4:5], 0x0
	v_lshrrev_b32_e32 v9, 2, v0
	v_lshl_or_b32 v9, s6, 5, v9
	s_waitcnt lgkmcnt(0)
	v_cmp_gt_i32_e32 vcc, s0, v9
	s_and_b64 exec, exec, vcc
	s_cbranch_execz .LBB293_25
; %bb.4:
	s_load_dwordx8 s[8:15], s[4:5], 0x18
	v_ashrrev_i32_e32 v10, 31, v9
	v_lshlrev_b64 v[10:11], 2, v[9:10]
	v_and_b32_e32 v0, 3, v0
	s_cmp_lg_u32 s1, 0
	s_waitcnt lgkmcnt(0)
	v_mov_b32_e32 v12, s9
	v_add_co_u32_e32 v10, vcc, s8, v10
	v_addc_co_u32_e32 v11, vcc, v12, v11, vcc
	global_load_dwordx2 v[11:12], v[10:11], off
	s_waitcnt vmcnt(0)
	v_subrev_u32_e32 v10, s16, v11
	v_subrev_u32_e32 v24, s16, v12
	v_add_u32_e32 v10, v10, v0
	v_cmp_lt_i32_e64 s[0:1], v10, v24
	s_cbranch_scc0 .LBB293_12
; %bb.5:
	v_mov_b32_e32 v16, 0
	v_mov_b32_e32 v18, 0
	;; [unrolled: 1-line block ×8, first 2 shown]
	s_and_saveexec_b64 s[8:9], s[0:1]
	s_cbranch_execz .LBB293_11
; %bb.6:
	v_mul_lo_u32 v25, v10, 30
	v_mov_b32_e32 v16, 0
	v_mov_b32_e32 v18, 0
	;; [unrolled: 1-line block ×5, first 2 shown]
	s_mov_b64 s[18:19], 0
	v_mov_b32_e32 v26, s11
	v_mov_b32_e32 v21, 0
	v_mov_b32_e32 v27, s13
	v_mov_b32_e32 v28, s15
	v_mov_b32_e32 v19, 0
	v_mov_b32_e32 v15, 0
	v_mov_b32_e32 v13, 0
	v_mov_b32_e32 v22, v10
.LBB293_7:                              ; =>This Loop Header: Depth=1
                                        ;     Child Loop BB293_8 Depth 2
	v_ashrrev_i32_e32 v23, 31, v22
	v_lshlrev_b64 v[29:30], 2, v[22:23]
	s_mov_b32 s17, 0
	v_add_co_u32_e32 v29, vcc, s10, v29
	v_addc_co_u32_e32 v30, vcc, v26, v30, vcc
	global_load_dword v20, v[29:30], off
	s_waitcnt vmcnt(0)
	v_subrev_u32_e32 v20, s16, v20
	v_mul_lo_u32 v23, v20, 15
	v_mov_b32_e32 v20, v25
.LBB293_8:                              ;   Parent Loop BB293_7 Depth=1
                                        ; =>  This Inner Loop Header: Depth=2
	v_lshlrev_b64 v[29:30], 4, v[20:21]
	v_add_u32_e32 v31, s17, v23
	v_mov_b32_e32 v32, v21
	v_add_u32_e32 v36, 4, v20
	v_mov_b32_e32 v37, v21
	v_lshlrev_b64 v[39:40], 4, v[31:32]
	v_add_co_u32_e32 v45, vcc, s12, v29
	v_mov_b32_e32 v38, v21
	v_lshlrev_b64 v[43:44], 4, v[36:37]
	v_add_u32_e32 v37, 2, v31
	v_addc_co_u32_e32 v46, vcc, v27, v30, vcc
	v_add_u32_e32 v33, 2, v20
	v_mov_b32_e32 v34, v21
	v_lshlrev_b64 v[49:50], 4, v[37:38]
	v_add_co_u32_e32 v37, vcc, s14, v39
	v_mov_b32_e32 v35, v21
	v_lshlrev_b64 v[41:42], 4, v[33:34]
	v_add_u32_e32 v34, 1, v31
	v_addc_co_u32_e32 v38, vcc, v28, v40, vcc
	v_lshlrev_b64 v[47:48], 4, v[34:35]
	global_load_dwordx4 v[29:32], v[45:46], off offset:16
	global_load_dwordx4 v[33:36], v[45:46], off
	v_add_co_u32_e64 v41, s[2:3], s12, v41
	global_load_dwordx4 v[37:40], v[37:38], off
	v_add_co_u32_e64 v51, s[6:7], s12, v43
	v_addc_co_u32_e64 v42, vcc, v27, v42, s[2:3]
	v_addc_co_u32_e64 v52, vcc, v27, v44, s[6:7]
	v_add_co_u32_e32 v43, vcc, s14, v47
	v_addc_co_u32_e32 v44, vcc, v28, v48, vcc
	v_add_co_u32_e64 v45, s[2:3], s14, v49
	v_addc_co_u32_e64 v46, vcc, v28, v50, s[2:3]
	s_add_i32 s17, s17, 3
	s_cmp_eq_u32 s17, 15
	v_add_u32_e32 v20, 6, v20
	s_waitcnt vmcnt(0)
	v_fma_f64 v[18:19], v[33:34], v[37:38], v[18:19]
	v_fma_f64 v[16:17], v[35:36], v[37:38], v[16:17]
	v_fma_f64 v[14:15], v[29:30], v[37:38], v[14:15]
	v_fma_f64 v[12:13], v[31:32], v[37:38], v[12:13]
	v_fma_f64 v[53:54], -v[35:36], v[39:40], v[18:19]
	v_fma_f64 v[55:56], v[33:34], v[39:40], v[16:17]
	global_load_dwordx4 v[16:19], v[41:42], off offset:16
	global_load_dwordx4 v[33:36], v[41:42], off
	v_fma_f64 v[47:48], -v[31:32], v[39:40], v[14:15]
	global_load_dwordx4 v[41:44], v[43:44], off
	v_fma_f64 v[49:50], v[29:30], v[39:40], v[12:13]
	global_load_dwordx4 v[12:15], v[51:52], off offset:16
	global_load_dwordx4 v[29:32], v[51:52], off
	global_load_dwordx4 v[37:40], v[45:46], off
	s_waitcnt vmcnt(3)
	v_fma_f64 v[45:46], v[33:34], v[41:42], v[53:54]
	v_fma_f64 v[51:52], v[35:36], v[41:42], v[55:56]
	;; [unrolled: 1-line block ×4, first 2 shown]
	v_fma_f64 v[35:36], -v[35:36], v[43:44], v[45:46]
	v_fma_f64 v[33:34], v[33:34], v[43:44], v[51:52]
	v_fma_f64 v[18:19], -v[18:19], v[43:44], v[47:48]
	v_fma_f64 v[16:17], v[16:17], v[43:44], v[41:42]
	s_waitcnt vmcnt(0)
	v_fma_f64 v[35:36], v[29:30], v[37:38], v[35:36]
	v_fma_f64 v[33:34], v[31:32], v[37:38], v[33:34]
	;; [unrolled: 1-line block ×4, first 2 shown]
	v_fma_f64 v[18:19], -v[31:32], v[39:40], v[35:36]
	v_fma_f64 v[16:17], v[29:30], v[39:40], v[33:34]
	v_fma_f64 v[14:15], -v[14:15], v[39:40], v[41:42]
	v_fma_f64 v[12:13], v[12:13], v[39:40], v[37:38]
	s_cbranch_scc0 .LBB293_8
; %bb.9:                                ;   in Loop: Header=BB293_7 Depth=1
	v_add_u32_e32 v22, 4, v22
	v_cmp_ge_i32_e32 vcc, v22, v24
	s_or_b64 s[18:19], vcc, s[18:19]
	v_add_u32_e32 v25, 0x78, v25
	s_andn2_b64 exec, exec, s[18:19]
	s_cbranch_execnz .LBB293_7
; %bb.10:
	s_or_b64 exec, exec, s[18:19]
.LBB293_11:
	s_or_b64 exec, exec, s[8:9]
	s_cbranch_execz .LBB293_13
	s_branch .LBB293_20
.LBB293_12:
                                        ; implicit-def: $vgpr16_vgpr17
                                        ; implicit-def: $vgpr18_vgpr19
                                        ; implicit-def: $vgpr14_vgpr15
                                        ; implicit-def: $vgpr12_vgpr13
.LBB293_13:
	v_mov_b32_e32 v16, 0
	v_mov_b32_e32 v18, 0
	;; [unrolled: 1-line block ×8, first 2 shown]
	s_and_saveexec_b64 s[2:3], s[0:1]
	s_cbranch_execz .LBB293_19
; %bb.14:
	v_mul_lo_u32 v11, v11, 30
	v_mul_lo_u32 v22, v10, 30
	s_mul_i32 s0, s16, 30
	v_mov_b32_e32 v16, 0
	v_mad_u32_u24 v11, v0, 30, v11
	v_mov_b32_e32 v18, 0
	v_mov_b32_e32 v14, 0
	;; [unrolled: 1-line block ×4, first 2 shown]
	v_subrev_u32_e32 v23, s0, v11
	s_mov_b64 s[0:1], 0
	v_mov_b32_e32 v25, s11
	v_mov_b32_e32 v21, 0
	;; [unrolled: 1-line block ×7, first 2 shown]
.LBB293_15:                             ; =>This Loop Header: Depth=1
                                        ;     Child Loop BB293_16 Depth 2
	v_ashrrev_i32_e32 v11, 31, v10
	v_lshlrev_b64 v[28:29], 2, v[10:11]
	s_mov_b32 s6, 0
	v_add_co_u32_e32 v28, vcc, s10, v28
	v_addc_co_u32_e32 v29, vcc, v25, v29, vcc
	global_load_dword v11, v[28:29], off
	s_waitcnt vmcnt(0)
	v_subrev_u32_e32 v11, s16, v11
	v_mul_lo_u32 v11, v11, 15
.LBB293_16:                             ;   Parent Loop BB293_15 Depth=1
                                        ; =>  This Inner Loop Header: Depth=2
	v_add_u32_e32 v20, s6, v23
	v_add_u32_e32 v44, s6, v22
	v_lshlrev_b64 v[32:33], 4, v[20:21]
	v_mov_b32_e32 v29, v21
	v_add_u32_e32 v20, s6, v11
	v_add_u32_e32 v28, 15, v44
	v_lshlrev_b64 v[34:35], 4, v[20:21]
	v_lshlrev_b64 v[36:37], 4, v[28:29]
	v_add_co_u32_e32 v28, vcc, s12, v32
	v_addc_co_u32_e32 v29, vcc, v26, v33, vcc
	v_add_co_u32_e32 v32, vcc, s14, v34
	v_mov_b32_e32 v31, v21
	v_add_u32_e32 v30, 1, v44
	v_addc_co_u32_e32 v33, vcc, v27, v35, vcc
	v_lshlrev_b64 v[38:39], 4, v[30:31]
	global_load_dwordx4 v[28:31], v[28:29], off
	v_add_co_u32_e32 v36, vcc, s12, v36
	global_load_dwordx4 v[32:35], v[32:33], off
	v_addc_co_u32_e32 v37, vcc, v26, v37, vcc
	v_add_co_u32_e32 v38, vcc, s12, v38
	v_addc_co_u32_e32 v39, vcc, v26, v39, vcc
	s_add_i32 s6, s6, 3
	s_cmp_eq_u32 s6, 15
	s_waitcnt vmcnt(0)
	v_fma_f64 v[18:19], v[28:29], v[32:33], v[18:19]
	v_fma_f64 v[16:17], v[30:31], v[32:33], v[16:17]
	v_fma_f64 v[40:41], -v[30:31], v[34:35], v[18:19]
	v_fma_f64 v[42:43], v[28:29], v[34:35], v[16:17]
	global_load_dwordx4 v[16:19], v[36:37], off
	global_load_dwordx4 v[28:31], v[38:39], off
	s_waitcnt vmcnt(1)
	v_fma_f64 v[14:15], v[16:17], v[32:33], v[14:15]
	v_fma_f64 v[12:13], v[18:19], v[32:33], v[12:13]
	v_fma_f64 v[32:33], -v[18:19], v[34:35], v[14:15]
	v_mov_b32_e32 v15, v21
	v_add_u32_e32 v14, 16, v44
	v_lshlrev_b64 v[14:15], 4, v[14:15]
	v_fma_f64 v[34:35], v[16:17], v[34:35], v[12:13]
	v_mov_b32_e32 v17, v21
	v_add_u32_e32 v16, 2, v44
	v_lshlrev_b64 v[16:17], 4, v[16:17]
	v_add_co_u32_e32 v36, vcc, s12, v14
	v_mov_b32_e32 v13, v21
	v_add_u32_e32 v12, 1, v20
	v_addc_co_u32_e32 v37, vcc, v26, v15, vcc
	v_lshlrev_b64 v[12:13], 4, v[12:13]
	v_add_co_u32_e32 v38, vcc, s12, v16
	v_addc_co_u32_e32 v39, vcc, v26, v17, vcc
	v_add_co_u32_e32 v12, vcc, s14, v12
	v_addc_co_u32_e32 v13, vcc, v27, v13, vcc
	global_load_dwordx4 v[12:15], v[12:13], off
	v_add_u32_e32 v20, 2, v20
	s_waitcnt vmcnt(0)
	v_fma_f64 v[16:17], v[28:29], v[12:13], v[40:41]
	v_fma_f64 v[18:19], v[30:31], v[12:13], v[42:43]
	v_fma_f64 v[40:41], -v[30:31], v[14:15], v[16:17]
	v_fma_f64 v[42:43], v[28:29], v[14:15], v[18:19]
	global_load_dwordx4 v[16:19], v[36:37], off
	global_load_dwordx4 v[28:31], v[38:39], off
	s_waitcnt vmcnt(1)
	v_fma_f64 v[32:33], v[16:17], v[12:13], v[32:33]
	v_fma_f64 v[12:13], v[18:19], v[12:13], v[34:35]
	v_fma_f64 v[18:19], -v[18:19], v[14:15], v[32:33]
	v_fma_f64 v[16:17], v[16:17], v[14:15], v[12:13]
	v_lshlrev_b64 v[12:13], 4, v[20:21]
	v_add_u32_e32 v20, 17, v44
	v_lshlrev_b64 v[14:15], 4, v[20:21]
	v_add_co_u32_e32 v12, vcc, s14, v12
	v_addc_co_u32_e32 v13, vcc, v27, v13, vcc
	global_load_dwordx4 v[32:35], v[12:13], off
	v_add_co_u32_e32 v12, vcc, s12, v14
	v_addc_co_u32_e32 v13, vcc, v26, v15, vcc
	global_load_dwordx4 v[12:15], v[12:13], off
	s_waitcnt vmcnt(1)
	v_fma_f64 v[36:37], v[28:29], v[32:33], v[40:41]
	v_fma_f64 v[38:39], v[30:31], v[32:33], v[42:43]
	s_waitcnt vmcnt(0)
	v_fma_f64 v[40:41], v[12:13], v[32:33], v[18:19]
	v_fma_f64 v[32:33], v[14:15], v[32:33], v[16:17]
	v_fma_f64 v[18:19], -v[30:31], v[34:35], v[36:37]
	v_fma_f64 v[16:17], v[28:29], v[34:35], v[38:39]
	v_fma_f64 v[14:15], -v[14:15], v[34:35], v[40:41]
	v_fma_f64 v[12:13], v[12:13], v[34:35], v[32:33]
	s_cbranch_scc0 .LBB293_16
; %bb.17:                               ;   in Loop: Header=BB293_15 Depth=1
	v_add_u32_e32 v10, 4, v10
	v_cmp_ge_i32_e32 vcc, v10, v24
	v_add_u32_e32 v22, 0x78, v22
	s_or_b64 s[0:1], vcc, s[0:1]
	v_add_u32_e32 v23, 0x78, v23
	s_andn2_b64 exec, exec, s[0:1]
	s_cbranch_execnz .LBB293_15
; %bb.18:
	s_or_b64 exec, exec, s[0:1]
.LBB293_19:
	s_or_b64 exec, exec, s[2:3]
.LBB293_20:
	v_mov_b32_dpp v10, v18 row_shr:1 row_mask:0xf bank_mask:0xf
	v_mov_b32_dpp v11, v19 row_shr:1 row_mask:0xf bank_mask:0xf
	v_add_f64 v[10:11], v[18:19], v[10:11]
	v_mov_b32_dpp v18, v16 row_shr:1 row_mask:0xf bank_mask:0xf
	v_mov_b32_dpp v19, v17 row_shr:1 row_mask:0xf bank_mask:0xf
	v_add_f64 v[16:17], v[16:17], v[18:19]
	;; [unrolled: 3-line block ×4, first 2 shown]
	v_mov_b32_dpp v24, v10 row_shr:2 row_mask:0xf bank_mask:0xf
	v_mov_b32_dpp v25, v11 row_shr:2 row_mask:0xf bank_mask:0xf
	;; [unrolled: 1-line block ×6, first 2 shown]
	v_cmp_eq_u32_e32 vcc, 3, v0
	v_mov_b32_dpp v20, v18 row_shr:2 row_mask:0xf bank_mask:0xf
	v_mov_b32_dpp v21, v19 row_shr:2 row_mask:0xf bank_mask:0xf
	s_and_b64 exec, exec, vcc
	s_cbranch_execz .LBB293_25
; %bb.21:
	v_cmp_eq_f64_e32 vcc, 0, v[5:6]
	v_cmp_eq_f64_e64 s[0:1], 0, v[7:8]
	v_add_f64 v[10:11], v[10:11], v[24:25]
	v_add_f64 v[16:17], v[16:17], v[22:23]
	;; [unrolled: 1-line block ×4, first 2 shown]
	s_load_dwordx2 s[2:3], s[4:5], 0x48
	s_and_b64 s[0:1], vcc, s[0:1]
	s_and_saveexec_b64 s[4:5], s[0:1]
	s_xor_b64 s[0:1], exec, s[4:5]
	s_cbranch_execz .LBB293_23
; %bb.22:
	v_mul_f64 v[5:6], v[16:17], -v[3:4]
	v_mul_f64 v[7:8], v[1:2], v[16:17]
	v_mul_f64 v[16:17], v[14:15], -v[3:4]
	v_mul_f64 v[14:15], v[1:2], v[14:15]
	v_lshlrev_b32_e32 v9, 1, v9
	s_waitcnt lgkmcnt(0)
	v_mov_b32_e32 v18, s3
	v_fma_f64 v[5:6], v[1:2], v[10:11], v[5:6]
	v_fma_f64 v[7:8], v[3:4], v[10:11], v[7:8]
	;; [unrolled: 1-line block ×4, first 2 shown]
	v_ashrrev_i32_e32 v10, 31, v9
	v_lshlrev_b64 v[9:10], 4, v[9:10]
                                        ; implicit-def: $vgpr16_vgpr17
                                        ; implicit-def: $vgpr12_vgpr13
                                        ; implicit-def: $vgpr14_vgpr15
	v_add_co_u32_e32 v9, vcc, s2, v9
	v_addc_co_u32_e32 v10, vcc, v18, v10, vcc
	global_store_dwordx4 v[9:10], v[5:8], off
	global_store_dwordx4 v[9:10], v[0:3], off offset:16
                                        ; implicit-def: $vgpr9
                                        ; implicit-def: $vgpr10_vgpr11
                                        ; implicit-def: $vgpr7_vgpr8
                                        ; implicit-def: $vgpr3_vgpr4
.LBB293_23:
	s_andn2_saveexec_b64 s[0:1], s[0:1]
	s_cbranch_execz .LBB293_25
; %bb.24:
	v_lshlrev_b32_e32 v18, 1, v9
	v_ashrrev_i32_e32 v19, 31, v18
	v_lshlrev_b64 v[18:19], 4, v[18:19]
	s_waitcnt lgkmcnt(0)
	v_mov_b32_e32 v0, s3
	v_add_co_u32_e32 v26, vcc, s2, v18
	v_addc_co_u32_e32 v27, vcc, v0, v19, vcc
	global_load_dwordx4 v[18:21], v[26:27], off
	global_load_dwordx4 v[22:25], v[26:27], off offset:16
	v_mul_f64 v[28:29], v[16:17], -v[3:4]
	v_mul_f64 v[16:17], v[1:2], v[16:17]
	v_mul_f64 v[30:31], v[14:15], -v[3:4]
	v_mul_f64 v[14:15], v[1:2], v[14:15]
	v_fma_f64 v[28:29], v[1:2], v[10:11], v[28:29]
	v_fma_f64 v[9:10], v[3:4], v[10:11], v[16:17]
	;; [unrolled: 1-line block ×4, first 2 shown]
	s_waitcnt vmcnt(1)
	v_fma_f64 v[11:12], v[5:6], v[18:19], v[28:29]
	v_fma_f64 v[9:10], v[7:8], v[18:19], v[9:10]
	s_waitcnt vmcnt(0)
	v_fma_f64 v[13:14], v[5:6], v[22:23], v[0:1]
	v_fma_f64 v[15:16], v[7:8], v[22:23], v[2:3]
	v_fma_f64 v[0:1], -v[7:8], v[20:21], v[11:12]
	v_fma_f64 v[2:3], v[5:6], v[20:21], v[9:10]
	v_fma_f64 v[7:8], -v[7:8], v[24:25], v[13:14]
	v_fma_f64 v[9:10], v[5:6], v[24:25], v[15:16]
	global_store_dwordx4 v[26:27], v[0:3], off
	global_store_dwordx4 v[26:27], v[7:10], off offset:16
.LBB293_25:
	s_endpgm
	.section	.rodata,"a",@progbits
	.p2align	6, 0x0
	.amdhsa_kernel _ZN9rocsparseL19gebsrmvn_2xn_kernelILj128ELj15ELj4E21rocsparse_complex_numIdEEEvi20rocsparse_direction_NS_24const_host_device_scalarIT2_EEPKiS8_PKS5_SA_S6_PS5_21rocsparse_index_base_b
		.amdhsa_group_segment_fixed_size 0
		.amdhsa_private_segment_fixed_size 0
		.amdhsa_kernarg_size 88
		.amdhsa_user_sgpr_count 6
		.amdhsa_user_sgpr_private_segment_buffer 1
		.amdhsa_user_sgpr_dispatch_ptr 0
		.amdhsa_user_sgpr_queue_ptr 0
		.amdhsa_user_sgpr_kernarg_segment_ptr 1
		.amdhsa_user_sgpr_dispatch_id 0
		.amdhsa_user_sgpr_flat_scratch_init 0
		.amdhsa_user_sgpr_private_segment_size 0
		.amdhsa_uses_dynamic_stack 0
		.amdhsa_system_sgpr_private_segment_wavefront_offset 0
		.amdhsa_system_sgpr_workgroup_id_x 1
		.amdhsa_system_sgpr_workgroup_id_y 0
		.amdhsa_system_sgpr_workgroup_id_z 0
		.amdhsa_system_sgpr_workgroup_info 0
		.amdhsa_system_vgpr_workitem_id 0
		.amdhsa_next_free_vgpr 57
		.amdhsa_next_free_sgpr 20
		.amdhsa_reserve_vcc 1
		.amdhsa_reserve_flat_scratch 0
		.amdhsa_float_round_mode_32 0
		.amdhsa_float_round_mode_16_64 0
		.amdhsa_float_denorm_mode_32 3
		.amdhsa_float_denorm_mode_16_64 3
		.amdhsa_dx10_clamp 1
		.amdhsa_ieee_mode 1
		.amdhsa_fp16_overflow 0
		.amdhsa_exception_fp_ieee_invalid_op 0
		.amdhsa_exception_fp_denorm_src 0
		.amdhsa_exception_fp_ieee_div_zero 0
		.amdhsa_exception_fp_ieee_overflow 0
		.amdhsa_exception_fp_ieee_underflow 0
		.amdhsa_exception_fp_ieee_inexact 0
		.amdhsa_exception_int_div_zero 0
	.end_amdhsa_kernel
	.section	.text._ZN9rocsparseL19gebsrmvn_2xn_kernelILj128ELj15ELj4E21rocsparse_complex_numIdEEEvi20rocsparse_direction_NS_24const_host_device_scalarIT2_EEPKiS8_PKS5_SA_S6_PS5_21rocsparse_index_base_b,"axG",@progbits,_ZN9rocsparseL19gebsrmvn_2xn_kernelILj128ELj15ELj4E21rocsparse_complex_numIdEEEvi20rocsparse_direction_NS_24const_host_device_scalarIT2_EEPKiS8_PKS5_SA_S6_PS5_21rocsparse_index_base_b,comdat
.Lfunc_end293:
	.size	_ZN9rocsparseL19gebsrmvn_2xn_kernelILj128ELj15ELj4E21rocsparse_complex_numIdEEEvi20rocsparse_direction_NS_24const_host_device_scalarIT2_EEPKiS8_PKS5_SA_S6_PS5_21rocsparse_index_base_b, .Lfunc_end293-_ZN9rocsparseL19gebsrmvn_2xn_kernelILj128ELj15ELj4E21rocsparse_complex_numIdEEEvi20rocsparse_direction_NS_24const_host_device_scalarIT2_EEPKiS8_PKS5_SA_S6_PS5_21rocsparse_index_base_b
                                        ; -- End function
	.set _ZN9rocsparseL19gebsrmvn_2xn_kernelILj128ELj15ELj4E21rocsparse_complex_numIdEEEvi20rocsparse_direction_NS_24const_host_device_scalarIT2_EEPKiS8_PKS5_SA_S6_PS5_21rocsparse_index_base_b.num_vgpr, 57
	.set _ZN9rocsparseL19gebsrmvn_2xn_kernelILj128ELj15ELj4E21rocsparse_complex_numIdEEEvi20rocsparse_direction_NS_24const_host_device_scalarIT2_EEPKiS8_PKS5_SA_S6_PS5_21rocsparse_index_base_b.num_agpr, 0
	.set _ZN9rocsparseL19gebsrmvn_2xn_kernelILj128ELj15ELj4E21rocsparse_complex_numIdEEEvi20rocsparse_direction_NS_24const_host_device_scalarIT2_EEPKiS8_PKS5_SA_S6_PS5_21rocsparse_index_base_b.numbered_sgpr, 20
	.set _ZN9rocsparseL19gebsrmvn_2xn_kernelILj128ELj15ELj4E21rocsparse_complex_numIdEEEvi20rocsparse_direction_NS_24const_host_device_scalarIT2_EEPKiS8_PKS5_SA_S6_PS5_21rocsparse_index_base_b.num_named_barrier, 0
	.set _ZN9rocsparseL19gebsrmvn_2xn_kernelILj128ELj15ELj4E21rocsparse_complex_numIdEEEvi20rocsparse_direction_NS_24const_host_device_scalarIT2_EEPKiS8_PKS5_SA_S6_PS5_21rocsparse_index_base_b.private_seg_size, 0
	.set _ZN9rocsparseL19gebsrmvn_2xn_kernelILj128ELj15ELj4E21rocsparse_complex_numIdEEEvi20rocsparse_direction_NS_24const_host_device_scalarIT2_EEPKiS8_PKS5_SA_S6_PS5_21rocsparse_index_base_b.uses_vcc, 1
	.set _ZN9rocsparseL19gebsrmvn_2xn_kernelILj128ELj15ELj4E21rocsparse_complex_numIdEEEvi20rocsparse_direction_NS_24const_host_device_scalarIT2_EEPKiS8_PKS5_SA_S6_PS5_21rocsparse_index_base_b.uses_flat_scratch, 0
	.set _ZN9rocsparseL19gebsrmvn_2xn_kernelILj128ELj15ELj4E21rocsparse_complex_numIdEEEvi20rocsparse_direction_NS_24const_host_device_scalarIT2_EEPKiS8_PKS5_SA_S6_PS5_21rocsparse_index_base_b.has_dyn_sized_stack, 0
	.set _ZN9rocsparseL19gebsrmvn_2xn_kernelILj128ELj15ELj4E21rocsparse_complex_numIdEEEvi20rocsparse_direction_NS_24const_host_device_scalarIT2_EEPKiS8_PKS5_SA_S6_PS5_21rocsparse_index_base_b.has_recursion, 0
	.set _ZN9rocsparseL19gebsrmvn_2xn_kernelILj128ELj15ELj4E21rocsparse_complex_numIdEEEvi20rocsparse_direction_NS_24const_host_device_scalarIT2_EEPKiS8_PKS5_SA_S6_PS5_21rocsparse_index_base_b.has_indirect_call, 0
	.section	.AMDGPU.csdata,"",@progbits
; Kernel info:
; codeLenInByte = 2212
; TotalNumSgprs: 24
; NumVgprs: 57
; ScratchSize: 0
; MemoryBound: 0
; FloatMode: 240
; IeeeMode: 1
; LDSByteSize: 0 bytes/workgroup (compile time only)
; SGPRBlocks: 2
; VGPRBlocks: 14
; NumSGPRsForWavesPerEU: 24
; NumVGPRsForWavesPerEU: 57
; Occupancy: 4
; WaveLimiterHint : 1
; COMPUTE_PGM_RSRC2:SCRATCH_EN: 0
; COMPUTE_PGM_RSRC2:USER_SGPR: 6
; COMPUTE_PGM_RSRC2:TRAP_HANDLER: 0
; COMPUTE_PGM_RSRC2:TGID_X_EN: 1
; COMPUTE_PGM_RSRC2:TGID_Y_EN: 0
; COMPUTE_PGM_RSRC2:TGID_Z_EN: 0
; COMPUTE_PGM_RSRC2:TIDIG_COMP_CNT: 0
	.section	.text._ZN9rocsparseL19gebsrmvn_2xn_kernelILj128ELj15ELj8E21rocsparse_complex_numIdEEEvi20rocsparse_direction_NS_24const_host_device_scalarIT2_EEPKiS8_PKS5_SA_S6_PS5_21rocsparse_index_base_b,"axG",@progbits,_ZN9rocsparseL19gebsrmvn_2xn_kernelILj128ELj15ELj8E21rocsparse_complex_numIdEEEvi20rocsparse_direction_NS_24const_host_device_scalarIT2_EEPKiS8_PKS5_SA_S6_PS5_21rocsparse_index_base_b,comdat
	.globl	_ZN9rocsparseL19gebsrmvn_2xn_kernelILj128ELj15ELj8E21rocsparse_complex_numIdEEEvi20rocsparse_direction_NS_24const_host_device_scalarIT2_EEPKiS8_PKS5_SA_S6_PS5_21rocsparse_index_base_b ; -- Begin function _ZN9rocsparseL19gebsrmvn_2xn_kernelILj128ELj15ELj8E21rocsparse_complex_numIdEEEvi20rocsparse_direction_NS_24const_host_device_scalarIT2_EEPKiS8_PKS5_SA_S6_PS5_21rocsparse_index_base_b
	.p2align	8
	.type	_ZN9rocsparseL19gebsrmvn_2xn_kernelILj128ELj15ELj8E21rocsparse_complex_numIdEEEvi20rocsparse_direction_NS_24const_host_device_scalarIT2_EEPKiS8_PKS5_SA_S6_PS5_21rocsparse_index_base_b,@function
_ZN9rocsparseL19gebsrmvn_2xn_kernelILj128ELj15ELj8E21rocsparse_complex_numIdEEEvi20rocsparse_direction_NS_24const_host_device_scalarIT2_EEPKiS8_PKS5_SA_S6_PS5_21rocsparse_index_base_b: ; @_ZN9rocsparseL19gebsrmvn_2xn_kernelILj128ELj15ELj8E21rocsparse_complex_numIdEEEvi20rocsparse_direction_NS_24const_host_device_scalarIT2_EEPKiS8_PKS5_SA_S6_PS5_21rocsparse_index_base_b
; %bb.0:
	s_load_dwordx2 s[0:1], s[4:5], 0x8
	s_load_dwordx2 s[2:3], s[4:5], 0x38
	;; [unrolled: 1-line block ×3, first 2 shown]
	s_add_u32 s7, s4, 8
	s_addc_u32 s8, s5, 0
	s_add_u32 s9, s4, 56
	s_addc_u32 s10, s5, 0
	s_waitcnt lgkmcnt(0)
	s_bitcmp1_b32 s17, 0
	s_cselect_b32 s1, s8, s1
	s_cselect_b32 s0, s7, s0
	v_mov_b32_e32 v1, s0
	v_mov_b32_e32 v2, s1
	flat_load_dwordx4 v[1:4], v[1:2]
	s_cselect_b32 s0, s10, s3
	s_cselect_b32 s1, s9, s2
	v_mov_b32_e32 v5, s1
	v_mov_b32_e32 v6, s0
	flat_load_dwordx4 v[5:8], v[5:6]
	s_waitcnt vmcnt(0) lgkmcnt(0)
	v_cmp_eq_f64_e32 vcc, 0, v[1:2]
	v_cmp_eq_f64_e64 s[0:1], 0, v[3:4]
	s_and_b64 s[8:9], vcc, s[0:1]
	s_mov_b64 s[0:1], -1
	s_and_saveexec_b64 s[2:3], s[8:9]
	s_cbranch_execz .LBB294_2
; %bb.1:
	v_cmp_neq_f64_e32 vcc, 1.0, v[5:6]
	v_cmp_neq_f64_e64 s[0:1], 0, v[7:8]
	s_or_b64 s[0:1], vcc, s[0:1]
	s_orn2_b64 s[0:1], s[0:1], exec
.LBB294_2:
	s_or_b64 exec, exec, s[2:3]
	s_and_saveexec_b64 s[2:3], s[0:1]
	s_cbranch_execz .LBB294_25
; %bb.3:
	s_load_dwordx2 s[0:1], s[4:5], 0x0
	v_lshrrev_b32_e32 v9, 3, v0
	v_lshl_or_b32 v9, s6, 4, v9
	s_waitcnt lgkmcnt(0)
	v_cmp_gt_i32_e32 vcc, s0, v9
	s_and_b64 exec, exec, vcc
	s_cbranch_execz .LBB294_25
; %bb.4:
	s_load_dwordx8 s[8:15], s[4:5], 0x18
	v_ashrrev_i32_e32 v10, 31, v9
	v_lshlrev_b64 v[10:11], 2, v[9:10]
	v_and_b32_e32 v0, 7, v0
	s_cmp_lg_u32 s1, 0
	s_waitcnt lgkmcnt(0)
	v_mov_b32_e32 v12, s9
	v_add_co_u32_e32 v10, vcc, s8, v10
	v_addc_co_u32_e32 v11, vcc, v12, v11, vcc
	global_load_dwordx2 v[11:12], v[10:11], off
	s_waitcnt vmcnt(0)
	v_subrev_u32_e32 v10, s16, v11
	v_subrev_u32_e32 v24, s16, v12
	v_add_u32_e32 v10, v10, v0
	v_cmp_lt_i32_e64 s[0:1], v10, v24
	s_cbranch_scc0 .LBB294_12
; %bb.5:
	v_mov_b32_e32 v14, 0
	v_mov_b32_e32 v18, 0
	;; [unrolled: 1-line block ×8, first 2 shown]
	s_and_saveexec_b64 s[8:9], s[0:1]
	s_cbranch_execz .LBB294_11
; %bb.6:
	v_mul_lo_u32 v25, v10, 30
	v_mov_b32_e32 v14, 0
	v_mov_b32_e32 v18, 0
	;; [unrolled: 1-line block ×5, first 2 shown]
	s_mov_b64 s[18:19], 0
	v_mov_b32_e32 v26, s11
	v_mov_b32_e32 v21, 0
	;; [unrolled: 1-line block ×8, first 2 shown]
.LBB294_7:                              ; =>This Loop Header: Depth=1
                                        ;     Child Loop BB294_8 Depth 2
	v_ashrrev_i32_e32 v23, 31, v22
	v_lshlrev_b64 v[29:30], 2, v[22:23]
	s_mov_b32 s17, 0
	v_add_co_u32_e32 v29, vcc, s10, v29
	v_addc_co_u32_e32 v30, vcc, v26, v30, vcc
	global_load_dword v20, v[29:30], off
	s_waitcnt vmcnt(0)
	v_subrev_u32_e32 v20, s16, v20
	v_mul_lo_u32 v23, v20, 15
	v_mov_b32_e32 v20, v25
.LBB294_8:                              ;   Parent Loop BB294_7 Depth=1
                                        ; =>  This Inner Loop Header: Depth=2
	v_lshlrev_b64 v[29:30], 4, v[20:21]
	v_add_u32_e32 v31, s17, v23
	v_mov_b32_e32 v32, v21
	v_add_u32_e32 v36, 4, v20
	v_mov_b32_e32 v37, v21
	v_lshlrev_b64 v[39:40], 4, v[31:32]
	v_add_co_u32_e32 v45, vcc, s12, v29
	v_mov_b32_e32 v38, v21
	v_lshlrev_b64 v[43:44], 4, v[36:37]
	v_add_u32_e32 v37, 2, v31
	v_addc_co_u32_e32 v46, vcc, v27, v30, vcc
	v_add_u32_e32 v33, 2, v20
	v_mov_b32_e32 v34, v21
	v_lshlrev_b64 v[49:50], 4, v[37:38]
	v_add_co_u32_e32 v37, vcc, s14, v39
	v_mov_b32_e32 v35, v21
	v_lshlrev_b64 v[41:42], 4, v[33:34]
	v_add_u32_e32 v34, 1, v31
	v_addc_co_u32_e32 v38, vcc, v28, v40, vcc
	v_lshlrev_b64 v[47:48], 4, v[34:35]
	global_load_dwordx4 v[29:32], v[45:46], off offset:16
	global_load_dwordx4 v[33:36], v[45:46], off
	v_add_co_u32_e64 v41, s[2:3], s12, v41
	global_load_dwordx4 v[37:40], v[37:38], off
	v_add_co_u32_e64 v51, s[6:7], s12, v43
	v_addc_co_u32_e64 v42, vcc, v27, v42, s[2:3]
	v_addc_co_u32_e64 v52, vcc, v27, v44, s[6:7]
	v_add_co_u32_e32 v45, vcc, s14, v47
	v_addc_co_u32_e32 v46, vcc, v28, v48, vcc
	global_load_dwordx4 v[45:48], v[45:46], off
	v_add_co_u32_e64 v49, s[2:3], s14, v49
	v_addc_co_u32_e64 v50, vcc, v28, v50, s[2:3]
	s_add_i32 s17, s17, 3
	s_cmp_eq_u32 s17, 15
	v_add_u32_e32 v20, 6, v20
	s_waitcnt vmcnt(1)
	v_fma_f64 v[18:19], v[33:34], v[37:38], v[18:19]
	v_fma_f64 v[14:15], v[35:36], v[37:38], v[14:15]
	;; [unrolled: 1-line block ×3, first 2 shown]
	v_fma_f64 v[18:19], -v[35:36], v[39:40], v[18:19]
	v_fma_f64 v[53:54], v[33:34], v[39:40], v[14:15]
	global_load_dwordx4 v[33:36], v[41:42], off offset:16
	v_fma_f64 v[14:15], v[29:30], v[37:38], v[16:17]
	global_load_dwordx4 v[41:44], v[41:42], off
	v_fma_f64 v[55:56], v[29:30], v[39:40], v[12:13]
	v_fma_f64 v[16:17], -v[31:32], v[39:40], v[14:15]
	global_load_dwordx4 v[29:32], v[51:52], off offset:16
	global_load_dwordx4 v[12:15], v[51:52], off
	global_load_dwordx4 v[37:40], v[49:50], off
	s_waitcnt vmcnt(4)
	v_fma_f64 v[16:17], v[33:34], v[45:46], v[16:17]
	s_waitcnt vmcnt(3)
	v_fma_f64 v[18:19], v[41:42], v[45:46], v[18:19]
	v_fma_f64 v[49:50], v[43:44], v[45:46], v[53:54]
	;; [unrolled: 1-line block ×3, first 2 shown]
	v_fma_f64 v[16:17], -v[35:36], v[47:48], v[16:17]
	v_fma_f64 v[18:19], -v[43:44], v[47:48], v[18:19]
	v_fma_f64 v[41:42], v[41:42], v[47:48], v[49:50]
	v_fma_f64 v[33:34], v[33:34], v[47:48], v[45:46]
	s_waitcnt vmcnt(0)
	v_fma_f64 v[16:17], v[29:30], v[37:38], v[16:17]
	v_fma_f64 v[18:19], v[12:13], v[37:38], v[18:19]
	;; [unrolled: 1-line block ×4, first 2 shown]
	v_fma_f64 v[16:17], -v[31:32], v[39:40], v[16:17]
	v_fma_f64 v[18:19], -v[14:15], v[39:40], v[18:19]
	v_fma_f64 v[14:15], v[12:13], v[39:40], v[35:36]
	v_fma_f64 v[12:13], v[29:30], v[39:40], v[33:34]
	s_cbranch_scc0 .LBB294_8
; %bb.9:                                ;   in Loop: Header=BB294_7 Depth=1
	v_add_u32_e32 v22, 8, v22
	v_cmp_ge_i32_e32 vcc, v22, v24
	s_or_b64 s[18:19], vcc, s[18:19]
	v_add_u32_e32 v25, 0xf0, v25
	s_andn2_b64 exec, exec, s[18:19]
	s_cbranch_execnz .LBB294_7
; %bb.10:
	s_or_b64 exec, exec, s[18:19]
.LBB294_11:
	s_or_b64 exec, exec, s[8:9]
	s_cbranch_execz .LBB294_13
	s_branch .LBB294_20
.LBB294_12:
                                        ; implicit-def: $vgpr14_vgpr15
                                        ; implicit-def: $vgpr18_vgpr19
                                        ; implicit-def: $vgpr16_vgpr17
                                        ; implicit-def: $vgpr12_vgpr13
.LBB294_13:
	v_mov_b32_e32 v14, 0
	v_mov_b32_e32 v18, 0
	;; [unrolled: 1-line block ×8, first 2 shown]
	s_and_saveexec_b64 s[2:3], s[0:1]
	s_cbranch_execz .LBB294_19
; %bb.14:
	v_mul_lo_u32 v11, v11, 30
	v_mul_lo_u32 v22, v10, 30
	s_mul_i32 s0, s16, 30
	v_mov_b32_e32 v14, 0
	v_mad_u32_u24 v11, v0, 30, v11
	v_mov_b32_e32 v18, 0
	v_mov_b32_e32 v16, 0
	;; [unrolled: 1-line block ×4, first 2 shown]
	v_subrev_u32_e32 v23, s0, v11
	s_mov_b64 s[0:1], 0
	v_mov_b32_e32 v25, s11
	v_mov_b32_e32 v21, 0
	v_mov_b32_e32 v26, s13
	v_mov_b32_e32 v19, 0
	v_mov_b32_e32 v17, 0
	v_mov_b32_e32 v13, 0
	v_mov_b32_e32 v27, s15
.LBB294_15:                             ; =>This Loop Header: Depth=1
                                        ;     Child Loop BB294_16 Depth 2
	v_ashrrev_i32_e32 v11, 31, v10
	v_lshlrev_b64 v[28:29], 2, v[10:11]
	s_mov_b32 s6, 0
	v_add_co_u32_e32 v28, vcc, s10, v28
	v_addc_co_u32_e32 v29, vcc, v25, v29, vcc
	global_load_dword v11, v[28:29], off
	s_waitcnt vmcnt(0)
	v_subrev_u32_e32 v11, s16, v11
	v_mul_lo_u32 v11, v11, 15
.LBB294_16:                             ;   Parent Loop BB294_15 Depth=1
                                        ; =>  This Inner Loop Header: Depth=2
	v_add_u32_e32 v20, s6, v23
	v_add_u32_e32 v48, s6, v22
	v_lshlrev_b64 v[32:33], 4, v[20:21]
	v_mov_b32_e32 v29, v21
	v_add_u32_e32 v20, s6, v11
	v_add_u32_e32 v28, 15, v48
	v_lshlrev_b64 v[34:35], 4, v[20:21]
	v_lshlrev_b64 v[36:37], 4, v[28:29]
	v_add_co_u32_e32 v28, vcc, s12, v32
	v_addc_co_u32_e32 v29, vcc, v26, v33, vcc
	v_add_co_u32_e32 v32, vcc, s14, v34
	v_mov_b32_e32 v31, v21
	v_add_u32_e32 v30, 1, v48
	v_addc_co_u32_e32 v33, vcc, v27, v35, vcc
	v_lshlrev_b64 v[38:39], 4, v[30:31]
	global_load_dwordx4 v[28:31], v[28:29], off
	v_add_co_u32_e32 v40, vcc, s12, v36
	global_load_dwordx4 v[32:35], v[32:33], off
	v_addc_co_u32_e32 v41, vcc, v26, v37, vcc
	v_add_co_u32_e32 v42, vcc, s12, v38
	v_addc_co_u32_e32 v43, vcc, v26, v39, vcc
	s_add_i32 s6, s6, 3
	s_cmp_eq_u32 s6, 15
	s_waitcnt vmcnt(0)
	v_fma_f64 v[18:19], v[28:29], v[32:33], v[18:19]
	v_fma_f64 v[14:15], v[30:31], v[32:33], v[14:15]
	v_fma_f64 v[18:19], -v[30:31], v[34:35], v[18:19]
	v_fma_f64 v[44:45], v[28:29], v[34:35], v[14:15]
	global_load_dwordx4 v[28:31], v[40:41], off
	global_load_dwordx4 v[36:39], v[42:43], off
	s_waitcnt vmcnt(1)
	v_fma_f64 v[14:15], v[28:29], v[32:33], v[16:17]
	v_fma_f64 v[12:13], v[30:31], v[32:33], v[12:13]
	v_mov_b32_e32 v17, v21
	v_add_u32_e32 v16, 2, v48
	v_lshlrev_b64 v[16:17], 4, v[16:17]
	v_fma_f64 v[32:33], -v[30:31], v[34:35], v[14:15]
	v_mov_b32_e32 v15, v21
	v_add_u32_e32 v14, 16, v48
	v_lshlrev_b64 v[14:15], 4, v[14:15]
	v_fma_f64 v[34:35], v[28:29], v[34:35], v[12:13]
	v_add_co_u32_e32 v40, vcc, s12, v14
	v_mov_b32_e32 v13, v21
	v_add_u32_e32 v12, 1, v20
	v_addc_co_u32_e32 v41, vcc, v26, v15, vcc
	v_lshlrev_b64 v[12:13], 4, v[12:13]
	v_add_co_u32_e32 v42, vcc, s12, v16
	v_addc_co_u32_e32 v43, vcc, v26, v17, vcc
	v_add_co_u32_e32 v12, vcc, s14, v12
	v_addc_co_u32_e32 v13, vcc, v27, v13, vcc
	global_load_dwordx4 v[12:15], v[12:13], off
	v_add_u32_e32 v20, 2, v20
	s_waitcnt vmcnt(0)
	v_fma_f64 v[16:17], v[36:37], v[12:13], v[18:19]
	v_fma_f64 v[18:19], v[38:39], v[12:13], v[44:45]
	v_fma_f64 v[44:45], -v[38:39], v[14:15], v[16:17]
	v_fma_f64 v[46:47], v[36:37], v[14:15], v[18:19]
	global_load_dwordx4 v[16:19], v[40:41], off
	global_load_dwordx4 v[28:31], v[42:43], off
	s_waitcnt vmcnt(1)
	v_fma_f64 v[32:33], v[16:17], v[12:13], v[32:33]
	v_fma_f64 v[12:13], v[18:19], v[12:13], v[34:35]
	v_fma_f64 v[18:19], -v[18:19], v[14:15], v[32:33]
	v_fma_f64 v[12:13], v[16:17], v[14:15], v[12:13]
	v_lshlrev_b64 v[14:15], 4, v[20:21]
	v_add_u32_e32 v20, 17, v48
	v_lshlrev_b64 v[16:17], 4, v[20:21]
	v_add_co_u32_e32 v14, vcc, s14, v14
	v_addc_co_u32_e32 v15, vcc, v27, v15, vcc
	global_load_dwordx4 v[32:35], v[14:15], off
	v_add_co_u32_e32 v14, vcc, s12, v16
	v_addc_co_u32_e32 v15, vcc, v26, v17, vcc
	global_load_dwordx4 v[36:39], v[14:15], off
	s_waitcnt vmcnt(1)
	v_fma_f64 v[14:15], v[28:29], v[32:33], v[44:45]
	v_fma_f64 v[16:17], v[30:31], v[32:33], v[46:47]
	s_waitcnt vmcnt(0)
	v_fma_f64 v[40:41], v[36:37], v[32:33], v[18:19]
	v_fma_f64 v[12:13], v[38:39], v[32:33], v[12:13]
	v_fma_f64 v[18:19], -v[30:31], v[34:35], v[14:15]
	v_fma_f64 v[14:15], v[28:29], v[34:35], v[16:17]
	v_fma_f64 v[16:17], -v[38:39], v[34:35], v[40:41]
	v_fma_f64 v[12:13], v[36:37], v[34:35], v[12:13]
	s_cbranch_scc0 .LBB294_16
; %bb.17:                               ;   in Loop: Header=BB294_15 Depth=1
	v_add_u32_e32 v10, 8, v10
	v_cmp_ge_i32_e32 vcc, v10, v24
	v_add_u32_e32 v22, 0xf0, v22
	s_or_b64 s[0:1], vcc, s[0:1]
	v_add_u32_e32 v23, 0xf0, v23
	s_andn2_b64 exec, exec, s[0:1]
	s_cbranch_execnz .LBB294_15
; %bb.18:
	s_or_b64 exec, exec, s[0:1]
.LBB294_19:
	s_or_b64 exec, exec, s[2:3]
.LBB294_20:
	v_mov_b32_dpp v10, v18 row_shr:1 row_mask:0xf bank_mask:0xf
	v_mov_b32_dpp v11, v19 row_shr:1 row_mask:0xf bank_mask:0xf
	v_add_f64 v[10:11], v[18:19], v[10:11]
	v_mov_b32_dpp v18, v14 row_shr:1 row_mask:0xf bank_mask:0xf
	v_mov_b32_dpp v19, v15 row_shr:1 row_mask:0xf bank_mask:0xf
	;; [unrolled: 1-line block ×4, first 2 shown]
	v_add_f64 v[14:15], v[14:15], v[18:19]
	v_add_f64 v[16:17], v[16:17], v[20:21]
	v_mov_b32_dpp v20, v12 row_shr:1 row_mask:0xf bank_mask:0xf
	v_mov_b32_dpp v21, v13 row_shr:1 row_mask:0xf bank_mask:0xf
	v_add_f64 v[20:21], v[12:13], v[20:21]
	v_mov_b32_dpp v18, v10 row_shr:2 row_mask:0xf bank_mask:0xf
	v_mov_b32_dpp v19, v11 row_shr:2 row_mask:0xf bank_mask:0xf
	;; [unrolled: 3-line block ×6, first 2 shown]
	v_mov_b32_dpp v16, v12 row_shr:4 row_mask:0xf bank_mask:0xe
	v_mov_b32_dpp v17, v13 row_shr:4 row_mask:0xf bank_mask:0xe
	;; [unrolled: 1-line block ×4, first 2 shown]
	v_cmp_eq_u32_e32 vcc, 7, v0
	v_mov_b32_dpp v20, v14 row_shr:4 row_mask:0xf bank_mask:0xe
	v_mov_b32_dpp v21, v15 row_shr:4 row_mask:0xf bank_mask:0xe
	s_and_b64 exec, exec, vcc
	s_cbranch_execz .LBB294_25
; %bb.21:
	v_cmp_eq_f64_e32 vcc, 0, v[5:6]
	v_cmp_eq_f64_e64 s[0:1], 0, v[7:8]
	v_add_f64 v[10:11], v[10:11], v[24:25]
	v_add_f64 v[16:17], v[12:13], v[16:17]
	;; [unrolled: 1-line block ×4, first 2 shown]
	s_load_dwordx2 s[2:3], s[4:5], 0x48
	s_and_b64 s[0:1], vcc, s[0:1]
	s_and_saveexec_b64 s[4:5], s[0:1]
	s_xor_b64 s[0:1], exec, s[4:5]
	s_cbranch_execz .LBB294_23
; %bb.22:
	v_mul_f64 v[5:6], v[16:17], -v[3:4]
	v_mul_f64 v[7:8], v[1:2], v[16:17]
	v_mul_f64 v[16:17], v[14:15], -v[3:4]
	v_mul_f64 v[14:15], v[1:2], v[14:15]
	v_lshlrev_b32_e32 v9, 1, v9
	s_waitcnt lgkmcnt(0)
	v_mov_b32_e32 v18, s3
	v_fma_f64 v[5:6], v[1:2], v[10:11], v[5:6]
	v_fma_f64 v[7:8], v[3:4], v[10:11], v[7:8]
	;; [unrolled: 1-line block ×4, first 2 shown]
	v_ashrrev_i32_e32 v10, 31, v9
	v_lshlrev_b64 v[9:10], 4, v[9:10]
                                        ; implicit-def: $vgpr16_vgpr17
                                        ; implicit-def: $vgpr12_vgpr13
                                        ; implicit-def: $vgpr14_vgpr15
	v_add_co_u32_e32 v9, vcc, s2, v9
	v_addc_co_u32_e32 v10, vcc, v18, v10, vcc
	global_store_dwordx4 v[9:10], v[5:8], off
	global_store_dwordx4 v[9:10], v[0:3], off offset:16
                                        ; implicit-def: $vgpr9
                                        ; implicit-def: $vgpr10_vgpr11
                                        ; implicit-def: $vgpr7_vgpr8
                                        ; implicit-def: $vgpr3_vgpr4
.LBB294_23:
	s_andn2_saveexec_b64 s[0:1], s[0:1]
	s_cbranch_execz .LBB294_25
; %bb.24:
	v_lshlrev_b32_e32 v18, 1, v9
	v_ashrrev_i32_e32 v19, 31, v18
	v_lshlrev_b64 v[18:19], 4, v[18:19]
	s_waitcnt lgkmcnt(0)
	v_mov_b32_e32 v0, s3
	v_add_co_u32_e32 v26, vcc, s2, v18
	v_addc_co_u32_e32 v27, vcc, v0, v19, vcc
	global_load_dwordx4 v[18:21], v[26:27], off
	global_load_dwordx4 v[22:25], v[26:27], off offset:16
	v_mul_f64 v[28:29], v[16:17], -v[3:4]
	v_mul_f64 v[16:17], v[1:2], v[16:17]
	v_mul_f64 v[30:31], v[14:15], -v[3:4]
	v_mul_f64 v[14:15], v[1:2], v[14:15]
	v_fma_f64 v[28:29], v[1:2], v[10:11], v[28:29]
	v_fma_f64 v[9:10], v[3:4], v[10:11], v[16:17]
	;; [unrolled: 1-line block ×4, first 2 shown]
	s_waitcnt vmcnt(1)
	v_fma_f64 v[11:12], v[5:6], v[18:19], v[28:29]
	v_fma_f64 v[9:10], v[7:8], v[18:19], v[9:10]
	s_waitcnt vmcnt(0)
	v_fma_f64 v[13:14], v[5:6], v[22:23], v[0:1]
	v_fma_f64 v[15:16], v[7:8], v[22:23], v[2:3]
	v_fma_f64 v[0:1], -v[7:8], v[20:21], v[11:12]
	v_fma_f64 v[2:3], v[5:6], v[20:21], v[9:10]
	v_fma_f64 v[7:8], -v[7:8], v[24:25], v[13:14]
	v_fma_f64 v[9:10], v[5:6], v[24:25], v[15:16]
	global_store_dwordx4 v[26:27], v[0:3], off
	global_store_dwordx4 v[26:27], v[7:10], off offset:16
.LBB294_25:
	s_endpgm
	.section	.rodata,"a",@progbits
	.p2align	6, 0x0
	.amdhsa_kernel _ZN9rocsparseL19gebsrmvn_2xn_kernelILj128ELj15ELj8E21rocsparse_complex_numIdEEEvi20rocsparse_direction_NS_24const_host_device_scalarIT2_EEPKiS8_PKS5_SA_S6_PS5_21rocsparse_index_base_b
		.amdhsa_group_segment_fixed_size 0
		.amdhsa_private_segment_fixed_size 0
		.amdhsa_kernarg_size 88
		.amdhsa_user_sgpr_count 6
		.amdhsa_user_sgpr_private_segment_buffer 1
		.amdhsa_user_sgpr_dispatch_ptr 0
		.amdhsa_user_sgpr_queue_ptr 0
		.amdhsa_user_sgpr_kernarg_segment_ptr 1
		.amdhsa_user_sgpr_dispatch_id 0
		.amdhsa_user_sgpr_flat_scratch_init 0
		.amdhsa_user_sgpr_private_segment_size 0
		.amdhsa_uses_dynamic_stack 0
		.amdhsa_system_sgpr_private_segment_wavefront_offset 0
		.amdhsa_system_sgpr_workgroup_id_x 1
		.amdhsa_system_sgpr_workgroup_id_y 0
		.amdhsa_system_sgpr_workgroup_id_z 0
		.amdhsa_system_sgpr_workgroup_info 0
		.amdhsa_system_vgpr_workitem_id 0
		.amdhsa_next_free_vgpr 57
		.amdhsa_next_free_sgpr 20
		.amdhsa_reserve_vcc 1
		.amdhsa_reserve_flat_scratch 0
		.amdhsa_float_round_mode_32 0
		.amdhsa_float_round_mode_16_64 0
		.amdhsa_float_denorm_mode_32 3
		.amdhsa_float_denorm_mode_16_64 3
		.amdhsa_dx10_clamp 1
		.amdhsa_ieee_mode 1
		.amdhsa_fp16_overflow 0
		.amdhsa_exception_fp_ieee_invalid_op 0
		.amdhsa_exception_fp_denorm_src 0
		.amdhsa_exception_fp_ieee_div_zero 0
		.amdhsa_exception_fp_ieee_overflow 0
		.amdhsa_exception_fp_ieee_underflow 0
		.amdhsa_exception_fp_ieee_inexact 0
		.amdhsa_exception_int_div_zero 0
	.end_amdhsa_kernel
	.section	.text._ZN9rocsparseL19gebsrmvn_2xn_kernelILj128ELj15ELj8E21rocsparse_complex_numIdEEEvi20rocsparse_direction_NS_24const_host_device_scalarIT2_EEPKiS8_PKS5_SA_S6_PS5_21rocsparse_index_base_b,"axG",@progbits,_ZN9rocsparseL19gebsrmvn_2xn_kernelILj128ELj15ELj8E21rocsparse_complex_numIdEEEvi20rocsparse_direction_NS_24const_host_device_scalarIT2_EEPKiS8_PKS5_SA_S6_PS5_21rocsparse_index_base_b,comdat
.Lfunc_end294:
	.size	_ZN9rocsparseL19gebsrmvn_2xn_kernelILj128ELj15ELj8E21rocsparse_complex_numIdEEEvi20rocsparse_direction_NS_24const_host_device_scalarIT2_EEPKiS8_PKS5_SA_S6_PS5_21rocsparse_index_base_b, .Lfunc_end294-_ZN9rocsparseL19gebsrmvn_2xn_kernelILj128ELj15ELj8E21rocsparse_complex_numIdEEEvi20rocsparse_direction_NS_24const_host_device_scalarIT2_EEPKiS8_PKS5_SA_S6_PS5_21rocsparse_index_base_b
                                        ; -- End function
	.set _ZN9rocsparseL19gebsrmvn_2xn_kernelILj128ELj15ELj8E21rocsparse_complex_numIdEEEvi20rocsparse_direction_NS_24const_host_device_scalarIT2_EEPKiS8_PKS5_SA_S6_PS5_21rocsparse_index_base_b.num_vgpr, 57
	.set _ZN9rocsparseL19gebsrmvn_2xn_kernelILj128ELj15ELj8E21rocsparse_complex_numIdEEEvi20rocsparse_direction_NS_24const_host_device_scalarIT2_EEPKiS8_PKS5_SA_S6_PS5_21rocsparse_index_base_b.num_agpr, 0
	.set _ZN9rocsparseL19gebsrmvn_2xn_kernelILj128ELj15ELj8E21rocsparse_complex_numIdEEEvi20rocsparse_direction_NS_24const_host_device_scalarIT2_EEPKiS8_PKS5_SA_S6_PS5_21rocsparse_index_base_b.numbered_sgpr, 20
	.set _ZN9rocsparseL19gebsrmvn_2xn_kernelILj128ELj15ELj8E21rocsparse_complex_numIdEEEvi20rocsparse_direction_NS_24const_host_device_scalarIT2_EEPKiS8_PKS5_SA_S6_PS5_21rocsparse_index_base_b.num_named_barrier, 0
	.set _ZN9rocsparseL19gebsrmvn_2xn_kernelILj128ELj15ELj8E21rocsparse_complex_numIdEEEvi20rocsparse_direction_NS_24const_host_device_scalarIT2_EEPKiS8_PKS5_SA_S6_PS5_21rocsparse_index_base_b.private_seg_size, 0
	.set _ZN9rocsparseL19gebsrmvn_2xn_kernelILj128ELj15ELj8E21rocsparse_complex_numIdEEEvi20rocsparse_direction_NS_24const_host_device_scalarIT2_EEPKiS8_PKS5_SA_S6_PS5_21rocsparse_index_base_b.uses_vcc, 1
	.set _ZN9rocsparseL19gebsrmvn_2xn_kernelILj128ELj15ELj8E21rocsparse_complex_numIdEEEvi20rocsparse_direction_NS_24const_host_device_scalarIT2_EEPKiS8_PKS5_SA_S6_PS5_21rocsparse_index_base_b.uses_flat_scratch, 0
	.set _ZN9rocsparseL19gebsrmvn_2xn_kernelILj128ELj15ELj8E21rocsparse_complex_numIdEEEvi20rocsparse_direction_NS_24const_host_device_scalarIT2_EEPKiS8_PKS5_SA_S6_PS5_21rocsparse_index_base_b.has_dyn_sized_stack, 0
	.set _ZN9rocsparseL19gebsrmvn_2xn_kernelILj128ELj15ELj8E21rocsparse_complex_numIdEEEvi20rocsparse_direction_NS_24const_host_device_scalarIT2_EEPKiS8_PKS5_SA_S6_PS5_21rocsparse_index_base_b.has_recursion, 0
	.set _ZN9rocsparseL19gebsrmvn_2xn_kernelILj128ELj15ELj8E21rocsparse_complex_numIdEEEvi20rocsparse_direction_NS_24const_host_device_scalarIT2_EEPKiS8_PKS5_SA_S6_PS5_21rocsparse_index_base_b.has_indirect_call, 0
	.section	.AMDGPU.csdata,"",@progbits
; Kernel info:
; codeLenInByte = 2312
; TotalNumSgprs: 24
; NumVgprs: 57
; ScratchSize: 0
; MemoryBound: 0
; FloatMode: 240
; IeeeMode: 1
; LDSByteSize: 0 bytes/workgroup (compile time only)
; SGPRBlocks: 2
; VGPRBlocks: 14
; NumSGPRsForWavesPerEU: 24
; NumVGPRsForWavesPerEU: 57
; Occupancy: 4
; WaveLimiterHint : 1
; COMPUTE_PGM_RSRC2:SCRATCH_EN: 0
; COMPUTE_PGM_RSRC2:USER_SGPR: 6
; COMPUTE_PGM_RSRC2:TRAP_HANDLER: 0
; COMPUTE_PGM_RSRC2:TGID_X_EN: 1
; COMPUTE_PGM_RSRC2:TGID_Y_EN: 0
; COMPUTE_PGM_RSRC2:TGID_Z_EN: 0
; COMPUTE_PGM_RSRC2:TIDIG_COMP_CNT: 0
	.section	.text._ZN9rocsparseL19gebsrmvn_2xn_kernelILj128ELj15ELj16E21rocsparse_complex_numIdEEEvi20rocsparse_direction_NS_24const_host_device_scalarIT2_EEPKiS8_PKS5_SA_S6_PS5_21rocsparse_index_base_b,"axG",@progbits,_ZN9rocsparseL19gebsrmvn_2xn_kernelILj128ELj15ELj16E21rocsparse_complex_numIdEEEvi20rocsparse_direction_NS_24const_host_device_scalarIT2_EEPKiS8_PKS5_SA_S6_PS5_21rocsparse_index_base_b,comdat
	.globl	_ZN9rocsparseL19gebsrmvn_2xn_kernelILj128ELj15ELj16E21rocsparse_complex_numIdEEEvi20rocsparse_direction_NS_24const_host_device_scalarIT2_EEPKiS8_PKS5_SA_S6_PS5_21rocsparse_index_base_b ; -- Begin function _ZN9rocsparseL19gebsrmvn_2xn_kernelILj128ELj15ELj16E21rocsparse_complex_numIdEEEvi20rocsparse_direction_NS_24const_host_device_scalarIT2_EEPKiS8_PKS5_SA_S6_PS5_21rocsparse_index_base_b
	.p2align	8
	.type	_ZN9rocsparseL19gebsrmvn_2xn_kernelILj128ELj15ELj16E21rocsparse_complex_numIdEEEvi20rocsparse_direction_NS_24const_host_device_scalarIT2_EEPKiS8_PKS5_SA_S6_PS5_21rocsparse_index_base_b,@function
_ZN9rocsparseL19gebsrmvn_2xn_kernelILj128ELj15ELj16E21rocsparse_complex_numIdEEEvi20rocsparse_direction_NS_24const_host_device_scalarIT2_EEPKiS8_PKS5_SA_S6_PS5_21rocsparse_index_base_b: ; @_ZN9rocsparseL19gebsrmvn_2xn_kernelILj128ELj15ELj16E21rocsparse_complex_numIdEEEvi20rocsparse_direction_NS_24const_host_device_scalarIT2_EEPKiS8_PKS5_SA_S6_PS5_21rocsparse_index_base_b
; %bb.0:
	s_load_dwordx2 s[0:1], s[4:5], 0x8
	s_load_dwordx2 s[2:3], s[4:5], 0x38
	;; [unrolled: 1-line block ×3, first 2 shown]
	s_add_u32 s7, s4, 8
	s_addc_u32 s8, s5, 0
	s_add_u32 s9, s4, 56
	s_addc_u32 s10, s5, 0
	s_waitcnt lgkmcnt(0)
	s_bitcmp1_b32 s17, 0
	s_cselect_b32 s1, s8, s1
	s_cselect_b32 s0, s7, s0
	v_mov_b32_e32 v1, s0
	v_mov_b32_e32 v2, s1
	flat_load_dwordx4 v[1:4], v[1:2]
	s_cselect_b32 s0, s10, s3
	s_cselect_b32 s1, s9, s2
	v_mov_b32_e32 v5, s1
	v_mov_b32_e32 v6, s0
	flat_load_dwordx4 v[5:8], v[5:6]
	s_waitcnt vmcnt(0) lgkmcnt(0)
	v_cmp_eq_f64_e32 vcc, 0, v[1:2]
	v_cmp_eq_f64_e64 s[0:1], 0, v[3:4]
	s_and_b64 s[8:9], vcc, s[0:1]
	s_mov_b64 s[0:1], -1
	s_and_saveexec_b64 s[2:3], s[8:9]
	s_cbranch_execz .LBB295_2
; %bb.1:
	v_cmp_neq_f64_e32 vcc, 1.0, v[5:6]
	v_cmp_neq_f64_e64 s[0:1], 0, v[7:8]
	s_or_b64 s[0:1], vcc, s[0:1]
	s_orn2_b64 s[0:1], s[0:1], exec
.LBB295_2:
	s_or_b64 exec, exec, s[2:3]
	s_and_saveexec_b64 s[2:3], s[0:1]
	s_cbranch_execz .LBB295_25
; %bb.3:
	s_load_dwordx2 s[0:1], s[4:5], 0x0
	v_lshrrev_b32_e32 v9, 4, v0
	v_lshl_or_b32 v9, s6, 3, v9
	s_waitcnt lgkmcnt(0)
	v_cmp_gt_i32_e32 vcc, s0, v9
	s_and_b64 exec, exec, vcc
	s_cbranch_execz .LBB295_25
; %bb.4:
	s_load_dwordx8 s[8:15], s[4:5], 0x18
	v_ashrrev_i32_e32 v10, 31, v9
	v_lshlrev_b64 v[10:11], 2, v[9:10]
	v_and_b32_e32 v0, 15, v0
	s_cmp_lg_u32 s1, 0
	s_waitcnt lgkmcnt(0)
	v_mov_b32_e32 v12, s9
	v_add_co_u32_e32 v10, vcc, s8, v10
	v_addc_co_u32_e32 v11, vcc, v12, v11, vcc
	global_load_dwordx2 v[11:12], v[10:11], off
	s_waitcnt vmcnt(0)
	v_subrev_u32_e32 v10, s16, v11
	v_subrev_u32_e32 v24, s16, v12
	v_add_u32_e32 v10, v10, v0
	v_cmp_lt_i32_e64 s[0:1], v10, v24
	s_cbranch_scc0 .LBB295_12
; %bb.5:
	v_mov_b32_e32 v16, 0
	v_mov_b32_e32 v18, 0
	;; [unrolled: 1-line block ×8, first 2 shown]
	s_and_saveexec_b64 s[8:9], s[0:1]
	s_cbranch_execz .LBB295_11
; %bb.6:
	v_mul_lo_u32 v25, v10, 30
	v_mov_b32_e32 v16, 0
	v_mov_b32_e32 v18, 0
	;; [unrolled: 1-line block ×5, first 2 shown]
	s_mov_b64 s[18:19], 0
	v_mov_b32_e32 v26, s11
	v_mov_b32_e32 v21, 0
	v_mov_b32_e32 v27, s13
	v_mov_b32_e32 v28, s15
	v_mov_b32_e32 v19, 0
	v_mov_b32_e32 v13, 0
	v_mov_b32_e32 v15, 0
	v_mov_b32_e32 v22, v10
.LBB295_7:                              ; =>This Loop Header: Depth=1
                                        ;     Child Loop BB295_8 Depth 2
	v_ashrrev_i32_e32 v23, 31, v22
	v_lshlrev_b64 v[29:30], 2, v[22:23]
	s_mov_b32 s17, 0
	v_add_co_u32_e32 v29, vcc, s10, v29
	v_addc_co_u32_e32 v30, vcc, v26, v30, vcc
	global_load_dword v20, v[29:30], off
	s_waitcnt vmcnt(0)
	v_subrev_u32_e32 v20, s16, v20
	v_mul_lo_u32 v23, v20, 15
	v_mov_b32_e32 v20, v25
.LBB295_8:                              ;   Parent Loop BB295_7 Depth=1
                                        ; =>  This Inner Loop Header: Depth=2
	v_lshlrev_b64 v[29:30], 4, v[20:21]
	v_add_u32_e32 v31, s17, v23
	v_mov_b32_e32 v32, v21
	v_add_u32_e32 v36, 4, v20
	v_mov_b32_e32 v37, v21
	v_lshlrev_b64 v[39:40], 4, v[31:32]
	v_add_co_u32_e32 v45, vcc, s12, v29
	v_mov_b32_e32 v38, v21
	v_lshlrev_b64 v[43:44], 4, v[36:37]
	v_add_u32_e32 v37, 2, v31
	v_addc_co_u32_e32 v46, vcc, v27, v30, vcc
	v_add_u32_e32 v33, 2, v20
	v_mov_b32_e32 v34, v21
	v_lshlrev_b64 v[49:50], 4, v[37:38]
	v_add_co_u32_e32 v37, vcc, s14, v39
	v_mov_b32_e32 v35, v21
	v_lshlrev_b64 v[41:42], 4, v[33:34]
	v_add_u32_e32 v34, 1, v31
	v_addc_co_u32_e32 v38, vcc, v28, v40, vcc
	v_lshlrev_b64 v[47:48], 4, v[34:35]
	global_load_dwordx4 v[29:32], v[45:46], off offset:16
	global_load_dwordx4 v[33:36], v[45:46], off
	v_add_co_u32_e64 v41, s[2:3], s12, v41
	global_load_dwordx4 v[37:40], v[37:38], off
	v_add_co_u32_e64 v51, s[6:7], s12, v43
	v_addc_co_u32_e64 v42, vcc, v27, v42, s[2:3]
	v_addc_co_u32_e64 v52, vcc, v27, v44, s[6:7]
	v_add_co_u32_e32 v43, vcc, s14, v47
	v_addc_co_u32_e32 v44, vcc, v28, v48, vcc
	v_add_co_u32_e64 v45, s[2:3], s14, v49
	v_addc_co_u32_e64 v46, vcc, v28, v50, s[2:3]
	s_add_i32 s17, s17, 3
	s_cmp_eq_u32 s17, 15
	v_add_u32_e32 v20, 6, v20
	s_waitcnt vmcnt(0)
	v_fma_f64 v[18:19], v[33:34], v[37:38], v[18:19]
	v_fma_f64 v[16:17], v[35:36], v[37:38], v[16:17]
	;; [unrolled: 1-line block ×4, first 2 shown]
	v_fma_f64 v[53:54], -v[35:36], v[39:40], v[18:19]
	v_fma_f64 v[55:56], v[33:34], v[39:40], v[16:17]
	global_load_dwordx4 v[16:19], v[41:42], off offset:16
	global_load_dwordx4 v[33:36], v[41:42], off
	v_fma_f64 v[47:48], -v[31:32], v[39:40], v[12:13]
	global_load_dwordx4 v[41:44], v[43:44], off
	v_fma_f64 v[49:50], v[29:30], v[39:40], v[14:15]
	global_load_dwordx4 v[29:32], v[51:52], off offset:16
	global_load_dwordx4 v[12:15], v[51:52], off
	global_load_dwordx4 v[37:40], v[45:46], off
	s_waitcnt vmcnt(3)
	v_fma_f64 v[45:46], v[33:34], v[41:42], v[53:54]
	v_fma_f64 v[51:52], v[35:36], v[41:42], v[55:56]
	;; [unrolled: 1-line block ×4, first 2 shown]
	v_fma_f64 v[35:36], -v[35:36], v[43:44], v[45:46]
	v_fma_f64 v[33:34], v[33:34], v[43:44], v[51:52]
	v_fma_f64 v[18:19], -v[18:19], v[43:44], v[47:48]
	v_fma_f64 v[16:17], v[16:17], v[43:44], v[41:42]
	s_waitcnt vmcnt(0)
	v_fma_f64 v[35:36], v[12:13], v[37:38], v[35:36]
	v_fma_f64 v[33:34], v[14:15], v[37:38], v[33:34]
	v_fma_f64 v[41:42], v[29:30], v[37:38], v[18:19]
	v_fma_f64 v[37:38], v[31:32], v[37:38], v[16:17]
	v_fma_f64 v[18:19], -v[14:15], v[39:40], v[35:36]
	v_fma_f64 v[16:17], v[12:13], v[39:40], v[33:34]
	v_fma_f64 v[12:13], -v[31:32], v[39:40], v[41:42]
	v_fma_f64 v[14:15], v[29:30], v[39:40], v[37:38]
	s_cbranch_scc0 .LBB295_8
; %bb.9:                                ;   in Loop: Header=BB295_7 Depth=1
	v_add_u32_e32 v22, 16, v22
	v_cmp_ge_i32_e32 vcc, v22, v24
	s_or_b64 s[18:19], vcc, s[18:19]
	v_add_u32_e32 v25, 0x1e0, v25
	s_andn2_b64 exec, exec, s[18:19]
	s_cbranch_execnz .LBB295_7
; %bb.10:
	s_or_b64 exec, exec, s[18:19]
.LBB295_11:
	s_or_b64 exec, exec, s[8:9]
	s_cbranch_execz .LBB295_13
	s_branch .LBB295_20
.LBB295_12:
                                        ; implicit-def: $vgpr16_vgpr17
                                        ; implicit-def: $vgpr18_vgpr19
                                        ; implicit-def: $vgpr12_vgpr13
                                        ; implicit-def: $vgpr14_vgpr15
.LBB295_13:
	v_mov_b32_e32 v16, 0
	v_mov_b32_e32 v18, 0
	;; [unrolled: 1-line block ×8, first 2 shown]
	s_and_saveexec_b64 s[2:3], s[0:1]
	s_cbranch_execz .LBB295_19
; %bb.14:
	v_mul_lo_u32 v11, v11, 30
	v_mul_lo_u32 v22, v10, 30
	s_mul_i32 s0, s16, 30
	v_mov_b32_e32 v16, 0
	v_mad_u32_u24 v11, v0, 30, v11
	v_mov_b32_e32 v18, 0
	v_mov_b32_e32 v12, 0
	;; [unrolled: 1-line block ×4, first 2 shown]
	v_subrev_u32_e32 v23, s0, v11
	s_mov_b64 s[0:1], 0
	v_mov_b32_e32 v25, s11
	v_mov_b32_e32 v21, 0
	v_mov_b32_e32 v26, s13
	v_mov_b32_e32 v19, 0
	v_mov_b32_e32 v13, 0
	v_mov_b32_e32 v15, 0
	v_mov_b32_e32 v27, s15
.LBB295_15:                             ; =>This Loop Header: Depth=1
                                        ;     Child Loop BB295_16 Depth 2
	v_ashrrev_i32_e32 v11, 31, v10
	v_lshlrev_b64 v[28:29], 2, v[10:11]
	s_mov_b32 s6, 0
	v_add_co_u32_e32 v28, vcc, s10, v28
	v_addc_co_u32_e32 v29, vcc, v25, v29, vcc
	global_load_dword v11, v[28:29], off
	s_waitcnt vmcnt(0)
	v_subrev_u32_e32 v11, s16, v11
	v_mul_lo_u32 v11, v11, 15
.LBB295_16:                             ;   Parent Loop BB295_15 Depth=1
                                        ; =>  This Inner Loop Header: Depth=2
	v_add_u32_e32 v20, s6, v23
	v_add_u32_e32 v44, s6, v22
	v_lshlrev_b64 v[32:33], 4, v[20:21]
	v_mov_b32_e32 v29, v21
	v_add_u32_e32 v20, s6, v11
	v_add_u32_e32 v28, 15, v44
	v_lshlrev_b64 v[34:35], 4, v[20:21]
	v_lshlrev_b64 v[36:37], 4, v[28:29]
	v_add_co_u32_e32 v28, vcc, s12, v32
	v_addc_co_u32_e32 v29, vcc, v26, v33, vcc
	v_add_co_u32_e32 v32, vcc, s14, v34
	v_mov_b32_e32 v31, v21
	v_add_u32_e32 v30, 1, v44
	v_addc_co_u32_e32 v33, vcc, v27, v35, vcc
	v_lshlrev_b64 v[38:39], 4, v[30:31]
	global_load_dwordx4 v[28:31], v[28:29], off
	v_add_co_u32_e32 v36, vcc, s12, v36
	global_load_dwordx4 v[32:35], v[32:33], off
	v_addc_co_u32_e32 v37, vcc, v26, v37, vcc
	v_add_co_u32_e32 v38, vcc, s12, v38
	v_addc_co_u32_e32 v39, vcc, v26, v39, vcc
	s_add_i32 s6, s6, 3
	s_cmp_eq_u32 s6, 15
	s_waitcnt vmcnt(0)
	v_fma_f64 v[18:19], v[28:29], v[32:33], v[18:19]
	v_fma_f64 v[16:17], v[30:31], v[32:33], v[16:17]
	v_fma_f64 v[40:41], -v[30:31], v[34:35], v[18:19]
	v_fma_f64 v[42:43], v[28:29], v[34:35], v[16:17]
	global_load_dwordx4 v[16:19], v[36:37], off
	global_load_dwordx4 v[28:31], v[38:39], off
	s_waitcnt vmcnt(1)
	v_fma_f64 v[12:13], v[16:17], v[32:33], v[12:13]
	v_fma_f64 v[14:15], v[18:19], v[32:33], v[14:15]
	v_fma_f64 v[32:33], -v[18:19], v[34:35], v[12:13]
	v_fma_f64 v[34:35], v[16:17], v[34:35], v[14:15]
	v_mov_b32_e32 v15, v21
	v_add_u32_e32 v14, 16, v44
	v_lshlrev_b64 v[14:15], 4, v[14:15]
	v_mov_b32_e32 v17, v21
	v_add_u32_e32 v16, 2, v44
	v_lshlrev_b64 v[16:17], 4, v[16:17]
	v_add_co_u32_e32 v36, vcc, s12, v14
	v_mov_b32_e32 v13, v21
	v_add_u32_e32 v12, 1, v20
	v_addc_co_u32_e32 v37, vcc, v26, v15, vcc
	v_lshlrev_b64 v[12:13], 4, v[12:13]
	v_add_co_u32_e32 v38, vcc, s12, v16
	v_addc_co_u32_e32 v39, vcc, v26, v17, vcc
	v_add_co_u32_e32 v12, vcc, s14, v12
	v_addc_co_u32_e32 v13, vcc, v27, v13, vcc
	global_load_dwordx4 v[12:15], v[12:13], off
	v_add_u32_e32 v20, 2, v20
	s_waitcnt vmcnt(0)
	v_fma_f64 v[16:17], v[28:29], v[12:13], v[40:41]
	v_fma_f64 v[18:19], v[30:31], v[12:13], v[42:43]
	v_fma_f64 v[40:41], -v[30:31], v[14:15], v[16:17]
	v_fma_f64 v[42:43], v[28:29], v[14:15], v[18:19]
	global_load_dwordx4 v[16:19], v[36:37], off
	global_load_dwordx4 v[28:31], v[38:39], off
	s_waitcnt vmcnt(1)
	v_fma_f64 v[32:33], v[16:17], v[12:13], v[32:33]
	v_fma_f64 v[12:13], v[18:19], v[12:13], v[34:35]
	v_fma_f64 v[18:19], -v[18:19], v[14:15], v[32:33]
	v_fma_f64 v[16:17], v[16:17], v[14:15], v[12:13]
	v_lshlrev_b64 v[12:13], 4, v[20:21]
	v_add_u32_e32 v20, 17, v44
	v_lshlrev_b64 v[32:33], 4, v[20:21]
	v_add_co_u32_e32 v12, vcc, s14, v12
	v_addc_co_u32_e32 v13, vcc, v27, v13, vcc
	v_add_co_u32_e32 v32, vcc, s12, v32
	v_addc_co_u32_e32 v33, vcc, v26, v33, vcc
	global_load_dwordx4 v[12:15], v[12:13], off
	s_waitcnt vmcnt(0)
	v_fma_f64 v[36:37], v[28:29], v[12:13], v[40:41]
	global_load_dwordx4 v[32:35], v[32:33], off
	v_fma_f64 v[38:39], v[30:31], v[12:13], v[42:43]
	s_waitcnt vmcnt(0)
	v_fma_f64 v[40:41], v[32:33], v[12:13], v[18:19]
	v_fma_f64 v[42:43], v[34:35], v[12:13], v[16:17]
	v_fma_f64 v[18:19], -v[30:31], v[14:15], v[36:37]
	v_fma_f64 v[16:17], v[28:29], v[14:15], v[38:39]
	v_fma_f64 v[12:13], -v[34:35], v[14:15], v[40:41]
	v_fma_f64 v[14:15], v[32:33], v[14:15], v[42:43]
	s_cbranch_scc0 .LBB295_16
; %bb.17:                               ;   in Loop: Header=BB295_15 Depth=1
	v_add_u32_e32 v10, 16, v10
	v_cmp_ge_i32_e32 vcc, v10, v24
	v_add_u32_e32 v22, 0x1e0, v22
	s_or_b64 s[0:1], vcc, s[0:1]
	v_add_u32_e32 v23, 0x1e0, v23
	s_andn2_b64 exec, exec, s[0:1]
	s_cbranch_execnz .LBB295_15
; %bb.18:
	s_or_b64 exec, exec, s[0:1]
.LBB295_19:
	s_or_b64 exec, exec, s[2:3]
.LBB295_20:
	v_mov_b32_dpp v10, v18 row_shr:1 row_mask:0xf bank_mask:0xf
	v_mov_b32_dpp v11, v19 row_shr:1 row_mask:0xf bank_mask:0xf
	v_add_f64 v[10:11], v[18:19], v[10:11]
	v_mov_b32_dpp v18, v16 row_shr:1 row_mask:0xf bank_mask:0xf
	v_mov_b32_dpp v19, v17 row_shr:1 row_mask:0xf bank_mask:0xf
	v_mov_b32_dpp v20, v12 row_shr:1 row_mask:0xf bank_mask:0xf
	v_add_f64 v[16:17], v[16:17], v[18:19]
	v_mov_b32_dpp v21, v13 row_shr:1 row_mask:0xf bank_mask:0xf
	v_add_f64 v[12:13], v[12:13], v[20:21]
	v_cmp_eq_u32_e32 vcc, 15, v0
	v_mov_b32_dpp v18, v10 row_shr:2 row_mask:0xf bank_mask:0xf
	v_mov_b32_dpp v19, v11 row_shr:2 row_mask:0xf bank_mask:0xf
	v_add_f64 v[10:11], v[10:11], v[18:19]
	v_mov_b32_dpp v18, v14 row_shr:1 row_mask:0xf bank_mask:0xf
	v_mov_b32_dpp v19, v15 row_shr:1 row_mask:0xf bank_mask:0xf
	v_add_f64 v[14:15], v[14:15], v[18:19]
	;; [unrolled: 3-line block ×4, first 2 shown]
	v_mov_b32_dpp v20, v10 row_shr:4 row_mask:0xf bank_mask:0xe
	v_mov_b32_dpp v12, v14 row_shr:2 row_mask:0xf bank_mask:0xf
	v_mov_b32_dpp v13, v15 row_shr:2 row_mask:0xf bank_mask:0xf
	v_add_f64 v[14:15], v[14:15], v[12:13]
	v_mov_b32_dpp v12, v16 row_shr:4 row_mask:0xf bank_mask:0xe
	v_mov_b32_dpp v13, v17 row_shr:4 row_mask:0xf bank_mask:0xe
	v_add_f64 v[12:13], v[16:17], v[12:13]
	v_mov_b32_dpp v16, v18 row_shr:4 row_mask:0xf bank_mask:0xe
	v_mov_b32_dpp v17, v19 row_shr:4 row_mask:0xf bank_mask:0xe
	;; [unrolled: 1-line block ×3, first 2 shown]
	v_add_f64 v[18:19], v[18:19], v[16:17]
	v_mov_b32_dpp v16, v14 row_shr:4 row_mask:0xf bank_mask:0xe
	v_mov_b32_dpp v17, v15 row_shr:4 row_mask:0xf bank_mask:0xe
	v_add_f64 v[10:11], v[10:11], v[20:21]
	v_add_f64 v[14:15], v[14:15], v[16:17]
	v_mov_b32_dpp v16, v12 row_shr:8 row_mask:0xf bank_mask:0xc
	v_mov_b32_dpp v17, v13 row_shr:8 row_mask:0xf bank_mask:0xc
	v_mov_b32_dpp v22, v18 row_shr:8 row_mask:0xf bank_mask:0xc
	v_mov_b32_dpp v23, v19 row_shr:8 row_mask:0xf bank_mask:0xc
	v_mov_b32_dpp v24, v10 row_shr:8 row_mask:0xf bank_mask:0xc
	v_mov_b32_dpp v25, v11 row_shr:8 row_mask:0xf bank_mask:0xc
	v_mov_b32_dpp v20, v14 row_shr:8 row_mask:0xf bank_mask:0xc
	v_mov_b32_dpp v21, v15 row_shr:8 row_mask:0xf bank_mask:0xc
	s_and_b64 exec, exec, vcc
	s_cbranch_execz .LBB295_25
; %bb.21:
	v_cmp_eq_f64_e32 vcc, 0, v[5:6]
	v_cmp_eq_f64_e64 s[0:1], 0, v[7:8]
	v_add_f64 v[10:11], v[10:11], v[24:25]
	v_add_f64 v[16:17], v[12:13], v[16:17]
	;; [unrolled: 1-line block ×4, first 2 shown]
	s_load_dwordx2 s[2:3], s[4:5], 0x48
	s_and_b64 s[0:1], vcc, s[0:1]
	s_and_saveexec_b64 s[4:5], s[0:1]
	s_xor_b64 s[0:1], exec, s[4:5]
	s_cbranch_execz .LBB295_23
; %bb.22:
	v_mul_f64 v[5:6], v[16:17], -v[3:4]
	v_mul_f64 v[7:8], v[1:2], v[16:17]
	v_mul_f64 v[16:17], v[14:15], -v[3:4]
	v_mul_f64 v[14:15], v[1:2], v[14:15]
	v_lshlrev_b32_e32 v9, 1, v9
	s_waitcnt lgkmcnt(0)
	v_mov_b32_e32 v18, s3
	v_fma_f64 v[5:6], v[1:2], v[10:11], v[5:6]
	v_fma_f64 v[7:8], v[3:4], v[10:11], v[7:8]
	;; [unrolled: 1-line block ×4, first 2 shown]
	v_ashrrev_i32_e32 v10, 31, v9
	v_lshlrev_b64 v[9:10], 4, v[9:10]
                                        ; implicit-def: $vgpr16_vgpr17
                                        ; implicit-def: $vgpr12_vgpr13
                                        ; implicit-def: $vgpr14_vgpr15
	v_add_co_u32_e32 v9, vcc, s2, v9
	v_addc_co_u32_e32 v10, vcc, v18, v10, vcc
	global_store_dwordx4 v[9:10], v[5:8], off
	global_store_dwordx4 v[9:10], v[0:3], off offset:16
                                        ; implicit-def: $vgpr9
                                        ; implicit-def: $vgpr10_vgpr11
                                        ; implicit-def: $vgpr7_vgpr8
                                        ; implicit-def: $vgpr3_vgpr4
.LBB295_23:
	s_andn2_saveexec_b64 s[0:1], s[0:1]
	s_cbranch_execz .LBB295_25
; %bb.24:
	v_lshlrev_b32_e32 v18, 1, v9
	v_ashrrev_i32_e32 v19, 31, v18
	v_lshlrev_b64 v[18:19], 4, v[18:19]
	s_waitcnt lgkmcnt(0)
	v_mov_b32_e32 v0, s3
	v_add_co_u32_e32 v26, vcc, s2, v18
	v_addc_co_u32_e32 v27, vcc, v0, v19, vcc
	global_load_dwordx4 v[18:21], v[26:27], off
	global_load_dwordx4 v[22:25], v[26:27], off offset:16
	v_mul_f64 v[28:29], v[16:17], -v[3:4]
	v_mul_f64 v[16:17], v[1:2], v[16:17]
	v_mul_f64 v[30:31], v[14:15], -v[3:4]
	v_mul_f64 v[14:15], v[1:2], v[14:15]
	v_fma_f64 v[28:29], v[1:2], v[10:11], v[28:29]
	v_fma_f64 v[9:10], v[3:4], v[10:11], v[16:17]
	;; [unrolled: 1-line block ×4, first 2 shown]
	s_waitcnt vmcnt(1)
	v_fma_f64 v[11:12], v[5:6], v[18:19], v[28:29]
	v_fma_f64 v[9:10], v[7:8], v[18:19], v[9:10]
	s_waitcnt vmcnt(0)
	v_fma_f64 v[13:14], v[5:6], v[22:23], v[0:1]
	v_fma_f64 v[15:16], v[7:8], v[22:23], v[2:3]
	v_fma_f64 v[0:1], -v[7:8], v[20:21], v[11:12]
	v_fma_f64 v[2:3], v[5:6], v[20:21], v[9:10]
	v_fma_f64 v[7:8], -v[7:8], v[24:25], v[13:14]
	v_fma_f64 v[9:10], v[5:6], v[24:25], v[15:16]
	global_store_dwordx4 v[26:27], v[0:3], off
	global_store_dwordx4 v[26:27], v[7:10], off offset:16
.LBB295_25:
	s_endpgm
	.section	.rodata,"a",@progbits
	.p2align	6, 0x0
	.amdhsa_kernel _ZN9rocsparseL19gebsrmvn_2xn_kernelILj128ELj15ELj16E21rocsparse_complex_numIdEEEvi20rocsparse_direction_NS_24const_host_device_scalarIT2_EEPKiS8_PKS5_SA_S6_PS5_21rocsparse_index_base_b
		.amdhsa_group_segment_fixed_size 0
		.amdhsa_private_segment_fixed_size 0
		.amdhsa_kernarg_size 88
		.amdhsa_user_sgpr_count 6
		.amdhsa_user_sgpr_private_segment_buffer 1
		.amdhsa_user_sgpr_dispatch_ptr 0
		.amdhsa_user_sgpr_queue_ptr 0
		.amdhsa_user_sgpr_kernarg_segment_ptr 1
		.amdhsa_user_sgpr_dispatch_id 0
		.amdhsa_user_sgpr_flat_scratch_init 0
		.amdhsa_user_sgpr_private_segment_size 0
		.amdhsa_uses_dynamic_stack 0
		.amdhsa_system_sgpr_private_segment_wavefront_offset 0
		.amdhsa_system_sgpr_workgroup_id_x 1
		.amdhsa_system_sgpr_workgroup_id_y 0
		.amdhsa_system_sgpr_workgroup_id_z 0
		.amdhsa_system_sgpr_workgroup_info 0
		.amdhsa_system_vgpr_workitem_id 0
		.amdhsa_next_free_vgpr 57
		.amdhsa_next_free_sgpr 20
		.amdhsa_reserve_vcc 1
		.amdhsa_reserve_flat_scratch 0
		.amdhsa_float_round_mode_32 0
		.amdhsa_float_round_mode_16_64 0
		.amdhsa_float_denorm_mode_32 3
		.amdhsa_float_denorm_mode_16_64 3
		.amdhsa_dx10_clamp 1
		.amdhsa_ieee_mode 1
		.amdhsa_fp16_overflow 0
		.amdhsa_exception_fp_ieee_invalid_op 0
		.amdhsa_exception_fp_denorm_src 0
		.amdhsa_exception_fp_ieee_div_zero 0
		.amdhsa_exception_fp_ieee_overflow 0
		.amdhsa_exception_fp_ieee_underflow 0
		.amdhsa_exception_fp_ieee_inexact 0
		.amdhsa_exception_int_div_zero 0
	.end_amdhsa_kernel
	.section	.text._ZN9rocsparseL19gebsrmvn_2xn_kernelILj128ELj15ELj16E21rocsparse_complex_numIdEEEvi20rocsparse_direction_NS_24const_host_device_scalarIT2_EEPKiS8_PKS5_SA_S6_PS5_21rocsparse_index_base_b,"axG",@progbits,_ZN9rocsparseL19gebsrmvn_2xn_kernelILj128ELj15ELj16E21rocsparse_complex_numIdEEEvi20rocsparse_direction_NS_24const_host_device_scalarIT2_EEPKiS8_PKS5_SA_S6_PS5_21rocsparse_index_base_b,comdat
.Lfunc_end295:
	.size	_ZN9rocsparseL19gebsrmvn_2xn_kernelILj128ELj15ELj16E21rocsparse_complex_numIdEEEvi20rocsparse_direction_NS_24const_host_device_scalarIT2_EEPKiS8_PKS5_SA_S6_PS5_21rocsparse_index_base_b, .Lfunc_end295-_ZN9rocsparseL19gebsrmvn_2xn_kernelILj128ELj15ELj16E21rocsparse_complex_numIdEEEvi20rocsparse_direction_NS_24const_host_device_scalarIT2_EEPKiS8_PKS5_SA_S6_PS5_21rocsparse_index_base_b
                                        ; -- End function
	.set _ZN9rocsparseL19gebsrmvn_2xn_kernelILj128ELj15ELj16E21rocsparse_complex_numIdEEEvi20rocsparse_direction_NS_24const_host_device_scalarIT2_EEPKiS8_PKS5_SA_S6_PS5_21rocsparse_index_base_b.num_vgpr, 57
	.set _ZN9rocsparseL19gebsrmvn_2xn_kernelILj128ELj15ELj16E21rocsparse_complex_numIdEEEvi20rocsparse_direction_NS_24const_host_device_scalarIT2_EEPKiS8_PKS5_SA_S6_PS5_21rocsparse_index_base_b.num_agpr, 0
	.set _ZN9rocsparseL19gebsrmvn_2xn_kernelILj128ELj15ELj16E21rocsparse_complex_numIdEEEvi20rocsparse_direction_NS_24const_host_device_scalarIT2_EEPKiS8_PKS5_SA_S6_PS5_21rocsparse_index_base_b.numbered_sgpr, 20
	.set _ZN9rocsparseL19gebsrmvn_2xn_kernelILj128ELj15ELj16E21rocsparse_complex_numIdEEEvi20rocsparse_direction_NS_24const_host_device_scalarIT2_EEPKiS8_PKS5_SA_S6_PS5_21rocsparse_index_base_b.num_named_barrier, 0
	.set _ZN9rocsparseL19gebsrmvn_2xn_kernelILj128ELj15ELj16E21rocsparse_complex_numIdEEEvi20rocsparse_direction_NS_24const_host_device_scalarIT2_EEPKiS8_PKS5_SA_S6_PS5_21rocsparse_index_base_b.private_seg_size, 0
	.set _ZN9rocsparseL19gebsrmvn_2xn_kernelILj128ELj15ELj16E21rocsparse_complex_numIdEEEvi20rocsparse_direction_NS_24const_host_device_scalarIT2_EEPKiS8_PKS5_SA_S6_PS5_21rocsparse_index_base_b.uses_vcc, 1
	.set _ZN9rocsparseL19gebsrmvn_2xn_kernelILj128ELj15ELj16E21rocsparse_complex_numIdEEEvi20rocsparse_direction_NS_24const_host_device_scalarIT2_EEPKiS8_PKS5_SA_S6_PS5_21rocsparse_index_base_b.uses_flat_scratch, 0
	.set _ZN9rocsparseL19gebsrmvn_2xn_kernelILj128ELj15ELj16E21rocsparse_complex_numIdEEEvi20rocsparse_direction_NS_24const_host_device_scalarIT2_EEPKiS8_PKS5_SA_S6_PS5_21rocsparse_index_base_b.has_dyn_sized_stack, 0
	.set _ZN9rocsparseL19gebsrmvn_2xn_kernelILj128ELj15ELj16E21rocsparse_complex_numIdEEEvi20rocsparse_direction_NS_24const_host_device_scalarIT2_EEPKiS8_PKS5_SA_S6_PS5_21rocsparse_index_base_b.has_recursion, 0
	.set _ZN9rocsparseL19gebsrmvn_2xn_kernelILj128ELj15ELj16E21rocsparse_complex_numIdEEEvi20rocsparse_direction_NS_24const_host_device_scalarIT2_EEPKiS8_PKS5_SA_S6_PS5_21rocsparse_index_base_b.has_indirect_call, 0
	.section	.AMDGPU.csdata,"",@progbits
; Kernel info:
; codeLenInByte = 2404
; TotalNumSgprs: 24
; NumVgprs: 57
; ScratchSize: 0
; MemoryBound: 0
; FloatMode: 240
; IeeeMode: 1
; LDSByteSize: 0 bytes/workgroup (compile time only)
; SGPRBlocks: 2
; VGPRBlocks: 14
; NumSGPRsForWavesPerEU: 24
; NumVGPRsForWavesPerEU: 57
; Occupancy: 4
; WaveLimiterHint : 1
; COMPUTE_PGM_RSRC2:SCRATCH_EN: 0
; COMPUTE_PGM_RSRC2:USER_SGPR: 6
; COMPUTE_PGM_RSRC2:TRAP_HANDLER: 0
; COMPUTE_PGM_RSRC2:TGID_X_EN: 1
; COMPUTE_PGM_RSRC2:TGID_Y_EN: 0
; COMPUTE_PGM_RSRC2:TGID_Z_EN: 0
; COMPUTE_PGM_RSRC2:TIDIG_COMP_CNT: 0
	.section	.text._ZN9rocsparseL19gebsrmvn_2xn_kernelILj128ELj15ELj32E21rocsparse_complex_numIdEEEvi20rocsparse_direction_NS_24const_host_device_scalarIT2_EEPKiS8_PKS5_SA_S6_PS5_21rocsparse_index_base_b,"axG",@progbits,_ZN9rocsparseL19gebsrmvn_2xn_kernelILj128ELj15ELj32E21rocsparse_complex_numIdEEEvi20rocsparse_direction_NS_24const_host_device_scalarIT2_EEPKiS8_PKS5_SA_S6_PS5_21rocsparse_index_base_b,comdat
	.globl	_ZN9rocsparseL19gebsrmvn_2xn_kernelILj128ELj15ELj32E21rocsparse_complex_numIdEEEvi20rocsparse_direction_NS_24const_host_device_scalarIT2_EEPKiS8_PKS5_SA_S6_PS5_21rocsparse_index_base_b ; -- Begin function _ZN9rocsparseL19gebsrmvn_2xn_kernelILj128ELj15ELj32E21rocsparse_complex_numIdEEEvi20rocsparse_direction_NS_24const_host_device_scalarIT2_EEPKiS8_PKS5_SA_S6_PS5_21rocsparse_index_base_b
	.p2align	8
	.type	_ZN9rocsparseL19gebsrmvn_2xn_kernelILj128ELj15ELj32E21rocsparse_complex_numIdEEEvi20rocsparse_direction_NS_24const_host_device_scalarIT2_EEPKiS8_PKS5_SA_S6_PS5_21rocsparse_index_base_b,@function
_ZN9rocsparseL19gebsrmvn_2xn_kernelILj128ELj15ELj32E21rocsparse_complex_numIdEEEvi20rocsparse_direction_NS_24const_host_device_scalarIT2_EEPKiS8_PKS5_SA_S6_PS5_21rocsparse_index_base_b: ; @_ZN9rocsparseL19gebsrmvn_2xn_kernelILj128ELj15ELj32E21rocsparse_complex_numIdEEEvi20rocsparse_direction_NS_24const_host_device_scalarIT2_EEPKiS8_PKS5_SA_S6_PS5_21rocsparse_index_base_b
; %bb.0:
	s_load_dwordx2 s[0:1], s[4:5], 0x8
	s_load_dwordx2 s[2:3], s[4:5], 0x38
	;; [unrolled: 1-line block ×3, first 2 shown]
	s_add_u32 s7, s4, 8
	s_addc_u32 s8, s5, 0
	s_add_u32 s9, s4, 56
	s_addc_u32 s10, s5, 0
	s_waitcnt lgkmcnt(0)
	s_bitcmp1_b32 s17, 0
	s_cselect_b32 s1, s8, s1
	s_cselect_b32 s0, s7, s0
	v_mov_b32_e32 v1, s0
	v_mov_b32_e32 v2, s1
	flat_load_dwordx4 v[1:4], v[1:2]
	s_cselect_b32 s0, s10, s3
	s_cselect_b32 s1, s9, s2
	v_mov_b32_e32 v5, s1
	v_mov_b32_e32 v6, s0
	flat_load_dwordx4 v[5:8], v[5:6]
	s_waitcnt vmcnt(0) lgkmcnt(0)
	v_cmp_eq_f64_e32 vcc, 0, v[1:2]
	v_cmp_eq_f64_e64 s[0:1], 0, v[3:4]
	s_and_b64 s[8:9], vcc, s[0:1]
	s_mov_b64 s[0:1], -1
	s_and_saveexec_b64 s[2:3], s[8:9]
	s_cbranch_execz .LBB296_2
; %bb.1:
	v_cmp_neq_f64_e32 vcc, 1.0, v[5:6]
	v_cmp_neq_f64_e64 s[0:1], 0, v[7:8]
	s_or_b64 s[0:1], vcc, s[0:1]
	s_orn2_b64 s[0:1], s[0:1], exec
.LBB296_2:
	s_or_b64 exec, exec, s[2:3]
	s_and_saveexec_b64 s[2:3], s[0:1]
	s_cbranch_execz .LBB296_25
; %bb.3:
	s_load_dwordx2 s[0:1], s[4:5], 0x0
	v_lshrrev_b32_e32 v9, 5, v0
	v_lshl_or_b32 v9, s6, 2, v9
	s_waitcnt lgkmcnt(0)
	v_cmp_gt_i32_e32 vcc, s0, v9
	s_and_b64 exec, exec, vcc
	s_cbranch_execz .LBB296_25
; %bb.4:
	s_load_dwordx8 s[8:15], s[4:5], 0x18
	v_ashrrev_i32_e32 v10, 31, v9
	v_lshlrev_b64 v[10:11], 2, v[9:10]
	v_and_b32_e32 v0, 31, v0
	s_cmp_lg_u32 s1, 0
	s_waitcnt lgkmcnt(0)
	v_mov_b32_e32 v12, s9
	v_add_co_u32_e32 v10, vcc, s8, v10
	v_addc_co_u32_e32 v11, vcc, v12, v11, vcc
	global_load_dwordx2 v[11:12], v[10:11], off
	s_waitcnt vmcnt(0)
	v_subrev_u32_e32 v10, s16, v11
	v_subrev_u32_e32 v24, s16, v12
	v_add_u32_e32 v10, v10, v0
	v_cmp_lt_i32_e64 s[0:1], v10, v24
	s_cbranch_scc0 .LBB296_12
; %bb.5:
	v_mov_b32_e32 v16, 0
	v_mov_b32_e32 v18, 0
	v_mov_b32_e32 v12, 0
	v_mov_b32_e32 v14, 0
	v_mov_b32_e32 v17, 0
	v_mov_b32_e32 v19, 0
	v_mov_b32_e32 v13, 0
	v_mov_b32_e32 v15, 0
	s_and_saveexec_b64 s[8:9], s[0:1]
	s_cbranch_execz .LBB296_11
; %bb.6:
	v_mul_lo_u32 v25, v10, 30
	v_mov_b32_e32 v16, 0
	v_mov_b32_e32 v18, 0
	v_mov_b32_e32 v12, 0
	v_mov_b32_e32 v14, 0
	v_mov_b32_e32 v17, 0
	s_mov_b64 s[18:19], 0
	v_mov_b32_e32 v26, s11
	v_mov_b32_e32 v21, 0
	;; [unrolled: 1-line block ×8, first 2 shown]
.LBB296_7:                              ; =>This Loop Header: Depth=1
                                        ;     Child Loop BB296_8 Depth 2
	v_ashrrev_i32_e32 v23, 31, v22
	v_lshlrev_b64 v[29:30], 2, v[22:23]
	s_mov_b32 s17, 0
	v_add_co_u32_e32 v29, vcc, s10, v29
	v_addc_co_u32_e32 v30, vcc, v26, v30, vcc
	global_load_dword v20, v[29:30], off
	s_waitcnt vmcnt(0)
	v_subrev_u32_e32 v20, s16, v20
	v_mul_lo_u32 v23, v20, 15
	v_mov_b32_e32 v20, v25
.LBB296_8:                              ;   Parent Loop BB296_7 Depth=1
                                        ; =>  This Inner Loop Header: Depth=2
	v_lshlrev_b64 v[29:30], 4, v[20:21]
	v_add_u32_e32 v31, s17, v23
	v_mov_b32_e32 v32, v21
	v_add_u32_e32 v36, 4, v20
	v_mov_b32_e32 v37, v21
	v_lshlrev_b64 v[39:40], 4, v[31:32]
	v_add_co_u32_e32 v45, vcc, s12, v29
	v_mov_b32_e32 v38, v21
	v_lshlrev_b64 v[43:44], 4, v[36:37]
	v_add_u32_e32 v37, 2, v31
	v_addc_co_u32_e32 v46, vcc, v27, v30, vcc
	v_add_u32_e32 v33, 2, v20
	v_mov_b32_e32 v34, v21
	v_lshlrev_b64 v[49:50], 4, v[37:38]
	v_add_co_u32_e32 v37, vcc, s14, v39
	v_mov_b32_e32 v35, v21
	v_lshlrev_b64 v[41:42], 4, v[33:34]
	v_add_u32_e32 v34, 1, v31
	v_addc_co_u32_e32 v38, vcc, v28, v40, vcc
	v_lshlrev_b64 v[47:48], 4, v[34:35]
	global_load_dwordx4 v[29:32], v[45:46], off offset:16
	global_load_dwordx4 v[33:36], v[45:46], off
	v_add_co_u32_e64 v41, s[2:3], s12, v41
	global_load_dwordx4 v[37:40], v[37:38], off
	v_add_co_u32_e64 v51, s[6:7], s12, v43
	v_addc_co_u32_e64 v42, vcc, v27, v42, s[2:3]
	v_addc_co_u32_e64 v52, vcc, v27, v44, s[6:7]
	v_add_co_u32_e32 v43, vcc, s14, v47
	v_addc_co_u32_e32 v44, vcc, v28, v48, vcc
	v_add_co_u32_e64 v45, s[2:3], s14, v49
	v_addc_co_u32_e64 v46, vcc, v28, v50, s[2:3]
	s_add_i32 s17, s17, 3
	s_cmp_eq_u32 s17, 15
	v_add_u32_e32 v20, 6, v20
	s_waitcnt vmcnt(0)
	v_fma_f64 v[18:19], v[33:34], v[37:38], v[18:19]
	v_fma_f64 v[16:17], v[35:36], v[37:38], v[16:17]
	;; [unrolled: 1-line block ×4, first 2 shown]
	v_fma_f64 v[53:54], -v[35:36], v[39:40], v[18:19]
	v_fma_f64 v[55:56], v[33:34], v[39:40], v[16:17]
	global_load_dwordx4 v[16:19], v[41:42], off offset:16
	global_load_dwordx4 v[33:36], v[41:42], off
	v_fma_f64 v[47:48], -v[31:32], v[39:40], v[12:13]
	global_load_dwordx4 v[41:44], v[43:44], off
	v_fma_f64 v[49:50], v[29:30], v[39:40], v[14:15]
	global_load_dwordx4 v[29:32], v[51:52], off offset:16
	global_load_dwordx4 v[12:15], v[51:52], off
	global_load_dwordx4 v[37:40], v[45:46], off
	s_waitcnt vmcnt(3)
	v_fma_f64 v[45:46], v[33:34], v[41:42], v[53:54]
	v_fma_f64 v[51:52], v[35:36], v[41:42], v[55:56]
	;; [unrolled: 1-line block ×4, first 2 shown]
	v_fma_f64 v[35:36], -v[35:36], v[43:44], v[45:46]
	v_fma_f64 v[33:34], v[33:34], v[43:44], v[51:52]
	v_fma_f64 v[18:19], -v[18:19], v[43:44], v[47:48]
	v_fma_f64 v[16:17], v[16:17], v[43:44], v[41:42]
	s_waitcnt vmcnt(0)
	v_fma_f64 v[35:36], v[12:13], v[37:38], v[35:36]
	v_fma_f64 v[33:34], v[14:15], v[37:38], v[33:34]
	;; [unrolled: 1-line block ×4, first 2 shown]
	v_fma_f64 v[18:19], -v[14:15], v[39:40], v[35:36]
	v_fma_f64 v[16:17], v[12:13], v[39:40], v[33:34]
	v_fma_f64 v[12:13], -v[31:32], v[39:40], v[41:42]
	v_fma_f64 v[14:15], v[29:30], v[39:40], v[37:38]
	s_cbranch_scc0 .LBB296_8
; %bb.9:                                ;   in Loop: Header=BB296_7 Depth=1
	v_add_u32_e32 v22, 32, v22
	v_cmp_ge_i32_e32 vcc, v22, v24
	s_or_b64 s[18:19], vcc, s[18:19]
	v_add_u32_e32 v25, 0x3c0, v25
	s_andn2_b64 exec, exec, s[18:19]
	s_cbranch_execnz .LBB296_7
; %bb.10:
	s_or_b64 exec, exec, s[18:19]
.LBB296_11:
	s_or_b64 exec, exec, s[8:9]
	s_cbranch_execz .LBB296_13
	s_branch .LBB296_20
.LBB296_12:
                                        ; implicit-def: $vgpr16_vgpr17
                                        ; implicit-def: $vgpr18_vgpr19
                                        ; implicit-def: $vgpr12_vgpr13
                                        ; implicit-def: $vgpr14_vgpr15
.LBB296_13:
	v_mov_b32_e32 v16, 0
	v_mov_b32_e32 v18, 0
	;; [unrolled: 1-line block ×8, first 2 shown]
	s_and_saveexec_b64 s[2:3], s[0:1]
	s_cbranch_execz .LBB296_19
; %bb.14:
	v_mul_lo_u32 v11, v11, 30
	v_mul_lo_u32 v22, v10, 30
	s_mul_i32 s0, s16, 30
	v_mov_b32_e32 v16, 0
	v_mad_u32_u24 v11, v0, 30, v11
	v_mov_b32_e32 v18, 0
	v_mov_b32_e32 v12, 0
	;; [unrolled: 1-line block ×4, first 2 shown]
	v_subrev_u32_e32 v23, s0, v11
	s_mov_b64 s[0:1], 0
	v_mov_b32_e32 v25, s11
	v_mov_b32_e32 v21, 0
	;; [unrolled: 1-line block ×7, first 2 shown]
.LBB296_15:                             ; =>This Loop Header: Depth=1
                                        ;     Child Loop BB296_16 Depth 2
	v_ashrrev_i32_e32 v11, 31, v10
	v_lshlrev_b64 v[28:29], 2, v[10:11]
	s_mov_b32 s6, 0
	v_add_co_u32_e32 v28, vcc, s10, v28
	v_addc_co_u32_e32 v29, vcc, v25, v29, vcc
	global_load_dword v11, v[28:29], off
	s_waitcnt vmcnt(0)
	v_subrev_u32_e32 v11, s16, v11
	v_mul_lo_u32 v11, v11, 15
.LBB296_16:                             ;   Parent Loop BB296_15 Depth=1
                                        ; =>  This Inner Loop Header: Depth=2
	v_add_u32_e32 v20, s6, v23
	v_add_u32_e32 v44, s6, v22
	v_lshlrev_b64 v[32:33], 4, v[20:21]
	v_mov_b32_e32 v29, v21
	v_add_u32_e32 v20, s6, v11
	v_add_u32_e32 v28, 15, v44
	v_lshlrev_b64 v[34:35], 4, v[20:21]
	v_lshlrev_b64 v[36:37], 4, v[28:29]
	v_add_co_u32_e32 v28, vcc, s12, v32
	v_addc_co_u32_e32 v29, vcc, v26, v33, vcc
	v_add_co_u32_e32 v32, vcc, s14, v34
	v_mov_b32_e32 v31, v21
	v_add_u32_e32 v30, 1, v44
	v_addc_co_u32_e32 v33, vcc, v27, v35, vcc
	v_lshlrev_b64 v[38:39], 4, v[30:31]
	global_load_dwordx4 v[28:31], v[28:29], off
	v_add_co_u32_e32 v36, vcc, s12, v36
	global_load_dwordx4 v[32:35], v[32:33], off
	v_addc_co_u32_e32 v37, vcc, v26, v37, vcc
	v_add_co_u32_e32 v38, vcc, s12, v38
	v_addc_co_u32_e32 v39, vcc, v26, v39, vcc
	s_add_i32 s6, s6, 3
	s_cmp_eq_u32 s6, 15
	s_waitcnt vmcnt(0)
	v_fma_f64 v[18:19], v[28:29], v[32:33], v[18:19]
	v_fma_f64 v[16:17], v[30:31], v[32:33], v[16:17]
	v_fma_f64 v[40:41], -v[30:31], v[34:35], v[18:19]
	v_fma_f64 v[42:43], v[28:29], v[34:35], v[16:17]
	global_load_dwordx4 v[16:19], v[36:37], off
	global_load_dwordx4 v[28:31], v[38:39], off
	s_waitcnt vmcnt(1)
	v_fma_f64 v[12:13], v[16:17], v[32:33], v[12:13]
	v_fma_f64 v[14:15], v[18:19], v[32:33], v[14:15]
	v_fma_f64 v[32:33], -v[18:19], v[34:35], v[12:13]
	v_fma_f64 v[34:35], v[16:17], v[34:35], v[14:15]
	v_mov_b32_e32 v15, v21
	v_add_u32_e32 v14, 16, v44
	v_lshlrev_b64 v[14:15], 4, v[14:15]
	v_mov_b32_e32 v17, v21
	v_add_u32_e32 v16, 2, v44
	v_lshlrev_b64 v[16:17], 4, v[16:17]
	v_add_co_u32_e32 v36, vcc, s12, v14
	v_mov_b32_e32 v13, v21
	v_add_u32_e32 v12, 1, v20
	v_addc_co_u32_e32 v37, vcc, v26, v15, vcc
	v_lshlrev_b64 v[12:13], 4, v[12:13]
	v_add_co_u32_e32 v38, vcc, s12, v16
	v_addc_co_u32_e32 v39, vcc, v26, v17, vcc
	v_add_co_u32_e32 v12, vcc, s14, v12
	v_addc_co_u32_e32 v13, vcc, v27, v13, vcc
	global_load_dwordx4 v[12:15], v[12:13], off
	v_add_u32_e32 v20, 2, v20
	s_waitcnt vmcnt(0)
	v_fma_f64 v[16:17], v[28:29], v[12:13], v[40:41]
	v_fma_f64 v[18:19], v[30:31], v[12:13], v[42:43]
	v_fma_f64 v[40:41], -v[30:31], v[14:15], v[16:17]
	v_fma_f64 v[42:43], v[28:29], v[14:15], v[18:19]
	global_load_dwordx4 v[16:19], v[36:37], off
	global_load_dwordx4 v[28:31], v[38:39], off
	s_waitcnt vmcnt(1)
	v_fma_f64 v[32:33], v[16:17], v[12:13], v[32:33]
	v_fma_f64 v[12:13], v[18:19], v[12:13], v[34:35]
	v_fma_f64 v[18:19], -v[18:19], v[14:15], v[32:33]
	v_fma_f64 v[16:17], v[16:17], v[14:15], v[12:13]
	v_lshlrev_b64 v[12:13], 4, v[20:21]
	v_add_u32_e32 v20, 17, v44
	v_lshlrev_b64 v[32:33], 4, v[20:21]
	v_add_co_u32_e32 v12, vcc, s14, v12
	v_addc_co_u32_e32 v13, vcc, v27, v13, vcc
	v_add_co_u32_e32 v32, vcc, s12, v32
	v_addc_co_u32_e32 v33, vcc, v26, v33, vcc
	global_load_dwordx4 v[12:15], v[12:13], off
	s_waitcnt vmcnt(0)
	v_fma_f64 v[36:37], v[28:29], v[12:13], v[40:41]
	global_load_dwordx4 v[32:35], v[32:33], off
	v_fma_f64 v[38:39], v[30:31], v[12:13], v[42:43]
	s_waitcnt vmcnt(0)
	v_fma_f64 v[40:41], v[32:33], v[12:13], v[18:19]
	v_fma_f64 v[42:43], v[34:35], v[12:13], v[16:17]
	v_fma_f64 v[18:19], -v[30:31], v[14:15], v[36:37]
	v_fma_f64 v[16:17], v[28:29], v[14:15], v[38:39]
	v_fma_f64 v[12:13], -v[34:35], v[14:15], v[40:41]
	v_fma_f64 v[14:15], v[32:33], v[14:15], v[42:43]
	s_cbranch_scc0 .LBB296_16
; %bb.17:                               ;   in Loop: Header=BB296_15 Depth=1
	v_add_u32_e32 v10, 32, v10
	v_cmp_ge_i32_e32 vcc, v10, v24
	v_add_u32_e32 v22, 0x3c0, v22
	s_or_b64 s[0:1], vcc, s[0:1]
	v_add_u32_e32 v23, 0x3c0, v23
	s_andn2_b64 exec, exec, s[0:1]
	s_cbranch_execnz .LBB296_15
; %bb.18:
	s_or_b64 exec, exec, s[0:1]
.LBB296_19:
	s_or_b64 exec, exec, s[2:3]
.LBB296_20:
	v_mov_b32_dpp v10, v18 row_shr:1 row_mask:0xf bank_mask:0xf
	v_mov_b32_dpp v11, v19 row_shr:1 row_mask:0xf bank_mask:0xf
	v_add_f64 v[10:11], v[18:19], v[10:11]
	v_mov_b32_dpp v18, v16 row_shr:1 row_mask:0xf bank_mask:0xf
	v_mov_b32_dpp v19, v17 row_shr:1 row_mask:0xf bank_mask:0xf
	v_add_f64 v[16:17], v[16:17], v[18:19]
	;; [unrolled: 3-line block ×3, first 2 shown]
	v_cmp_eq_u32_e32 vcc, 31, v0
	v_mov_b32_dpp v18, v10 row_shr:2 row_mask:0xf bank_mask:0xf
	v_mov_b32_dpp v19, v11 row_shr:2 row_mask:0xf bank_mask:0xf
	v_add_f64 v[10:11], v[10:11], v[18:19]
	v_mov_b32_dpp v18, v14 row_shr:1 row_mask:0xf bank_mask:0xf
	v_mov_b32_dpp v19, v15 row_shr:1 row_mask:0xf bank_mask:0xf
	v_add_f64 v[14:15], v[14:15], v[18:19]
	;; [unrolled: 3-line block ×4, first 2 shown]
	v_mov_b32_dpp v20, v12 row_shr:2 row_mask:0xf bank_mask:0xf
	v_mov_b32_dpp v21, v13 row_shr:2 row_mask:0xf bank_mask:0xf
	;; [unrolled: 1-line block ×3, first 2 shown]
	v_add_f64 v[12:13], v[12:13], v[20:21]
	v_mov_b32_dpp v19, v15 row_shr:2 row_mask:0xf bank_mask:0xf
	v_add_f64 v[14:15], v[14:15], v[18:19]
	v_mov_b32_dpp v20, v16 row_shr:4 row_mask:0xf bank_mask:0xe
	v_mov_b32_dpp v21, v17 row_shr:4 row_mask:0xf bank_mask:0xe
	v_add_f64 v[16:17], v[16:17], v[20:21]
	v_mov_b32_dpp v18, v10 row_shr:8 row_mask:0xf bank_mask:0xc
	v_mov_b32_dpp v19, v11 row_shr:8 row_mask:0xf bank_mask:0xc
	;; [unrolled: 1-line block ×4, first 2 shown]
	v_add_f64 v[20:21], v[12:13], v[20:21]
	v_mov_b32_dpp v12, v14 row_shr:4 row_mask:0xf bank_mask:0xe
	v_mov_b32_dpp v13, v15 row_shr:4 row_mask:0xf bank_mask:0xe
	v_add_f64 v[14:15], v[14:15], v[12:13]
	v_mov_b32_dpp v12, v16 row_shr:8 row_mask:0xf bank_mask:0xc
	v_mov_b32_dpp v13, v17 row_shr:8 row_mask:0xf bank_mask:0xc
	v_add_f64 v[12:13], v[16:17], v[12:13]
	v_add_f64 v[10:11], v[10:11], v[18:19]
	v_mov_b32_dpp v16, v20 row_shr:8 row_mask:0xf bank_mask:0xc
	v_mov_b32_dpp v17, v21 row_shr:8 row_mask:0xf bank_mask:0xc
	v_add_f64 v[18:19], v[20:21], v[16:17]
	v_mov_b32_dpp v16, v14 row_shr:8 row_mask:0xf bank_mask:0xc
	v_mov_b32_dpp v17, v15 row_shr:8 row_mask:0xf bank_mask:0xc
	v_add_f64 v[14:15], v[14:15], v[16:17]
	v_mov_b32_dpp v16, v12 row_bcast:15 row_mask:0xa bank_mask:0xf
	v_mov_b32_dpp v24, v10 row_bcast:15 row_mask:0xa bank_mask:0xf
	;; [unrolled: 1-line block ×8, first 2 shown]
	s_and_b64 exec, exec, vcc
	s_cbranch_execz .LBB296_25
; %bb.21:
	v_cmp_eq_f64_e32 vcc, 0, v[5:6]
	v_cmp_eq_f64_e64 s[0:1], 0, v[7:8]
	v_add_f64 v[10:11], v[10:11], v[24:25]
	v_add_f64 v[16:17], v[12:13], v[16:17]
	;; [unrolled: 1-line block ×4, first 2 shown]
	s_load_dwordx2 s[2:3], s[4:5], 0x48
	s_and_b64 s[0:1], vcc, s[0:1]
	s_and_saveexec_b64 s[4:5], s[0:1]
	s_xor_b64 s[0:1], exec, s[4:5]
	s_cbranch_execz .LBB296_23
; %bb.22:
	v_mul_f64 v[5:6], v[16:17], -v[3:4]
	v_mul_f64 v[7:8], v[1:2], v[16:17]
	v_mul_f64 v[16:17], v[14:15], -v[3:4]
	v_mul_f64 v[14:15], v[1:2], v[14:15]
	v_lshlrev_b32_e32 v9, 1, v9
	s_waitcnt lgkmcnt(0)
	v_mov_b32_e32 v18, s3
	v_fma_f64 v[5:6], v[1:2], v[10:11], v[5:6]
	v_fma_f64 v[7:8], v[3:4], v[10:11], v[7:8]
	;; [unrolled: 1-line block ×4, first 2 shown]
	v_ashrrev_i32_e32 v10, 31, v9
	v_lshlrev_b64 v[9:10], 4, v[9:10]
                                        ; implicit-def: $vgpr16_vgpr17
                                        ; implicit-def: $vgpr12_vgpr13
                                        ; implicit-def: $vgpr14_vgpr15
	v_add_co_u32_e32 v9, vcc, s2, v9
	v_addc_co_u32_e32 v10, vcc, v18, v10, vcc
	global_store_dwordx4 v[9:10], v[5:8], off
	global_store_dwordx4 v[9:10], v[0:3], off offset:16
                                        ; implicit-def: $vgpr9
                                        ; implicit-def: $vgpr10_vgpr11
                                        ; implicit-def: $vgpr7_vgpr8
                                        ; implicit-def: $vgpr3_vgpr4
.LBB296_23:
	s_andn2_saveexec_b64 s[0:1], s[0:1]
	s_cbranch_execz .LBB296_25
; %bb.24:
	v_lshlrev_b32_e32 v18, 1, v9
	v_ashrrev_i32_e32 v19, 31, v18
	v_lshlrev_b64 v[18:19], 4, v[18:19]
	s_waitcnt lgkmcnt(0)
	v_mov_b32_e32 v0, s3
	v_add_co_u32_e32 v26, vcc, s2, v18
	v_addc_co_u32_e32 v27, vcc, v0, v19, vcc
	global_load_dwordx4 v[18:21], v[26:27], off
	global_load_dwordx4 v[22:25], v[26:27], off offset:16
	v_mul_f64 v[28:29], v[16:17], -v[3:4]
	v_mul_f64 v[16:17], v[1:2], v[16:17]
	v_mul_f64 v[30:31], v[14:15], -v[3:4]
	v_mul_f64 v[14:15], v[1:2], v[14:15]
	v_fma_f64 v[28:29], v[1:2], v[10:11], v[28:29]
	v_fma_f64 v[9:10], v[3:4], v[10:11], v[16:17]
	;; [unrolled: 1-line block ×4, first 2 shown]
	s_waitcnt vmcnt(1)
	v_fma_f64 v[11:12], v[5:6], v[18:19], v[28:29]
	v_fma_f64 v[9:10], v[7:8], v[18:19], v[9:10]
	s_waitcnt vmcnt(0)
	v_fma_f64 v[13:14], v[5:6], v[22:23], v[0:1]
	v_fma_f64 v[15:16], v[7:8], v[22:23], v[2:3]
	v_fma_f64 v[0:1], -v[7:8], v[20:21], v[11:12]
	v_fma_f64 v[2:3], v[5:6], v[20:21], v[9:10]
	v_fma_f64 v[7:8], -v[7:8], v[24:25], v[13:14]
	v_fma_f64 v[9:10], v[5:6], v[24:25], v[15:16]
	global_store_dwordx4 v[26:27], v[0:3], off
	global_store_dwordx4 v[26:27], v[7:10], off offset:16
.LBB296_25:
	s_endpgm
	.section	.rodata,"a",@progbits
	.p2align	6, 0x0
	.amdhsa_kernel _ZN9rocsparseL19gebsrmvn_2xn_kernelILj128ELj15ELj32E21rocsparse_complex_numIdEEEvi20rocsparse_direction_NS_24const_host_device_scalarIT2_EEPKiS8_PKS5_SA_S6_PS5_21rocsparse_index_base_b
		.amdhsa_group_segment_fixed_size 0
		.amdhsa_private_segment_fixed_size 0
		.amdhsa_kernarg_size 88
		.amdhsa_user_sgpr_count 6
		.amdhsa_user_sgpr_private_segment_buffer 1
		.amdhsa_user_sgpr_dispatch_ptr 0
		.amdhsa_user_sgpr_queue_ptr 0
		.amdhsa_user_sgpr_kernarg_segment_ptr 1
		.amdhsa_user_sgpr_dispatch_id 0
		.amdhsa_user_sgpr_flat_scratch_init 0
		.amdhsa_user_sgpr_private_segment_size 0
		.amdhsa_uses_dynamic_stack 0
		.amdhsa_system_sgpr_private_segment_wavefront_offset 0
		.amdhsa_system_sgpr_workgroup_id_x 1
		.amdhsa_system_sgpr_workgroup_id_y 0
		.amdhsa_system_sgpr_workgroup_id_z 0
		.amdhsa_system_sgpr_workgroup_info 0
		.amdhsa_system_vgpr_workitem_id 0
		.amdhsa_next_free_vgpr 57
		.amdhsa_next_free_sgpr 20
		.amdhsa_reserve_vcc 1
		.amdhsa_reserve_flat_scratch 0
		.amdhsa_float_round_mode_32 0
		.amdhsa_float_round_mode_16_64 0
		.amdhsa_float_denorm_mode_32 3
		.amdhsa_float_denorm_mode_16_64 3
		.amdhsa_dx10_clamp 1
		.amdhsa_ieee_mode 1
		.amdhsa_fp16_overflow 0
		.amdhsa_exception_fp_ieee_invalid_op 0
		.amdhsa_exception_fp_denorm_src 0
		.amdhsa_exception_fp_ieee_div_zero 0
		.amdhsa_exception_fp_ieee_overflow 0
		.amdhsa_exception_fp_ieee_underflow 0
		.amdhsa_exception_fp_ieee_inexact 0
		.amdhsa_exception_int_div_zero 0
	.end_amdhsa_kernel
	.section	.text._ZN9rocsparseL19gebsrmvn_2xn_kernelILj128ELj15ELj32E21rocsparse_complex_numIdEEEvi20rocsparse_direction_NS_24const_host_device_scalarIT2_EEPKiS8_PKS5_SA_S6_PS5_21rocsparse_index_base_b,"axG",@progbits,_ZN9rocsparseL19gebsrmvn_2xn_kernelILj128ELj15ELj32E21rocsparse_complex_numIdEEEvi20rocsparse_direction_NS_24const_host_device_scalarIT2_EEPKiS8_PKS5_SA_S6_PS5_21rocsparse_index_base_b,comdat
.Lfunc_end296:
	.size	_ZN9rocsparseL19gebsrmvn_2xn_kernelILj128ELj15ELj32E21rocsparse_complex_numIdEEEvi20rocsparse_direction_NS_24const_host_device_scalarIT2_EEPKiS8_PKS5_SA_S6_PS5_21rocsparse_index_base_b, .Lfunc_end296-_ZN9rocsparseL19gebsrmvn_2xn_kernelILj128ELj15ELj32E21rocsparse_complex_numIdEEEvi20rocsparse_direction_NS_24const_host_device_scalarIT2_EEPKiS8_PKS5_SA_S6_PS5_21rocsparse_index_base_b
                                        ; -- End function
	.set _ZN9rocsparseL19gebsrmvn_2xn_kernelILj128ELj15ELj32E21rocsparse_complex_numIdEEEvi20rocsparse_direction_NS_24const_host_device_scalarIT2_EEPKiS8_PKS5_SA_S6_PS5_21rocsparse_index_base_b.num_vgpr, 57
	.set _ZN9rocsparseL19gebsrmvn_2xn_kernelILj128ELj15ELj32E21rocsparse_complex_numIdEEEvi20rocsparse_direction_NS_24const_host_device_scalarIT2_EEPKiS8_PKS5_SA_S6_PS5_21rocsparse_index_base_b.num_agpr, 0
	.set _ZN9rocsparseL19gebsrmvn_2xn_kernelILj128ELj15ELj32E21rocsparse_complex_numIdEEEvi20rocsparse_direction_NS_24const_host_device_scalarIT2_EEPKiS8_PKS5_SA_S6_PS5_21rocsparse_index_base_b.numbered_sgpr, 20
	.set _ZN9rocsparseL19gebsrmvn_2xn_kernelILj128ELj15ELj32E21rocsparse_complex_numIdEEEvi20rocsparse_direction_NS_24const_host_device_scalarIT2_EEPKiS8_PKS5_SA_S6_PS5_21rocsparse_index_base_b.num_named_barrier, 0
	.set _ZN9rocsparseL19gebsrmvn_2xn_kernelILj128ELj15ELj32E21rocsparse_complex_numIdEEEvi20rocsparse_direction_NS_24const_host_device_scalarIT2_EEPKiS8_PKS5_SA_S6_PS5_21rocsparse_index_base_b.private_seg_size, 0
	.set _ZN9rocsparseL19gebsrmvn_2xn_kernelILj128ELj15ELj32E21rocsparse_complex_numIdEEEvi20rocsparse_direction_NS_24const_host_device_scalarIT2_EEPKiS8_PKS5_SA_S6_PS5_21rocsparse_index_base_b.uses_vcc, 1
	.set _ZN9rocsparseL19gebsrmvn_2xn_kernelILj128ELj15ELj32E21rocsparse_complex_numIdEEEvi20rocsparse_direction_NS_24const_host_device_scalarIT2_EEPKiS8_PKS5_SA_S6_PS5_21rocsparse_index_base_b.uses_flat_scratch, 0
	.set _ZN9rocsparseL19gebsrmvn_2xn_kernelILj128ELj15ELj32E21rocsparse_complex_numIdEEEvi20rocsparse_direction_NS_24const_host_device_scalarIT2_EEPKiS8_PKS5_SA_S6_PS5_21rocsparse_index_base_b.has_dyn_sized_stack, 0
	.set _ZN9rocsparseL19gebsrmvn_2xn_kernelILj128ELj15ELj32E21rocsparse_complex_numIdEEEvi20rocsparse_direction_NS_24const_host_device_scalarIT2_EEPKiS8_PKS5_SA_S6_PS5_21rocsparse_index_base_b.has_recursion, 0
	.set _ZN9rocsparseL19gebsrmvn_2xn_kernelILj128ELj15ELj32E21rocsparse_complex_numIdEEEvi20rocsparse_direction_NS_24const_host_device_scalarIT2_EEPKiS8_PKS5_SA_S6_PS5_21rocsparse_index_base_b.has_indirect_call, 0
	.section	.AMDGPU.csdata,"",@progbits
; Kernel info:
; codeLenInByte = 2500
; TotalNumSgprs: 24
; NumVgprs: 57
; ScratchSize: 0
; MemoryBound: 0
; FloatMode: 240
; IeeeMode: 1
; LDSByteSize: 0 bytes/workgroup (compile time only)
; SGPRBlocks: 2
; VGPRBlocks: 14
; NumSGPRsForWavesPerEU: 24
; NumVGPRsForWavesPerEU: 57
; Occupancy: 4
; WaveLimiterHint : 1
; COMPUTE_PGM_RSRC2:SCRATCH_EN: 0
; COMPUTE_PGM_RSRC2:USER_SGPR: 6
; COMPUTE_PGM_RSRC2:TRAP_HANDLER: 0
; COMPUTE_PGM_RSRC2:TGID_X_EN: 1
; COMPUTE_PGM_RSRC2:TGID_Y_EN: 0
; COMPUTE_PGM_RSRC2:TGID_Z_EN: 0
; COMPUTE_PGM_RSRC2:TIDIG_COMP_CNT: 0
	.section	.text._ZN9rocsparseL19gebsrmvn_2xn_kernelILj128ELj15ELj64E21rocsparse_complex_numIdEEEvi20rocsparse_direction_NS_24const_host_device_scalarIT2_EEPKiS8_PKS5_SA_S6_PS5_21rocsparse_index_base_b,"axG",@progbits,_ZN9rocsparseL19gebsrmvn_2xn_kernelILj128ELj15ELj64E21rocsparse_complex_numIdEEEvi20rocsparse_direction_NS_24const_host_device_scalarIT2_EEPKiS8_PKS5_SA_S6_PS5_21rocsparse_index_base_b,comdat
	.globl	_ZN9rocsparseL19gebsrmvn_2xn_kernelILj128ELj15ELj64E21rocsparse_complex_numIdEEEvi20rocsparse_direction_NS_24const_host_device_scalarIT2_EEPKiS8_PKS5_SA_S6_PS5_21rocsparse_index_base_b ; -- Begin function _ZN9rocsparseL19gebsrmvn_2xn_kernelILj128ELj15ELj64E21rocsparse_complex_numIdEEEvi20rocsparse_direction_NS_24const_host_device_scalarIT2_EEPKiS8_PKS5_SA_S6_PS5_21rocsparse_index_base_b
	.p2align	8
	.type	_ZN9rocsparseL19gebsrmvn_2xn_kernelILj128ELj15ELj64E21rocsparse_complex_numIdEEEvi20rocsparse_direction_NS_24const_host_device_scalarIT2_EEPKiS8_PKS5_SA_S6_PS5_21rocsparse_index_base_b,@function
_ZN9rocsparseL19gebsrmvn_2xn_kernelILj128ELj15ELj64E21rocsparse_complex_numIdEEEvi20rocsparse_direction_NS_24const_host_device_scalarIT2_EEPKiS8_PKS5_SA_S6_PS5_21rocsparse_index_base_b: ; @_ZN9rocsparseL19gebsrmvn_2xn_kernelILj128ELj15ELj64E21rocsparse_complex_numIdEEEvi20rocsparse_direction_NS_24const_host_device_scalarIT2_EEPKiS8_PKS5_SA_S6_PS5_21rocsparse_index_base_b
; %bb.0:
	s_load_dwordx2 s[0:1], s[4:5], 0x8
	s_load_dwordx2 s[2:3], s[4:5], 0x38
	;; [unrolled: 1-line block ×3, first 2 shown]
	s_add_u32 s7, s4, 8
	s_addc_u32 s8, s5, 0
	s_add_u32 s9, s4, 56
	s_addc_u32 s10, s5, 0
	s_waitcnt lgkmcnt(0)
	s_bitcmp1_b32 s17, 0
	s_cselect_b32 s1, s8, s1
	s_cselect_b32 s0, s7, s0
	v_mov_b32_e32 v1, s0
	v_mov_b32_e32 v2, s1
	flat_load_dwordx4 v[1:4], v[1:2]
	s_cselect_b32 s0, s10, s3
	s_cselect_b32 s1, s9, s2
	v_mov_b32_e32 v5, s1
	v_mov_b32_e32 v6, s0
	flat_load_dwordx4 v[5:8], v[5:6]
	s_waitcnt vmcnt(0) lgkmcnt(0)
	v_cmp_eq_f64_e32 vcc, 0, v[1:2]
	v_cmp_eq_f64_e64 s[0:1], 0, v[3:4]
	s_and_b64 s[8:9], vcc, s[0:1]
	s_mov_b64 s[0:1], -1
	s_and_saveexec_b64 s[2:3], s[8:9]
	s_cbranch_execz .LBB297_2
; %bb.1:
	v_cmp_neq_f64_e32 vcc, 1.0, v[5:6]
	v_cmp_neq_f64_e64 s[0:1], 0, v[7:8]
	s_or_b64 s[0:1], vcc, s[0:1]
	s_orn2_b64 s[0:1], s[0:1], exec
.LBB297_2:
	s_or_b64 exec, exec, s[2:3]
	s_and_saveexec_b64 s[2:3], s[0:1]
	s_cbranch_execz .LBB297_25
; %bb.3:
	s_load_dwordx2 s[0:1], s[4:5], 0x0
	v_lshrrev_b32_e32 v9, 6, v0
	v_lshl_or_b32 v9, s6, 1, v9
	s_waitcnt lgkmcnt(0)
	v_cmp_gt_i32_e32 vcc, s0, v9
	s_and_b64 exec, exec, vcc
	s_cbranch_execz .LBB297_25
; %bb.4:
	s_load_dwordx8 s[8:15], s[4:5], 0x18
	v_ashrrev_i32_e32 v10, 31, v9
	v_lshlrev_b64 v[10:11], 2, v[9:10]
	v_and_b32_e32 v0, 63, v0
	s_cmp_lg_u32 s1, 0
	s_waitcnt lgkmcnt(0)
	v_mov_b32_e32 v12, s9
	v_add_co_u32_e32 v10, vcc, s8, v10
	v_addc_co_u32_e32 v11, vcc, v12, v11, vcc
	global_load_dwordx2 v[11:12], v[10:11], off
	s_waitcnt vmcnt(0)
	v_subrev_u32_e32 v10, s16, v11
	v_subrev_u32_e32 v24, s16, v12
	v_add_u32_e32 v10, v10, v0
	v_cmp_lt_i32_e64 s[0:1], v10, v24
	s_cbranch_scc0 .LBB297_12
; %bb.5:
	v_mov_b32_e32 v16, 0
	v_mov_b32_e32 v18, 0
	;; [unrolled: 1-line block ×8, first 2 shown]
	s_and_saveexec_b64 s[8:9], s[0:1]
	s_cbranch_execz .LBB297_11
; %bb.6:
	v_mul_lo_u32 v25, v10, 30
	v_mov_b32_e32 v16, 0
	v_mov_b32_e32 v18, 0
	v_mov_b32_e32 v12, 0
	v_mov_b32_e32 v14, 0
	v_mov_b32_e32 v17, 0
	s_mov_b64 s[18:19], 0
	v_mov_b32_e32 v26, s11
	v_mov_b32_e32 v21, 0
	;; [unrolled: 1-line block ×8, first 2 shown]
.LBB297_7:                              ; =>This Loop Header: Depth=1
                                        ;     Child Loop BB297_8 Depth 2
	v_ashrrev_i32_e32 v23, 31, v22
	v_lshlrev_b64 v[29:30], 2, v[22:23]
	s_mov_b32 s17, 0
	v_add_co_u32_e32 v29, vcc, s10, v29
	v_addc_co_u32_e32 v30, vcc, v26, v30, vcc
	global_load_dword v20, v[29:30], off
	s_waitcnt vmcnt(0)
	v_subrev_u32_e32 v20, s16, v20
	v_mul_lo_u32 v23, v20, 15
	v_mov_b32_e32 v20, v25
.LBB297_8:                              ;   Parent Loop BB297_7 Depth=1
                                        ; =>  This Inner Loop Header: Depth=2
	v_lshlrev_b64 v[29:30], 4, v[20:21]
	v_add_u32_e32 v31, s17, v23
	v_mov_b32_e32 v32, v21
	v_add_u32_e32 v36, 4, v20
	v_mov_b32_e32 v37, v21
	v_lshlrev_b64 v[39:40], 4, v[31:32]
	v_add_co_u32_e32 v45, vcc, s12, v29
	v_mov_b32_e32 v38, v21
	v_lshlrev_b64 v[43:44], 4, v[36:37]
	v_add_u32_e32 v37, 2, v31
	v_addc_co_u32_e32 v46, vcc, v27, v30, vcc
	v_add_u32_e32 v33, 2, v20
	v_mov_b32_e32 v34, v21
	v_lshlrev_b64 v[49:50], 4, v[37:38]
	v_add_co_u32_e32 v37, vcc, s14, v39
	v_mov_b32_e32 v35, v21
	v_lshlrev_b64 v[41:42], 4, v[33:34]
	v_add_u32_e32 v34, 1, v31
	v_addc_co_u32_e32 v38, vcc, v28, v40, vcc
	v_lshlrev_b64 v[47:48], 4, v[34:35]
	global_load_dwordx4 v[29:32], v[45:46], off offset:16
	global_load_dwordx4 v[33:36], v[45:46], off
	v_add_co_u32_e64 v41, s[2:3], s12, v41
	global_load_dwordx4 v[37:40], v[37:38], off
	v_add_co_u32_e64 v51, s[6:7], s12, v43
	v_addc_co_u32_e64 v42, vcc, v27, v42, s[2:3]
	v_addc_co_u32_e64 v52, vcc, v27, v44, s[6:7]
	v_add_co_u32_e32 v43, vcc, s14, v47
	v_addc_co_u32_e32 v44, vcc, v28, v48, vcc
	v_add_co_u32_e64 v45, s[2:3], s14, v49
	v_addc_co_u32_e64 v46, vcc, v28, v50, s[2:3]
	s_add_i32 s17, s17, 3
	s_cmp_eq_u32 s17, 15
	v_add_u32_e32 v20, 6, v20
	s_waitcnt vmcnt(0)
	v_fma_f64 v[18:19], v[33:34], v[37:38], v[18:19]
	v_fma_f64 v[16:17], v[35:36], v[37:38], v[16:17]
	;; [unrolled: 1-line block ×4, first 2 shown]
	v_fma_f64 v[53:54], -v[35:36], v[39:40], v[18:19]
	v_fma_f64 v[55:56], v[33:34], v[39:40], v[16:17]
	global_load_dwordx4 v[16:19], v[41:42], off offset:16
	global_load_dwordx4 v[33:36], v[41:42], off
	v_fma_f64 v[47:48], -v[31:32], v[39:40], v[12:13]
	global_load_dwordx4 v[41:44], v[43:44], off
	v_fma_f64 v[49:50], v[29:30], v[39:40], v[14:15]
	global_load_dwordx4 v[29:32], v[51:52], off offset:16
	global_load_dwordx4 v[12:15], v[51:52], off
	global_load_dwordx4 v[37:40], v[45:46], off
	s_waitcnt vmcnt(3)
	v_fma_f64 v[45:46], v[33:34], v[41:42], v[53:54]
	v_fma_f64 v[51:52], v[35:36], v[41:42], v[55:56]
	;; [unrolled: 1-line block ×4, first 2 shown]
	v_fma_f64 v[35:36], -v[35:36], v[43:44], v[45:46]
	v_fma_f64 v[33:34], v[33:34], v[43:44], v[51:52]
	v_fma_f64 v[18:19], -v[18:19], v[43:44], v[47:48]
	v_fma_f64 v[16:17], v[16:17], v[43:44], v[41:42]
	s_waitcnt vmcnt(0)
	v_fma_f64 v[35:36], v[12:13], v[37:38], v[35:36]
	v_fma_f64 v[33:34], v[14:15], v[37:38], v[33:34]
	;; [unrolled: 1-line block ×4, first 2 shown]
	v_fma_f64 v[18:19], -v[14:15], v[39:40], v[35:36]
	v_fma_f64 v[16:17], v[12:13], v[39:40], v[33:34]
	v_fma_f64 v[12:13], -v[31:32], v[39:40], v[41:42]
	v_fma_f64 v[14:15], v[29:30], v[39:40], v[37:38]
	s_cbranch_scc0 .LBB297_8
; %bb.9:                                ;   in Loop: Header=BB297_7 Depth=1
	v_add_u32_e32 v22, 64, v22
	v_cmp_ge_i32_e32 vcc, v22, v24
	s_or_b64 s[18:19], vcc, s[18:19]
	v_add_u32_e32 v25, 0x780, v25
	s_andn2_b64 exec, exec, s[18:19]
	s_cbranch_execnz .LBB297_7
; %bb.10:
	s_or_b64 exec, exec, s[18:19]
.LBB297_11:
	s_or_b64 exec, exec, s[8:9]
	s_cbranch_execz .LBB297_13
	s_branch .LBB297_20
.LBB297_12:
                                        ; implicit-def: $vgpr16_vgpr17
                                        ; implicit-def: $vgpr18_vgpr19
                                        ; implicit-def: $vgpr12_vgpr13
                                        ; implicit-def: $vgpr14_vgpr15
.LBB297_13:
	v_mov_b32_e32 v16, 0
	v_mov_b32_e32 v18, 0
	;; [unrolled: 1-line block ×8, first 2 shown]
	s_and_saveexec_b64 s[2:3], s[0:1]
	s_cbranch_execz .LBB297_19
; %bb.14:
	v_mul_lo_u32 v11, v11, 30
	v_mul_lo_u32 v22, v10, 30
	s_mul_i32 s0, s16, 30
	v_mov_b32_e32 v16, 0
	v_mad_u32_u24 v11, v0, 30, v11
	v_mov_b32_e32 v18, 0
	v_mov_b32_e32 v12, 0
	;; [unrolled: 1-line block ×4, first 2 shown]
	v_subrev_u32_e32 v23, s0, v11
	s_mov_b64 s[0:1], 0
	v_mov_b32_e32 v25, s11
	v_mov_b32_e32 v21, 0
	;; [unrolled: 1-line block ×7, first 2 shown]
.LBB297_15:                             ; =>This Loop Header: Depth=1
                                        ;     Child Loop BB297_16 Depth 2
	v_ashrrev_i32_e32 v11, 31, v10
	v_lshlrev_b64 v[28:29], 2, v[10:11]
	s_mov_b32 s6, 0
	v_add_co_u32_e32 v28, vcc, s10, v28
	v_addc_co_u32_e32 v29, vcc, v25, v29, vcc
	global_load_dword v11, v[28:29], off
	s_waitcnt vmcnt(0)
	v_subrev_u32_e32 v11, s16, v11
	v_mul_lo_u32 v11, v11, 15
.LBB297_16:                             ;   Parent Loop BB297_15 Depth=1
                                        ; =>  This Inner Loop Header: Depth=2
	v_add_u32_e32 v20, s6, v23
	v_add_u32_e32 v44, s6, v22
	v_lshlrev_b64 v[32:33], 4, v[20:21]
	v_mov_b32_e32 v29, v21
	v_add_u32_e32 v20, s6, v11
	v_add_u32_e32 v28, 15, v44
	v_lshlrev_b64 v[34:35], 4, v[20:21]
	v_lshlrev_b64 v[36:37], 4, v[28:29]
	v_add_co_u32_e32 v28, vcc, s12, v32
	v_addc_co_u32_e32 v29, vcc, v26, v33, vcc
	v_add_co_u32_e32 v32, vcc, s14, v34
	v_mov_b32_e32 v31, v21
	v_add_u32_e32 v30, 1, v44
	v_addc_co_u32_e32 v33, vcc, v27, v35, vcc
	v_lshlrev_b64 v[38:39], 4, v[30:31]
	global_load_dwordx4 v[28:31], v[28:29], off
	v_add_co_u32_e32 v36, vcc, s12, v36
	global_load_dwordx4 v[32:35], v[32:33], off
	v_addc_co_u32_e32 v37, vcc, v26, v37, vcc
	v_add_co_u32_e32 v38, vcc, s12, v38
	v_addc_co_u32_e32 v39, vcc, v26, v39, vcc
	s_add_i32 s6, s6, 3
	s_cmp_eq_u32 s6, 15
	s_waitcnt vmcnt(0)
	v_fma_f64 v[18:19], v[28:29], v[32:33], v[18:19]
	v_fma_f64 v[16:17], v[30:31], v[32:33], v[16:17]
	v_fma_f64 v[40:41], -v[30:31], v[34:35], v[18:19]
	v_fma_f64 v[42:43], v[28:29], v[34:35], v[16:17]
	global_load_dwordx4 v[16:19], v[36:37], off
	global_load_dwordx4 v[28:31], v[38:39], off
	s_waitcnt vmcnt(1)
	v_fma_f64 v[12:13], v[16:17], v[32:33], v[12:13]
	v_fma_f64 v[14:15], v[18:19], v[32:33], v[14:15]
	v_fma_f64 v[32:33], -v[18:19], v[34:35], v[12:13]
	v_fma_f64 v[34:35], v[16:17], v[34:35], v[14:15]
	v_mov_b32_e32 v15, v21
	v_add_u32_e32 v14, 16, v44
	v_lshlrev_b64 v[14:15], 4, v[14:15]
	v_mov_b32_e32 v17, v21
	v_add_u32_e32 v16, 2, v44
	v_lshlrev_b64 v[16:17], 4, v[16:17]
	v_add_co_u32_e32 v36, vcc, s12, v14
	v_mov_b32_e32 v13, v21
	v_add_u32_e32 v12, 1, v20
	v_addc_co_u32_e32 v37, vcc, v26, v15, vcc
	v_lshlrev_b64 v[12:13], 4, v[12:13]
	v_add_co_u32_e32 v38, vcc, s12, v16
	v_addc_co_u32_e32 v39, vcc, v26, v17, vcc
	v_add_co_u32_e32 v12, vcc, s14, v12
	v_addc_co_u32_e32 v13, vcc, v27, v13, vcc
	global_load_dwordx4 v[12:15], v[12:13], off
	v_add_u32_e32 v20, 2, v20
	s_waitcnt vmcnt(0)
	v_fma_f64 v[16:17], v[28:29], v[12:13], v[40:41]
	v_fma_f64 v[18:19], v[30:31], v[12:13], v[42:43]
	v_fma_f64 v[40:41], -v[30:31], v[14:15], v[16:17]
	v_fma_f64 v[42:43], v[28:29], v[14:15], v[18:19]
	global_load_dwordx4 v[16:19], v[36:37], off
	global_load_dwordx4 v[28:31], v[38:39], off
	s_waitcnt vmcnt(1)
	v_fma_f64 v[32:33], v[16:17], v[12:13], v[32:33]
	v_fma_f64 v[12:13], v[18:19], v[12:13], v[34:35]
	v_fma_f64 v[18:19], -v[18:19], v[14:15], v[32:33]
	v_fma_f64 v[16:17], v[16:17], v[14:15], v[12:13]
	v_lshlrev_b64 v[12:13], 4, v[20:21]
	v_add_u32_e32 v20, 17, v44
	v_lshlrev_b64 v[32:33], 4, v[20:21]
	v_add_co_u32_e32 v12, vcc, s14, v12
	v_addc_co_u32_e32 v13, vcc, v27, v13, vcc
	v_add_co_u32_e32 v32, vcc, s12, v32
	v_addc_co_u32_e32 v33, vcc, v26, v33, vcc
	global_load_dwordx4 v[12:15], v[12:13], off
	s_waitcnt vmcnt(0)
	v_fma_f64 v[36:37], v[28:29], v[12:13], v[40:41]
	global_load_dwordx4 v[32:35], v[32:33], off
	v_fma_f64 v[38:39], v[30:31], v[12:13], v[42:43]
	s_waitcnt vmcnt(0)
	v_fma_f64 v[40:41], v[32:33], v[12:13], v[18:19]
	v_fma_f64 v[42:43], v[34:35], v[12:13], v[16:17]
	v_fma_f64 v[18:19], -v[30:31], v[14:15], v[36:37]
	v_fma_f64 v[16:17], v[28:29], v[14:15], v[38:39]
	v_fma_f64 v[12:13], -v[34:35], v[14:15], v[40:41]
	v_fma_f64 v[14:15], v[32:33], v[14:15], v[42:43]
	s_cbranch_scc0 .LBB297_16
; %bb.17:                               ;   in Loop: Header=BB297_15 Depth=1
	v_add_u32_e32 v10, 64, v10
	v_cmp_ge_i32_e32 vcc, v10, v24
	v_add_u32_e32 v22, 0x780, v22
	s_or_b64 s[0:1], vcc, s[0:1]
	v_add_u32_e32 v23, 0x780, v23
	s_andn2_b64 exec, exec, s[0:1]
	s_cbranch_execnz .LBB297_15
; %bb.18:
	s_or_b64 exec, exec, s[0:1]
.LBB297_19:
	s_or_b64 exec, exec, s[2:3]
.LBB297_20:
	v_mov_b32_dpp v10, v18 row_shr:1 row_mask:0xf bank_mask:0xf
	v_mov_b32_dpp v11, v19 row_shr:1 row_mask:0xf bank_mask:0xf
	v_add_f64 v[10:11], v[18:19], v[10:11]
	v_mov_b32_dpp v18, v16 row_shr:1 row_mask:0xf bank_mask:0xf
	v_mov_b32_dpp v19, v17 row_shr:1 row_mask:0xf bank_mask:0xf
	v_add_f64 v[16:17], v[16:17], v[18:19]
	;; [unrolled: 3-line block ×3, first 2 shown]
	v_cmp_eq_u32_e32 vcc, 63, v0
	v_mov_b32_dpp v18, v10 row_shr:2 row_mask:0xf bank_mask:0xf
	v_mov_b32_dpp v19, v11 row_shr:2 row_mask:0xf bank_mask:0xf
	v_add_f64 v[10:11], v[10:11], v[18:19]
	v_mov_b32_dpp v18, v12 row_shr:1 row_mask:0xf bank_mask:0xf
	v_mov_b32_dpp v19, v13 row_shr:1 row_mask:0xf bank_mask:0xf
	v_add_f64 v[12:13], v[12:13], v[18:19]
	v_mov_b32_dpp v18, v16 row_shr:2 row_mask:0xf bank_mask:0xf
	v_mov_b32_dpp v19, v10 row_shr:4 row_mask:0xf bank_mask:0xe
	v_mov_b32_dpp v20, v11 row_shr:4 row_mask:0xf bank_mask:0xe
	v_add_f64 v[10:11], v[10:11], v[19:20]
	v_mov_b32_dpp v19, v17 row_shr:2 row_mask:0xf bank_mask:0xf
	;; [unrolled: 4-line block ×3, first 2 shown]
	v_add_f64 v[12:13], v[12:13], v[20:21]
	v_mov_b32_dpp v19, v15 row_shr:2 row_mask:0xf bank_mask:0xf
	v_add_f64 v[14:15], v[14:15], v[18:19]
	v_mov_b32_dpp v20, v10 row_shr:8 row_mask:0xf bank_mask:0xc
	v_mov_b32_dpp v21, v11 row_shr:8 row_mask:0xf bank_mask:0xc
	v_add_f64 v[10:11], v[10:11], v[20:21]
	v_mov_b32_dpp v18, v16 row_shr:4 row_mask:0xf bank_mask:0xe
	v_mov_b32_dpp v19, v17 row_shr:4 row_mask:0xf bank_mask:0xe
	;; [unrolled: 1-line block ×3, first 2 shown]
	v_add_f64 v[16:17], v[16:17], v[18:19]
	v_mov_b32_dpp v21, v13 row_shr:4 row_mask:0xf bank_mask:0xe
	v_add_f64 v[12:13], v[12:13], v[20:21]
	v_mov_b32_dpp v19, v14 row_shr:4 row_mask:0xf bank_mask:0xe
	v_mov_b32_dpp v20, v15 row_shr:4 row_mask:0xf bank_mask:0xe
	v_add_f64 v[14:15], v[14:15], v[19:20]
	v_mov_b32_dpp v18, v10 row_bcast:15 row_mask:0xa bank_mask:0xf
	v_mov_b32_dpp v19, v11 row_bcast:15 row_mask:0xa bank_mask:0xf
	v_mov_b32_dpp v20, v16 row_shr:8 row_mask:0xf bank_mask:0xc
	v_mov_b32_dpp v21, v17 row_shr:8 row_mask:0xf bank_mask:0xc
	v_add_f64 v[16:17], v[16:17], v[20:21]
	v_mov_b32_dpp v20, v12 row_shr:8 row_mask:0xf bank_mask:0xc
	v_mov_b32_dpp v21, v13 row_shr:8 row_mask:0xf bank_mask:0xc
	v_add_f64 v[20:21], v[12:13], v[20:21]
	;; [unrolled: 3-line block ×3, first 2 shown]
	v_add_f64 v[10:11], v[10:11], v[18:19]
	v_mov_b32_dpp v12, v16 row_bcast:15 row_mask:0xa bank_mask:0xf
	v_mov_b32_dpp v13, v17 row_bcast:15 row_mask:0xa bank_mask:0xf
	v_add_f64 v[12:13], v[16:17], v[12:13]
	v_mov_b32_dpp v16, v20 row_bcast:15 row_mask:0xa bank_mask:0xf
	v_mov_b32_dpp v17, v21 row_bcast:15 row_mask:0xa bank_mask:0xf
	;; [unrolled: 3-line block ×4, first 2 shown]
	v_mov_b32_dpp v16, v12 row_bcast:31 row_mask:0xc bank_mask:0xf
	v_mov_b32_dpp v17, v13 row_bcast:31 row_mask:0xc bank_mask:0xf
	;; [unrolled: 1-line block ×6, first 2 shown]
	s_and_b64 exec, exec, vcc
	s_cbranch_execz .LBB297_25
; %bb.21:
	v_cmp_eq_f64_e32 vcc, 0, v[5:6]
	v_cmp_eq_f64_e64 s[0:1], 0, v[7:8]
	v_add_f64 v[10:11], v[10:11], v[24:25]
	v_add_f64 v[16:17], v[12:13], v[16:17]
	;; [unrolled: 1-line block ×4, first 2 shown]
	s_load_dwordx2 s[2:3], s[4:5], 0x48
	s_and_b64 s[0:1], vcc, s[0:1]
	s_and_saveexec_b64 s[4:5], s[0:1]
	s_xor_b64 s[0:1], exec, s[4:5]
	s_cbranch_execz .LBB297_23
; %bb.22:
	v_mul_f64 v[5:6], v[16:17], -v[3:4]
	v_mul_f64 v[7:8], v[1:2], v[16:17]
	v_mul_f64 v[16:17], v[14:15], -v[3:4]
	v_mul_f64 v[14:15], v[1:2], v[14:15]
	v_lshlrev_b32_e32 v9, 1, v9
	s_waitcnt lgkmcnt(0)
	v_mov_b32_e32 v18, s3
	v_fma_f64 v[5:6], v[1:2], v[10:11], v[5:6]
	v_fma_f64 v[7:8], v[3:4], v[10:11], v[7:8]
	;; [unrolled: 1-line block ×4, first 2 shown]
	v_ashrrev_i32_e32 v10, 31, v9
	v_lshlrev_b64 v[9:10], 4, v[9:10]
                                        ; implicit-def: $vgpr16_vgpr17
                                        ; implicit-def: $vgpr12_vgpr13
                                        ; implicit-def: $vgpr14_vgpr15
	v_add_co_u32_e32 v9, vcc, s2, v9
	v_addc_co_u32_e32 v10, vcc, v18, v10, vcc
	global_store_dwordx4 v[9:10], v[5:8], off
	global_store_dwordx4 v[9:10], v[0:3], off offset:16
                                        ; implicit-def: $vgpr9
                                        ; implicit-def: $vgpr10_vgpr11
                                        ; implicit-def: $vgpr7_vgpr8
                                        ; implicit-def: $vgpr3_vgpr4
.LBB297_23:
	s_andn2_saveexec_b64 s[0:1], s[0:1]
	s_cbranch_execz .LBB297_25
; %bb.24:
	v_lshlrev_b32_e32 v18, 1, v9
	v_ashrrev_i32_e32 v19, 31, v18
	v_lshlrev_b64 v[18:19], 4, v[18:19]
	s_waitcnt lgkmcnt(0)
	v_mov_b32_e32 v0, s3
	v_add_co_u32_e32 v26, vcc, s2, v18
	v_addc_co_u32_e32 v27, vcc, v0, v19, vcc
	global_load_dwordx4 v[18:21], v[26:27], off
	global_load_dwordx4 v[22:25], v[26:27], off offset:16
	v_mul_f64 v[28:29], v[16:17], -v[3:4]
	v_mul_f64 v[16:17], v[1:2], v[16:17]
	v_mul_f64 v[30:31], v[14:15], -v[3:4]
	v_mul_f64 v[14:15], v[1:2], v[14:15]
	v_fma_f64 v[28:29], v[1:2], v[10:11], v[28:29]
	v_fma_f64 v[9:10], v[3:4], v[10:11], v[16:17]
	;; [unrolled: 1-line block ×4, first 2 shown]
	s_waitcnt vmcnt(1)
	v_fma_f64 v[11:12], v[5:6], v[18:19], v[28:29]
	v_fma_f64 v[9:10], v[7:8], v[18:19], v[9:10]
	s_waitcnt vmcnt(0)
	v_fma_f64 v[13:14], v[5:6], v[22:23], v[0:1]
	v_fma_f64 v[15:16], v[7:8], v[22:23], v[2:3]
	v_fma_f64 v[0:1], -v[7:8], v[20:21], v[11:12]
	v_fma_f64 v[2:3], v[5:6], v[20:21], v[9:10]
	v_fma_f64 v[7:8], -v[7:8], v[24:25], v[13:14]
	v_fma_f64 v[9:10], v[5:6], v[24:25], v[15:16]
	global_store_dwordx4 v[26:27], v[0:3], off
	global_store_dwordx4 v[26:27], v[7:10], off offset:16
.LBB297_25:
	s_endpgm
	.section	.rodata,"a",@progbits
	.p2align	6, 0x0
	.amdhsa_kernel _ZN9rocsparseL19gebsrmvn_2xn_kernelILj128ELj15ELj64E21rocsparse_complex_numIdEEEvi20rocsparse_direction_NS_24const_host_device_scalarIT2_EEPKiS8_PKS5_SA_S6_PS5_21rocsparse_index_base_b
		.amdhsa_group_segment_fixed_size 0
		.amdhsa_private_segment_fixed_size 0
		.amdhsa_kernarg_size 88
		.amdhsa_user_sgpr_count 6
		.amdhsa_user_sgpr_private_segment_buffer 1
		.amdhsa_user_sgpr_dispatch_ptr 0
		.amdhsa_user_sgpr_queue_ptr 0
		.amdhsa_user_sgpr_kernarg_segment_ptr 1
		.amdhsa_user_sgpr_dispatch_id 0
		.amdhsa_user_sgpr_flat_scratch_init 0
		.amdhsa_user_sgpr_private_segment_size 0
		.amdhsa_uses_dynamic_stack 0
		.amdhsa_system_sgpr_private_segment_wavefront_offset 0
		.amdhsa_system_sgpr_workgroup_id_x 1
		.amdhsa_system_sgpr_workgroup_id_y 0
		.amdhsa_system_sgpr_workgroup_id_z 0
		.amdhsa_system_sgpr_workgroup_info 0
		.amdhsa_system_vgpr_workitem_id 0
		.amdhsa_next_free_vgpr 57
		.amdhsa_next_free_sgpr 20
		.amdhsa_reserve_vcc 1
		.amdhsa_reserve_flat_scratch 0
		.amdhsa_float_round_mode_32 0
		.amdhsa_float_round_mode_16_64 0
		.amdhsa_float_denorm_mode_32 3
		.amdhsa_float_denorm_mode_16_64 3
		.amdhsa_dx10_clamp 1
		.amdhsa_ieee_mode 1
		.amdhsa_fp16_overflow 0
		.amdhsa_exception_fp_ieee_invalid_op 0
		.amdhsa_exception_fp_denorm_src 0
		.amdhsa_exception_fp_ieee_div_zero 0
		.amdhsa_exception_fp_ieee_overflow 0
		.amdhsa_exception_fp_ieee_underflow 0
		.amdhsa_exception_fp_ieee_inexact 0
		.amdhsa_exception_int_div_zero 0
	.end_amdhsa_kernel
	.section	.text._ZN9rocsparseL19gebsrmvn_2xn_kernelILj128ELj15ELj64E21rocsparse_complex_numIdEEEvi20rocsparse_direction_NS_24const_host_device_scalarIT2_EEPKiS8_PKS5_SA_S6_PS5_21rocsparse_index_base_b,"axG",@progbits,_ZN9rocsparseL19gebsrmvn_2xn_kernelILj128ELj15ELj64E21rocsparse_complex_numIdEEEvi20rocsparse_direction_NS_24const_host_device_scalarIT2_EEPKiS8_PKS5_SA_S6_PS5_21rocsparse_index_base_b,comdat
.Lfunc_end297:
	.size	_ZN9rocsparseL19gebsrmvn_2xn_kernelILj128ELj15ELj64E21rocsparse_complex_numIdEEEvi20rocsparse_direction_NS_24const_host_device_scalarIT2_EEPKiS8_PKS5_SA_S6_PS5_21rocsparse_index_base_b, .Lfunc_end297-_ZN9rocsparseL19gebsrmvn_2xn_kernelILj128ELj15ELj64E21rocsparse_complex_numIdEEEvi20rocsparse_direction_NS_24const_host_device_scalarIT2_EEPKiS8_PKS5_SA_S6_PS5_21rocsparse_index_base_b
                                        ; -- End function
	.set _ZN9rocsparseL19gebsrmvn_2xn_kernelILj128ELj15ELj64E21rocsparse_complex_numIdEEEvi20rocsparse_direction_NS_24const_host_device_scalarIT2_EEPKiS8_PKS5_SA_S6_PS5_21rocsparse_index_base_b.num_vgpr, 57
	.set _ZN9rocsparseL19gebsrmvn_2xn_kernelILj128ELj15ELj64E21rocsparse_complex_numIdEEEvi20rocsparse_direction_NS_24const_host_device_scalarIT2_EEPKiS8_PKS5_SA_S6_PS5_21rocsparse_index_base_b.num_agpr, 0
	.set _ZN9rocsparseL19gebsrmvn_2xn_kernelILj128ELj15ELj64E21rocsparse_complex_numIdEEEvi20rocsparse_direction_NS_24const_host_device_scalarIT2_EEPKiS8_PKS5_SA_S6_PS5_21rocsparse_index_base_b.numbered_sgpr, 20
	.set _ZN9rocsparseL19gebsrmvn_2xn_kernelILj128ELj15ELj64E21rocsparse_complex_numIdEEEvi20rocsparse_direction_NS_24const_host_device_scalarIT2_EEPKiS8_PKS5_SA_S6_PS5_21rocsparse_index_base_b.num_named_barrier, 0
	.set _ZN9rocsparseL19gebsrmvn_2xn_kernelILj128ELj15ELj64E21rocsparse_complex_numIdEEEvi20rocsparse_direction_NS_24const_host_device_scalarIT2_EEPKiS8_PKS5_SA_S6_PS5_21rocsparse_index_base_b.private_seg_size, 0
	.set _ZN9rocsparseL19gebsrmvn_2xn_kernelILj128ELj15ELj64E21rocsparse_complex_numIdEEEvi20rocsparse_direction_NS_24const_host_device_scalarIT2_EEPKiS8_PKS5_SA_S6_PS5_21rocsparse_index_base_b.uses_vcc, 1
	.set _ZN9rocsparseL19gebsrmvn_2xn_kernelILj128ELj15ELj64E21rocsparse_complex_numIdEEEvi20rocsparse_direction_NS_24const_host_device_scalarIT2_EEPKiS8_PKS5_SA_S6_PS5_21rocsparse_index_base_b.uses_flat_scratch, 0
	.set _ZN9rocsparseL19gebsrmvn_2xn_kernelILj128ELj15ELj64E21rocsparse_complex_numIdEEEvi20rocsparse_direction_NS_24const_host_device_scalarIT2_EEPKiS8_PKS5_SA_S6_PS5_21rocsparse_index_base_b.has_dyn_sized_stack, 0
	.set _ZN9rocsparseL19gebsrmvn_2xn_kernelILj128ELj15ELj64E21rocsparse_complex_numIdEEEvi20rocsparse_direction_NS_24const_host_device_scalarIT2_EEPKiS8_PKS5_SA_S6_PS5_21rocsparse_index_base_b.has_recursion, 0
	.set _ZN9rocsparseL19gebsrmvn_2xn_kernelILj128ELj15ELj64E21rocsparse_complex_numIdEEEvi20rocsparse_direction_NS_24const_host_device_scalarIT2_EEPKiS8_PKS5_SA_S6_PS5_21rocsparse_index_base_b.has_indirect_call, 0
	.section	.AMDGPU.csdata,"",@progbits
; Kernel info:
; codeLenInByte = 2596
; TotalNumSgprs: 24
; NumVgprs: 57
; ScratchSize: 0
; MemoryBound: 0
; FloatMode: 240
; IeeeMode: 1
; LDSByteSize: 0 bytes/workgroup (compile time only)
; SGPRBlocks: 2
; VGPRBlocks: 14
; NumSGPRsForWavesPerEU: 24
; NumVGPRsForWavesPerEU: 57
; Occupancy: 4
; WaveLimiterHint : 1
; COMPUTE_PGM_RSRC2:SCRATCH_EN: 0
; COMPUTE_PGM_RSRC2:USER_SGPR: 6
; COMPUTE_PGM_RSRC2:TRAP_HANDLER: 0
; COMPUTE_PGM_RSRC2:TGID_X_EN: 1
; COMPUTE_PGM_RSRC2:TGID_Y_EN: 0
; COMPUTE_PGM_RSRC2:TGID_Z_EN: 0
; COMPUTE_PGM_RSRC2:TIDIG_COMP_CNT: 0
	.section	.text._ZN9rocsparseL19gebsrmvn_2xn_kernelILj128ELj16ELj4E21rocsparse_complex_numIdEEEvi20rocsparse_direction_NS_24const_host_device_scalarIT2_EEPKiS8_PKS5_SA_S6_PS5_21rocsparse_index_base_b,"axG",@progbits,_ZN9rocsparseL19gebsrmvn_2xn_kernelILj128ELj16ELj4E21rocsparse_complex_numIdEEEvi20rocsparse_direction_NS_24const_host_device_scalarIT2_EEPKiS8_PKS5_SA_S6_PS5_21rocsparse_index_base_b,comdat
	.globl	_ZN9rocsparseL19gebsrmvn_2xn_kernelILj128ELj16ELj4E21rocsparse_complex_numIdEEEvi20rocsparse_direction_NS_24const_host_device_scalarIT2_EEPKiS8_PKS5_SA_S6_PS5_21rocsparse_index_base_b ; -- Begin function _ZN9rocsparseL19gebsrmvn_2xn_kernelILj128ELj16ELj4E21rocsparse_complex_numIdEEEvi20rocsparse_direction_NS_24const_host_device_scalarIT2_EEPKiS8_PKS5_SA_S6_PS5_21rocsparse_index_base_b
	.p2align	8
	.type	_ZN9rocsparseL19gebsrmvn_2xn_kernelILj128ELj16ELj4E21rocsparse_complex_numIdEEEvi20rocsparse_direction_NS_24const_host_device_scalarIT2_EEPKiS8_PKS5_SA_S6_PS5_21rocsparse_index_base_b,@function
_ZN9rocsparseL19gebsrmvn_2xn_kernelILj128ELj16ELj4E21rocsparse_complex_numIdEEEvi20rocsparse_direction_NS_24const_host_device_scalarIT2_EEPKiS8_PKS5_SA_S6_PS5_21rocsparse_index_base_b: ; @_ZN9rocsparseL19gebsrmvn_2xn_kernelILj128ELj16ELj4E21rocsparse_complex_numIdEEEvi20rocsparse_direction_NS_24const_host_device_scalarIT2_EEPKiS8_PKS5_SA_S6_PS5_21rocsparse_index_base_b
; %bb.0:
	s_load_dwordx2 s[0:1], s[4:5], 0x8
	s_load_dwordx2 s[2:3], s[4:5], 0x38
	;; [unrolled: 1-line block ×3, first 2 shown]
	s_add_u32 s7, s4, 8
	s_addc_u32 s8, s5, 0
	s_add_u32 s9, s4, 56
	s_addc_u32 s10, s5, 0
	s_waitcnt lgkmcnt(0)
	s_bitcmp1_b32 s17, 0
	s_cselect_b32 s1, s8, s1
	s_cselect_b32 s0, s7, s0
	v_mov_b32_e32 v1, s0
	v_mov_b32_e32 v2, s1
	flat_load_dwordx4 v[1:4], v[1:2]
	s_cselect_b32 s0, s10, s3
	s_cselect_b32 s1, s9, s2
	v_mov_b32_e32 v5, s1
	v_mov_b32_e32 v6, s0
	flat_load_dwordx4 v[5:8], v[5:6]
	s_waitcnt vmcnt(0) lgkmcnt(0)
	v_cmp_eq_f64_e32 vcc, 0, v[1:2]
	v_cmp_eq_f64_e64 s[0:1], 0, v[3:4]
	s_and_b64 s[8:9], vcc, s[0:1]
	s_mov_b64 s[0:1], -1
	s_and_saveexec_b64 s[2:3], s[8:9]
	s_cbranch_execz .LBB298_2
; %bb.1:
	v_cmp_neq_f64_e32 vcc, 1.0, v[5:6]
	v_cmp_neq_f64_e64 s[0:1], 0, v[7:8]
	s_or_b64 s[0:1], vcc, s[0:1]
	s_orn2_b64 s[0:1], s[0:1], exec
.LBB298_2:
	s_or_b64 exec, exec, s[2:3]
	s_and_saveexec_b64 s[2:3], s[0:1]
	s_cbranch_execz .LBB298_25
; %bb.3:
	s_load_dwordx2 s[0:1], s[4:5], 0x0
	v_lshrrev_b32_e32 v9, 2, v0
	v_lshl_or_b32 v9, s6, 5, v9
	s_waitcnt lgkmcnt(0)
	v_cmp_gt_i32_e32 vcc, s0, v9
	s_and_b64 exec, exec, vcc
	s_cbranch_execz .LBB298_25
; %bb.4:
	s_load_dwordx8 s[8:15], s[4:5], 0x18
	v_ashrrev_i32_e32 v10, 31, v9
	v_lshlrev_b64 v[10:11], 2, v[9:10]
	v_and_b32_e32 v0, 3, v0
	s_cmp_lg_u32 s1, 0
	s_waitcnt lgkmcnt(0)
	v_mov_b32_e32 v12, s9
	v_add_co_u32_e32 v10, vcc, s8, v10
	v_addc_co_u32_e32 v11, vcc, v12, v11, vcc
	global_load_dwordx2 v[10:11], v[10:11], off
	s_waitcnt vmcnt(0)
	v_subrev_u32_e32 v10, s16, v10
	v_subrev_u32_e32 v28, s16, v11
	v_add_u32_e32 v10, v10, v0
	v_cmp_lt_i32_e64 s[0:1], v10, v28
	s_cbranch_scc0 .LBB298_12
; %bb.5:
	v_mov_b32_e32 v12, 0
	v_mov_b32_e32 v18, 0
	;; [unrolled: 1-line block ×8, first 2 shown]
	s_and_saveexec_b64 s[6:7], s[0:1]
	s_cbranch_execz .LBB298_11
; %bb.6:
	s_add_u32 s17, s12, 16
	v_lshlrev_b32_e32 v20, 5, v10
	s_addc_u32 s2, s13, 0
	v_mov_b32_e32 v12, 0
	v_mov_b32_e32 v18, 0
	;; [unrolled: 1-line block ×4, first 2 shown]
	v_or_b32_e32 v11, 6, v20
	v_mov_b32_e32 v13, 0
	s_mov_b64 s[8:9], 0
	v_mov_b32_e32 v22, 0
	v_mov_b32_e32 v29, s2
	;; [unrolled: 1-line block ×8, first 2 shown]
.LBB298_7:                              ; =>This Loop Header: Depth=1
                                        ;     Child Loop BB298_8 Depth 2
	v_ashrrev_i32_e32 v24, 31, v23
	v_lshlrev_b64 v[24:25], 2, v[23:24]
	v_mov_b32_e32 v21, v22
	v_add_co_u32_e32 v24, vcc, s10, v24
	v_addc_co_u32_e32 v25, vcc, v30, v25, vcc
	global_load_dword v25, v[24:25], off
	v_lshlrev_b64 v[26:27], 4, v[20:21]
	v_mov_b32_e32 v24, v11
	v_add_co_u32_e32 v26, vcc, s17, v26
	v_addc_co_u32_e32 v27, vcc, v29, v27, vcc
	s_mov_b64 s[18:19], 0
	s_waitcnt vmcnt(0)
	v_subrev_u32_e32 v21, s16, v25
	v_lshlrev_b32_e32 v21, 4, v21
	v_lshlrev_b64 v[32:33], 4, v[21:22]
	v_add_co_u32_e32 v32, vcc, s14, v32
	v_addc_co_u32_e32 v33, vcc, v31, v33, vcc
.LBB298_8:                              ;   Parent Loop BB298_7 Depth=1
                                        ; =>  This Inner Loop Header: Depth=2
	v_mov_b32_e32 v42, s19
	v_add_co_u32_e32 v46, vcc, s18, v32
	v_addc_co_u32_e32 v47, vcc, v33, v42, vcc
	global_load_dwordx4 v[34:37], v[26:27], off
	global_load_dwordx4 v[38:41], v[26:27], off offset:-16
	global_load_dwordx4 v[42:45], v[46:47], off
	v_add_u32_e32 v21, -4, v24
	v_lshlrev_b64 v[48:49], 4, v[21:22]
	v_mov_b32_e32 v58, s13
	v_add_u32_e32 v21, -2, v24
	v_mov_b32_e32 v25, v22
	v_lshlrev_b64 v[50:51], 4, v[24:25]
	s_add_u32 s18, s18, 64
	s_addc_u32 s19, s19, 0
	v_add_u32_e32 v24, 8, v24
	s_cmpk_eq_i32 s18, 0x100
	s_waitcnt vmcnt(0)
	v_fma_f64 v[12:13], v[40:41], v[42:43], v[12:13]
	v_fma_f64 v[18:19], v[38:39], v[42:43], v[18:19]
	;; [unrolled: 1-line block ×5, first 2 shown]
	v_fma_f64 v[52:53], -v[40:41], v[44:45], v[18:19]
	global_load_dwordx4 v[38:41], v[46:47], off offset:16
	v_fma_f64 v[42:43], -v[36:37], v[44:45], v[12:13]
	v_fma_f64 v[44:45], v[34:35], v[44:45], v[14:15]
	global_load_dwordx4 v[12:15], v[46:47], off offset:48
	global_load_dwordx4 v[16:19], v[46:47], off offset:32
	v_add_co_u32_e32 v46, vcc, s12, v48
	v_addc_co_u32_e32 v47, vcc, v58, v49, vcc
	global_load_dwordx4 v[34:37], v[46:47], off
	v_add_co_u32_e32 v50, vcc, s12, v50
	v_addc_co_u32_e32 v51, vcc, v58, v51, vcc
	v_add_co_u32_e32 v26, vcc, 0x80, v26
	v_addc_co_u32_e32 v27, vcc, 0, v27, vcc
	s_waitcnt vmcnt(0)
	v_fma_f64 v[48:49], v[34:35], v[38:39], v[52:53]
	v_fma_f64 v[52:53], v[36:37], v[38:39], v[54:55]
	v_lshlrev_b64 v[54:55], 4, v[21:22]
	v_fma_f64 v[48:49], -v[36:37], v[40:41], v[48:49]
	v_fma_f64 v[52:53], v[34:35], v[40:41], v[52:53]
	global_load_dwordx4 v[34:37], v[46:47], off offset:16
	s_waitcnt vmcnt(0)
	v_fma_f64 v[42:43], v[34:35], v[38:39], v[42:43]
	v_fma_f64 v[38:39], v[36:37], v[38:39], v[44:45]
	v_fma_f64 v[46:47], -v[36:37], v[40:41], v[42:43]
	v_add_co_u32_e64 v42, s[2:3], s12, v54
	v_addc_co_u32_e64 v43, s[2:3], v58, v55, s[2:3]
	v_fma_f64 v[56:57], v[34:35], v[40:41], v[38:39]
	global_load_dwordx4 v[34:37], v[42:43], off
	global_load_dwordx4 v[38:41], v[42:43], off offset:16
	s_waitcnt vmcnt(1)
	v_fma_f64 v[42:43], v[34:35], v[16:17], v[48:49]
	v_fma_f64 v[44:45], v[36:37], v[16:17], v[52:53]
	s_waitcnt vmcnt(0)
	v_fma_f64 v[46:47], v[38:39], v[16:17], v[46:47]
	v_fma_f64 v[16:17], v[40:41], v[16:17], v[56:57]
	v_fma_f64 v[48:49], -v[36:37], v[18:19], v[42:43]
	v_fma_f64 v[52:53], v[34:35], v[18:19], v[44:45]
	global_load_dwordx4 v[34:37], v[50:51], off
	global_load_dwordx4 v[42:45], v[50:51], off offset:16
	v_fma_f64 v[40:41], -v[40:41], v[18:19], v[46:47]
	v_fma_f64 v[16:17], v[38:39], v[18:19], v[16:17]
	s_waitcnt vmcnt(1)
	v_fma_f64 v[18:19], v[34:35], v[12:13], v[48:49]
	v_fma_f64 v[38:39], v[36:37], v[12:13], v[52:53]
	s_waitcnt vmcnt(0)
	v_fma_f64 v[40:41], v[42:43], v[12:13], v[40:41]
	v_fma_f64 v[46:47], v[44:45], v[12:13], v[16:17]
	v_fma_f64 v[18:19], -v[36:37], v[14:15], v[18:19]
	v_fma_f64 v[12:13], v[34:35], v[14:15], v[38:39]
	v_fma_f64 v[16:17], -v[44:45], v[14:15], v[40:41]
	v_fma_f64 v[14:15], v[42:43], v[14:15], v[46:47]
	s_cbranch_scc0 .LBB298_8
; %bb.9:                                ;   in Loop: Header=BB298_7 Depth=1
	v_add_u32_e32 v23, 4, v23
	v_cmp_ge_i32_e32 vcc, v23, v28
	v_add_u32_e32 v11, 0x80, v11
	s_or_b64 s[8:9], vcc, s[8:9]
	v_add_u32_e32 v20, 0x80, v20
	s_andn2_b64 exec, exec, s[8:9]
	s_cbranch_execnz .LBB298_7
; %bb.10:
	s_or_b64 exec, exec, s[8:9]
.LBB298_11:
	s_or_b64 exec, exec, s[6:7]
	s_cbranch_execz .LBB298_13
	s_branch .LBB298_20
.LBB298_12:
                                        ; implicit-def: $vgpr12_vgpr13
                                        ; implicit-def: $vgpr18_vgpr19
                                        ; implicit-def: $vgpr16_vgpr17
                                        ; implicit-def: $vgpr14_vgpr15
.LBB298_13:
	v_mov_b32_e32 v12, 0
	v_mov_b32_e32 v18, 0
	;; [unrolled: 1-line block ×8, first 2 shown]
	s_and_saveexec_b64 s[2:3], s[0:1]
	s_cbranch_execz .LBB298_19
; %bb.14:
	v_mov_b32_e32 v12, 0
	v_mov_b32_e32 v18, 0
	;; [unrolled: 1-line block ×4, first 2 shown]
	v_lshlrev_b32_e32 v20, 5, v10
	v_mov_b32_e32 v13, 0
	s_mov_b64 s[6:7], 0
	v_mov_b32_e32 v21, 0
	v_mov_b32_e32 v22, s13
	;; [unrolled: 1-line block ×7, first 2 shown]
.LBB298_15:                             ; =>This Loop Header: Depth=1
                                        ;     Child Loop BB298_16 Depth 2
	v_ashrrev_i32_e32 v11, 31, v10
	v_lshlrev_b64 v[25:26], 2, v[10:11]
	v_mov_b32_e32 v27, v21
	v_add_co_u32_e32 v25, vcc, s10, v25
	v_addc_co_u32_e32 v26, vcc, v23, v26, vcc
	global_load_dword v29, v[25:26], off
	v_lshlrev_b64 v[25:26], 4, v[20:21]
	s_mov_b64 s[8:9], 0
	v_add_co_u32_e32 v11, vcc, s12, v25
	v_addc_co_u32_e32 v25, vcc, v22, v26, vcc
	s_waitcnt vmcnt(0)
	v_subrev_u32_e32 v26, s16, v29
	v_lshlrev_b32_e32 v26, 4, v26
	v_lshlrev_b64 v[26:27], 4, v[26:27]
	v_add_co_u32_e32 v26, vcc, s14, v26
	v_addc_co_u32_e32 v27, vcc, v24, v27, vcc
.LBB298_16:                             ;   Parent Loop BB298_15 Depth=1
                                        ; =>  This Inner Loop Header: Depth=2
	v_mov_b32_e32 v29, s9
	v_add_co_u32_e64 v43, s[0:1], s8, v11
	v_add_co_u32_e32 v41, vcc, s8, v26
	v_addc_co_u32_e64 v44, s[0:1], v25, v29, s[0:1]
	v_addc_co_u32_e32 v42, vcc, v27, v29, vcc
	global_load_dwordx4 v[29:32], v[43:44], off
	global_load_dwordx4 v[33:36], v[41:42], off
	global_load_dwordx4 v[37:40], v[43:44], off offset:256
	s_add_u32 s8, s8, 64
	s_addc_u32 s9, s9, 0
	s_cmpk_eq_i32 s8, 0x100
	s_waitcnt vmcnt(1)
	v_fma_f64 v[12:13], v[31:32], v[33:34], v[12:13]
	v_fma_f64 v[18:19], v[29:30], v[33:34], v[18:19]
	s_waitcnt vmcnt(0)
	v_fma_f64 v[14:15], v[39:40], v[33:34], v[14:15]
	v_fma_f64 v[47:48], v[29:30], v[35:36], v[12:13]
	;; [unrolled: 1-line block ×3, first 2 shown]
	v_fma_f64 v[45:46], -v[31:32], v[35:36], v[18:19]
	global_load_dwordx4 v[29:32], v[43:44], off offset:16
	v_fma_f64 v[33:34], -v[39:40], v[35:36], v[12:13]
	v_fma_f64 v[35:36], v[37:38], v[35:36], v[14:15]
	global_load_dwordx4 v[12:15], v[41:42], off offset:16
	global_load_dwordx4 v[16:19], v[43:44], off offset:272
	s_waitcnt vmcnt(1)
	v_fma_f64 v[37:38], v[29:30], v[12:13], v[45:46]
	v_fma_f64 v[39:40], v[31:32], v[12:13], v[47:48]
	s_waitcnt vmcnt(0)
	v_fma_f64 v[33:34], v[16:17], v[12:13], v[33:34]
	v_fma_f64 v[12:13], v[18:19], v[12:13], v[35:36]
	v_fma_f64 v[37:38], -v[31:32], v[14:15], v[37:38]
	v_fma_f64 v[39:40], v[29:30], v[14:15], v[39:40]
	global_load_dwordx4 v[29:32], v[43:44], off offset:32
	v_fma_f64 v[33:34], -v[18:19], v[14:15], v[33:34]
	v_fma_f64 v[35:36], v[16:17], v[14:15], v[12:13]
	global_load_dwordx4 v[12:15], v[41:42], off offset:32
	global_load_dwordx4 v[16:19], v[43:44], off offset:288
	s_waitcnt vmcnt(1)
	v_fma_f64 v[37:38], v[29:30], v[12:13], v[37:38]
	v_fma_f64 v[39:40], v[31:32], v[12:13], v[39:40]
	s_waitcnt vmcnt(0)
	v_fma_f64 v[33:34], v[16:17], v[12:13], v[33:34]
	v_fma_f64 v[12:13], v[18:19], v[12:13], v[35:36]
	v_fma_f64 v[37:38], -v[31:32], v[14:15], v[37:38]
	v_fma_f64 v[39:40], v[29:30], v[14:15], v[39:40]
	;; [unrolled: 13-line block ×3, first 2 shown]
	v_fma_f64 v[16:17], -v[35:36], v[14:15], v[41:42]
	v_fma_f64 v[14:15], v[33:34], v[14:15], v[43:44]
	s_cbranch_scc0 .LBB298_16
; %bb.17:                               ;   in Loop: Header=BB298_15 Depth=1
	v_add_u32_e32 v10, 4, v10
	v_cmp_ge_i32_e32 vcc, v10, v28
	s_or_b64 s[6:7], vcc, s[6:7]
	v_add_u32_e32 v20, 0x80, v20
	s_andn2_b64 exec, exec, s[6:7]
	s_cbranch_execnz .LBB298_15
; %bb.18:
	s_or_b64 exec, exec, s[6:7]
.LBB298_19:
	s_or_b64 exec, exec, s[2:3]
.LBB298_20:
	v_mov_b32_dpp v10, v18 row_shr:1 row_mask:0xf bank_mask:0xf
	v_mov_b32_dpp v11, v19 row_shr:1 row_mask:0xf bank_mask:0xf
	v_add_f64 v[10:11], v[18:19], v[10:11]
	v_mov_b32_dpp v18, v12 row_shr:1 row_mask:0xf bank_mask:0xf
	v_mov_b32_dpp v19, v13 row_shr:1 row_mask:0xf bank_mask:0xf
	v_add_f64 v[12:13], v[12:13], v[18:19]
	;; [unrolled: 3-line block ×4, first 2 shown]
	v_mov_b32_dpp v24, v10 row_shr:2 row_mask:0xf bank_mask:0xf
	v_mov_b32_dpp v25, v11 row_shr:2 row_mask:0xf bank_mask:0xf
	;; [unrolled: 1-line block ×6, first 2 shown]
	v_cmp_eq_u32_e32 vcc, 3, v0
	v_mov_b32_dpp v20, v14 row_shr:2 row_mask:0xf bank_mask:0xf
	v_mov_b32_dpp v21, v15 row_shr:2 row_mask:0xf bank_mask:0xf
	s_and_b64 exec, exec, vcc
	s_cbranch_execz .LBB298_25
; %bb.21:
	v_cmp_eq_f64_e32 vcc, 0, v[5:6]
	v_cmp_eq_f64_e64 s[0:1], 0, v[7:8]
	v_add_f64 v[10:11], v[10:11], v[24:25]
	v_add_f64 v[16:17], v[12:13], v[16:17]
	;; [unrolled: 1-line block ×4, first 2 shown]
	s_load_dwordx2 s[2:3], s[4:5], 0x48
	s_and_b64 s[0:1], vcc, s[0:1]
	s_and_saveexec_b64 s[4:5], s[0:1]
	s_xor_b64 s[0:1], exec, s[4:5]
	s_cbranch_execz .LBB298_23
; %bb.22:
	v_mul_f64 v[5:6], v[16:17], -v[3:4]
	v_mul_f64 v[7:8], v[1:2], v[16:17]
	v_mul_f64 v[16:17], v[14:15], -v[3:4]
	v_mul_f64 v[14:15], v[1:2], v[14:15]
	v_lshlrev_b32_e32 v9, 1, v9
	s_waitcnt lgkmcnt(0)
	v_mov_b32_e32 v18, s3
	v_fma_f64 v[5:6], v[1:2], v[10:11], v[5:6]
	v_fma_f64 v[7:8], v[3:4], v[10:11], v[7:8]
	;; [unrolled: 1-line block ×4, first 2 shown]
	v_ashrrev_i32_e32 v10, 31, v9
	v_lshlrev_b64 v[9:10], 4, v[9:10]
                                        ; implicit-def: $vgpr16_vgpr17
                                        ; implicit-def: $vgpr12_vgpr13
                                        ; implicit-def: $vgpr14_vgpr15
	v_add_co_u32_e32 v9, vcc, s2, v9
	v_addc_co_u32_e32 v10, vcc, v18, v10, vcc
	global_store_dwordx4 v[9:10], v[5:8], off
	global_store_dwordx4 v[9:10], v[0:3], off offset:16
                                        ; implicit-def: $vgpr9
                                        ; implicit-def: $vgpr10_vgpr11
                                        ; implicit-def: $vgpr7_vgpr8
                                        ; implicit-def: $vgpr3_vgpr4
.LBB298_23:
	s_andn2_saveexec_b64 s[0:1], s[0:1]
	s_cbranch_execz .LBB298_25
; %bb.24:
	v_lshlrev_b32_e32 v18, 1, v9
	v_ashrrev_i32_e32 v19, 31, v18
	v_lshlrev_b64 v[18:19], 4, v[18:19]
	s_waitcnt lgkmcnt(0)
	v_mov_b32_e32 v0, s3
	v_add_co_u32_e32 v26, vcc, s2, v18
	v_addc_co_u32_e32 v27, vcc, v0, v19, vcc
	global_load_dwordx4 v[18:21], v[26:27], off
	global_load_dwordx4 v[22:25], v[26:27], off offset:16
	v_mul_f64 v[28:29], v[16:17], -v[3:4]
	v_mul_f64 v[16:17], v[1:2], v[16:17]
	v_mul_f64 v[30:31], v[14:15], -v[3:4]
	v_mul_f64 v[14:15], v[1:2], v[14:15]
	v_fma_f64 v[28:29], v[1:2], v[10:11], v[28:29]
	v_fma_f64 v[9:10], v[3:4], v[10:11], v[16:17]
	v_fma_f64 v[0:1], v[1:2], v[12:13], v[30:31]
	v_fma_f64 v[2:3], v[3:4], v[12:13], v[14:15]
	s_waitcnt vmcnt(1)
	v_fma_f64 v[11:12], v[5:6], v[18:19], v[28:29]
	v_fma_f64 v[9:10], v[7:8], v[18:19], v[9:10]
	s_waitcnt vmcnt(0)
	v_fma_f64 v[13:14], v[5:6], v[22:23], v[0:1]
	v_fma_f64 v[15:16], v[7:8], v[22:23], v[2:3]
	v_fma_f64 v[0:1], -v[7:8], v[20:21], v[11:12]
	v_fma_f64 v[2:3], v[5:6], v[20:21], v[9:10]
	v_fma_f64 v[7:8], -v[7:8], v[24:25], v[13:14]
	v_fma_f64 v[9:10], v[5:6], v[24:25], v[15:16]
	global_store_dwordx4 v[26:27], v[0:3], off
	global_store_dwordx4 v[26:27], v[7:10], off offset:16
.LBB298_25:
	s_endpgm
	.section	.rodata,"a",@progbits
	.p2align	6, 0x0
	.amdhsa_kernel _ZN9rocsparseL19gebsrmvn_2xn_kernelILj128ELj16ELj4E21rocsparse_complex_numIdEEEvi20rocsparse_direction_NS_24const_host_device_scalarIT2_EEPKiS8_PKS5_SA_S6_PS5_21rocsparse_index_base_b
		.amdhsa_group_segment_fixed_size 0
		.amdhsa_private_segment_fixed_size 0
		.amdhsa_kernarg_size 88
		.amdhsa_user_sgpr_count 6
		.amdhsa_user_sgpr_private_segment_buffer 1
		.amdhsa_user_sgpr_dispatch_ptr 0
		.amdhsa_user_sgpr_queue_ptr 0
		.amdhsa_user_sgpr_kernarg_segment_ptr 1
		.amdhsa_user_sgpr_dispatch_id 0
		.amdhsa_user_sgpr_flat_scratch_init 0
		.amdhsa_user_sgpr_private_segment_size 0
		.amdhsa_uses_dynamic_stack 0
		.amdhsa_system_sgpr_private_segment_wavefront_offset 0
		.amdhsa_system_sgpr_workgroup_id_x 1
		.amdhsa_system_sgpr_workgroup_id_y 0
		.amdhsa_system_sgpr_workgroup_id_z 0
		.amdhsa_system_sgpr_workgroup_info 0
		.amdhsa_system_vgpr_workitem_id 0
		.amdhsa_next_free_vgpr 59
		.amdhsa_next_free_sgpr 20
		.amdhsa_reserve_vcc 1
		.amdhsa_reserve_flat_scratch 0
		.amdhsa_float_round_mode_32 0
		.amdhsa_float_round_mode_16_64 0
		.amdhsa_float_denorm_mode_32 3
		.amdhsa_float_denorm_mode_16_64 3
		.amdhsa_dx10_clamp 1
		.amdhsa_ieee_mode 1
		.amdhsa_fp16_overflow 0
		.amdhsa_exception_fp_ieee_invalid_op 0
		.amdhsa_exception_fp_denorm_src 0
		.amdhsa_exception_fp_ieee_div_zero 0
		.amdhsa_exception_fp_ieee_overflow 0
		.amdhsa_exception_fp_ieee_underflow 0
		.amdhsa_exception_fp_ieee_inexact 0
		.amdhsa_exception_int_div_zero 0
	.end_amdhsa_kernel
	.section	.text._ZN9rocsparseL19gebsrmvn_2xn_kernelILj128ELj16ELj4E21rocsparse_complex_numIdEEEvi20rocsparse_direction_NS_24const_host_device_scalarIT2_EEPKiS8_PKS5_SA_S6_PS5_21rocsparse_index_base_b,"axG",@progbits,_ZN9rocsparseL19gebsrmvn_2xn_kernelILj128ELj16ELj4E21rocsparse_complex_numIdEEEvi20rocsparse_direction_NS_24const_host_device_scalarIT2_EEPKiS8_PKS5_SA_S6_PS5_21rocsparse_index_base_b,comdat
.Lfunc_end298:
	.size	_ZN9rocsparseL19gebsrmvn_2xn_kernelILj128ELj16ELj4E21rocsparse_complex_numIdEEEvi20rocsparse_direction_NS_24const_host_device_scalarIT2_EEPKiS8_PKS5_SA_S6_PS5_21rocsparse_index_base_b, .Lfunc_end298-_ZN9rocsparseL19gebsrmvn_2xn_kernelILj128ELj16ELj4E21rocsparse_complex_numIdEEEvi20rocsparse_direction_NS_24const_host_device_scalarIT2_EEPKiS8_PKS5_SA_S6_PS5_21rocsparse_index_base_b
                                        ; -- End function
	.set _ZN9rocsparseL19gebsrmvn_2xn_kernelILj128ELj16ELj4E21rocsparse_complex_numIdEEEvi20rocsparse_direction_NS_24const_host_device_scalarIT2_EEPKiS8_PKS5_SA_S6_PS5_21rocsparse_index_base_b.num_vgpr, 59
	.set _ZN9rocsparseL19gebsrmvn_2xn_kernelILj128ELj16ELj4E21rocsparse_complex_numIdEEEvi20rocsparse_direction_NS_24const_host_device_scalarIT2_EEPKiS8_PKS5_SA_S6_PS5_21rocsparse_index_base_b.num_agpr, 0
	.set _ZN9rocsparseL19gebsrmvn_2xn_kernelILj128ELj16ELj4E21rocsparse_complex_numIdEEEvi20rocsparse_direction_NS_24const_host_device_scalarIT2_EEPKiS8_PKS5_SA_S6_PS5_21rocsparse_index_base_b.numbered_sgpr, 20
	.set _ZN9rocsparseL19gebsrmvn_2xn_kernelILj128ELj16ELj4E21rocsparse_complex_numIdEEEvi20rocsparse_direction_NS_24const_host_device_scalarIT2_EEPKiS8_PKS5_SA_S6_PS5_21rocsparse_index_base_b.num_named_barrier, 0
	.set _ZN9rocsparseL19gebsrmvn_2xn_kernelILj128ELj16ELj4E21rocsparse_complex_numIdEEEvi20rocsparse_direction_NS_24const_host_device_scalarIT2_EEPKiS8_PKS5_SA_S6_PS5_21rocsparse_index_base_b.private_seg_size, 0
	.set _ZN9rocsparseL19gebsrmvn_2xn_kernelILj128ELj16ELj4E21rocsparse_complex_numIdEEEvi20rocsparse_direction_NS_24const_host_device_scalarIT2_EEPKiS8_PKS5_SA_S6_PS5_21rocsparse_index_base_b.uses_vcc, 1
	.set _ZN9rocsparseL19gebsrmvn_2xn_kernelILj128ELj16ELj4E21rocsparse_complex_numIdEEEvi20rocsparse_direction_NS_24const_host_device_scalarIT2_EEPKiS8_PKS5_SA_S6_PS5_21rocsparse_index_base_b.uses_flat_scratch, 0
	.set _ZN9rocsparseL19gebsrmvn_2xn_kernelILj128ELj16ELj4E21rocsparse_complex_numIdEEEvi20rocsparse_direction_NS_24const_host_device_scalarIT2_EEPKiS8_PKS5_SA_S6_PS5_21rocsparse_index_base_b.has_dyn_sized_stack, 0
	.set _ZN9rocsparseL19gebsrmvn_2xn_kernelILj128ELj16ELj4E21rocsparse_complex_numIdEEEvi20rocsparse_direction_NS_24const_host_device_scalarIT2_EEPKiS8_PKS5_SA_S6_PS5_21rocsparse_index_base_b.has_recursion, 0
	.set _ZN9rocsparseL19gebsrmvn_2xn_kernelILj128ELj16ELj4E21rocsparse_complex_numIdEEEvi20rocsparse_direction_NS_24const_host_device_scalarIT2_EEPKiS8_PKS5_SA_S6_PS5_21rocsparse_index_base_b.has_indirect_call, 0
	.section	.AMDGPU.csdata,"",@progbits
; Kernel info:
; codeLenInByte = 2224
; TotalNumSgprs: 24
; NumVgprs: 59
; ScratchSize: 0
; MemoryBound: 1
; FloatMode: 240
; IeeeMode: 1
; LDSByteSize: 0 bytes/workgroup (compile time only)
; SGPRBlocks: 2
; VGPRBlocks: 14
; NumSGPRsForWavesPerEU: 24
; NumVGPRsForWavesPerEU: 59
; Occupancy: 4
; WaveLimiterHint : 1
; COMPUTE_PGM_RSRC2:SCRATCH_EN: 0
; COMPUTE_PGM_RSRC2:USER_SGPR: 6
; COMPUTE_PGM_RSRC2:TRAP_HANDLER: 0
; COMPUTE_PGM_RSRC2:TGID_X_EN: 1
; COMPUTE_PGM_RSRC2:TGID_Y_EN: 0
; COMPUTE_PGM_RSRC2:TGID_Z_EN: 0
; COMPUTE_PGM_RSRC2:TIDIG_COMP_CNT: 0
	.section	.text._ZN9rocsparseL19gebsrmvn_2xn_kernelILj128ELj16ELj8E21rocsparse_complex_numIdEEEvi20rocsparse_direction_NS_24const_host_device_scalarIT2_EEPKiS8_PKS5_SA_S6_PS5_21rocsparse_index_base_b,"axG",@progbits,_ZN9rocsparseL19gebsrmvn_2xn_kernelILj128ELj16ELj8E21rocsparse_complex_numIdEEEvi20rocsparse_direction_NS_24const_host_device_scalarIT2_EEPKiS8_PKS5_SA_S6_PS5_21rocsparse_index_base_b,comdat
	.globl	_ZN9rocsparseL19gebsrmvn_2xn_kernelILj128ELj16ELj8E21rocsparse_complex_numIdEEEvi20rocsparse_direction_NS_24const_host_device_scalarIT2_EEPKiS8_PKS5_SA_S6_PS5_21rocsparse_index_base_b ; -- Begin function _ZN9rocsparseL19gebsrmvn_2xn_kernelILj128ELj16ELj8E21rocsparse_complex_numIdEEEvi20rocsparse_direction_NS_24const_host_device_scalarIT2_EEPKiS8_PKS5_SA_S6_PS5_21rocsparse_index_base_b
	.p2align	8
	.type	_ZN9rocsparseL19gebsrmvn_2xn_kernelILj128ELj16ELj8E21rocsparse_complex_numIdEEEvi20rocsparse_direction_NS_24const_host_device_scalarIT2_EEPKiS8_PKS5_SA_S6_PS5_21rocsparse_index_base_b,@function
_ZN9rocsparseL19gebsrmvn_2xn_kernelILj128ELj16ELj8E21rocsparse_complex_numIdEEEvi20rocsparse_direction_NS_24const_host_device_scalarIT2_EEPKiS8_PKS5_SA_S6_PS5_21rocsparse_index_base_b: ; @_ZN9rocsparseL19gebsrmvn_2xn_kernelILj128ELj16ELj8E21rocsparse_complex_numIdEEEvi20rocsparse_direction_NS_24const_host_device_scalarIT2_EEPKiS8_PKS5_SA_S6_PS5_21rocsparse_index_base_b
; %bb.0:
	s_load_dwordx2 s[0:1], s[4:5], 0x8
	s_load_dwordx2 s[2:3], s[4:5], 0x38
	;; [unrolled: 1-line block ×3, first 2 shown]
	s_add_u32 s7, s4, 8
	s_addc_u32 s8, s5, 0
	s_add_u32 s9, s4, 56
	s_addc_u32 s10, s5, 0
	s_waitcnt lgkmcnt(0)
	s_bitcmp1_b32 s17, 0
	s_cselect_b32 s1, s8, s1
	s_cselect_b32 s0, s7, s0
	v_mov_b32_e32 v1, s0
	v_mov_b32_e32 v2, s1
	flat_load_dwordx4 v[1:4], v[1:2]
	s_cselect_b32 s0, s10, s3
	s_cselect_b32 s1, s9, s2
	v_mov_b32_e32 v5, s1
	v_mov_b32_e32 v6, s0
	flat_load_dwordx4 v[5:8], v[5:6]
	s_waitcnt vmcnt(0) lgkmcnt(0)
	v_cmp_eq_f64_e32 vcc, 0, v[1:2]
	v_cmp_eq_f64_e64 s[0:1], 0, v[3:4]
	s_and_b64 s[8:9], vcc, s[0:1]
	s_mov_b64 s[0:1], -1
	s_and_saveexec_b64 s[2:3], s[8:9]
	s_cbranch_execz .LBB299_2
; %bb.1:
	v_cmp_neq_f64_e32 vcc, 1.0, v[5:6]
	v_cmp_neq_f64_e64 s[0:1], 0, v[7:8]
	s_or_b64 s[0:1], vcc, s[0:1]
	s_orn2_b64 s[0:1], s[0:1], exec
.LBB299_2:
	s_or_b64 exec, exec, s[2:3]
	s_and_saveexec_b64 s[2:3], s[0:1]
	s_cbranch_execz .LBB299_25
; %bb.3:
	s_load_dwordx2 s[0:1], s[4:5], 0x0
	v_lshrrev_b32_e32 v9, 3, v0
	v_lshl_or_b32 v9, s6, 4, v9
	s_waitcnt lgkmcnt(0)
	v_cmp_gt_i32_e32 vcc, s0, v9
	s_and_b64 exec, exec, vcc
	s_cbranch_execz .LBB299_25
; %bb.4:
	s_load_dwordx8 s[8:15], s[4:5], 0x18
	v_ashrrev_i32_e32 v10, 31, v9
	v_lshlrev_b64 v[10:11], 2, v[9:10]
	v_and_b32_e32 v0, 7, v0
	s_cmp_lg_u32 s1, 0
	s_waitcnt lgkmcnt(0)
	v_mov_b32_e32 v12, s9
	v_add_co_u32_e32 v10, vcc, s8, v10
	v_addc_co_u32_e32 v11, vcc, v12, v11, vcc
	global_load_dwordx2 v[10:11], v[10:11], off
	s_waitcnt vmcnt(0)
	v_subrev_u32_e32 v10, s16, v10
	v_subrev_u32_e32 v28, s16, v11
	v_add_u32_e32 v10, v10, v0
	v_cmp_lt_i32_e64 s[0:1], v10, v28
	s_cbranch_scc0 .LBB299_12
; %bb.5:
	v_mov_b32_e32 v14, 0
	v_mov_b32_e32 v18, 0
	;; [unrolled: 1-line block ×8, first 2 shown]
	s_and_saveexec_b64 s[6:7], s[0:1]
	s_cbranch_execz .LBB299_11
; %bb.6:
	s_add_u32 s17, s12, 16
	v_lshlrev_b32_e32 v20, 5, v10
	s_addc_u32 s2, s13, 0
	v_mov_b32_e32 v14, 0
	v_mov_b32_e32 v18, 0
	;; [unrolled: 1-line block ×4, first 2 shown]
	v_or_b32_e32 v11, 6, v20
	v_mov_b32_e32 v15, 0
	s_mov_b64 s[8:9], 0
	v_mov_b32_e32 v22, 0
	v_mov_b32_e32 v29, s2
	;; [unrolled: 1-line block ×8, first 2 shown]
.LBB299_7:                              ; =>This Loop Header: Depth=1
                                        ;     Child Loop BB299_8 Depth 2
	v_ashrrev_i32_e32 v24, 31, v23
	v_lshlrev_b64 v[24:25], 2, v[23:24]
	v_mov_b32_e32 v21, v22
	v_add_co_u32_e32 v24, vcc, s10, v24
	v_addc_co_u32_e32 v25, vcc, v30, v25, vcc
	global_load_dword v25, v[24:25], off
	v_lshlrev_b64 v[26:27], 4, v[20:21]
	v_mov_b32_e32 v24, v11
	v_add_co_u32_e32 v26, vcc, s17, v26
	v_addc_co_u32_e32 v27, vcc, v29, v27, vcc
	s_mov_b64 s[18:19], 0
	s_waitcnt vmcnt(0)
	v_subrev_u32_e32 v21, s16, v25
	v_lshlrev_b32_e32 v21, 4, v21
	v_lshlrev_b64 v[32:33], 4, v[21:22]
	v_add_co_u32_e32 v32, vcc, s14, v32
	v_addc_co_u32_e32 v33, vcc, v31, v33, vcc
.LBB299_8:                              ;   Parent Loop BB299_7 Depth=1
                                        ; =>  This Inner Loop Header: Depth=2
	v_mov_b32_e32 v42, s19
	v_add_co_u32_e32 v46, vcc, s18, v32
	v_addc_co_u32_e32 v47, vcc, v33, v42, vcc
	global_load_dwordx4 v[34:37], v[26:27], off
	global_load_dwordx4 v[38:41], v[26:27], off offset:-16
	global_load_dwordx4 v[42:45], v[46:47], off
	v_add_u32_e32 v21, -4, v24
	v_lshlrev_b64 v[48:49], 4, v[21:22]
	v_mov_b32_e32 v58, s13
	v_add_u32_e32 v21, -2, v24
	v_mov_b32_e32 v25, v22
	v_lshlrev_b64 v[50:51], 4, v[24:25]
	s_add_u32 s18, s18, 64
	s_addc_u32 s19, s19, 0
	v_add_u32_e32 v24, 8, v24
	s_cmpk_eq_i32 s18, 0x100
	s_waitcnt vmcnt(0)
	v_fma_f64 v[14:15], v[40:41], v[42:43], v[14:15]
	v_fma_f64 v[18:19], v[38:39], v[42:43], v[18:19]
	;; [unrolled: 1-line block ×5, first 2 shown]
	v_fma_f64 v[52:53], -v[40:41], v[44:45], v[18:19]
	global_load_dwordx4 v[38:41], v[46:47], off offset:16
	v_fma_f64 v[42:43], -v[36:37], v[44:45], v[14:15]
	v_fma_f64 v[44:45], v[34:35], v[44:45], v[12:13]
	global_load_dwordx4 v[34:37], v[46:47], off offset:48
	global_load_dwordx4 v[12:15], v[46:47], off offset:32
	v_add_co_u32_e32 v46, vcc, s12, v48
	v_addc_co_u32_e32 v47, vcc, v58, v49, vcc
	global_load_dwordx4 v[16:19], v[46:47], off
	v_add_co_u32_e32 v50, vcc, s12, v50
	v_addc_co_u32_e32 v51, vcc, v58, v51, vcc
	v_add_co_u32_e32 v26, vcc, 0x80, v26
	v_addc_co_u32_e32 v27, vcc, 0, v27, vcc
	s_waitcnt vmcnt(0)
	v_fma_f64 v[48:49], v[16:17], v[38:39], v[52:53]
	v_fma_f64 v[52:53], v[18:19], v[38:39], v[54:55]
	v_lshlrev_b64 v[54:55], 4, v[21:22]
	v_fma_f64 v[48:49], -v[18:19], v[40:41], v[48:49]
	v_fma_f64 v[52:53], v[16:17], v[40:41], v[52:53]
	global_load_dwordx4 v[16:19], v[46:47], off offset:16
	s_waitcnt vmcnt(0)
	v_fma_f64 v[42:43], v[16:17], v[38:39], v[42:43]
	v_fma_f64 v[38:39], v[18:19], v[38:39], v[44:45]
	v_fma_f64 v[46:47], -v[18:19], v[40:41], v[42:43]
	v_add_co_u32_e64 v42, s[2:3], s12, v54
	v_addc_co_u32_e64 v43, s[2:3], v58, v55, s[2:3]
	v_fma_f64 v[56:57], v[16:17], v[40:41], v[38:39]
	global_load_dwordx4 v[16:19], v[42:43], off
	global_load_dwordx4 v[38:41], v[42:43], off offset:16
	s_waitcnt vmcnt(1)
	v_fma_f64 v[42:43], v[16:17], v[12:13], v[48:49]
	v_fma_f64 v[44:45], v[18:19], v[12:13], v[52:53]
	s_waitcnt vmcnt(0)
	v_fma_f64 v[46:47], v[38:39], v[12:13], v[46:47]
	v_fma_f64 v[12:13], v[40:41], v[12:13], v[56:57]
	v_fma_f64 v[48:49], -v[18:19], v[14:15], v[42:43]
	v_fma_f64 v[52:53], v[16:17], v[14:15], v[44:45]
	global_load_dwordx4 v[16:19], v[50:51], off
	global_load_dwordx4 v[42:45], v[50:51], off offset:16
	v_fma_f64 v[40:41], -v[40:41], v[14:15], v[46:47]
	v_fma_f64 v[12:13], v[38:39], v[14:15], v[12:13]
	s_waitcnt vmcnt(1)
	v_fma_f64 v[14:15], v[16:17], v[34:35], v[48:49]
	v_fma_f64 v[38:39], v[18:19], v[34:35], v[52:53]
	s_waitcnt vmcnt(0)
	v_fma_f64 v[40:41], v[42:43], v[34:35], v[40:41]
	v_fma_f64 v[12:13], v[44:45], v[34:35], v[12:13]
	v_fma_f64 v[18:19], -v[18:19], v[36:37], v[14:15]
	v_fma_f64 v[14:15], v[16:17], v[36:37], v[38:39]
	v_fma_f64 v[16:17], -v[44:45], v[36:37], v[40:41]
	v_fma_f64 v[12:13], v[42:43], v[36:37], v[12:13]
	s_cbranch_scc0 .LBB299_8
; %bb.9:                                ;   in Loop: Header=BB299_7 Depth=1
	v_add_u32_e32 v23, 8, v23
	v_cmp_ge_i32_e32 vcc, v23, v28
	v_add_u32_e32 v11, 0x100, v11
	s_or_b64 s[8:9], vcc, s[8:9]
	v_add_u32_e32 v20, 0x100, v20
	s_andn2_b64 exec, exec, s[8:9]
	s_cbranch_execnz .LBB299_7
; %bb.10:
	s_or_b64 exec, exec, s[8:9]
.LBB299_11:
	s_or_b64 exec, exec, s[6:7]
	s_cbranch_execz .LBB299_13
	s_branch .LBB299_20
.LBB299_12:
                                        ; implicit-def: $vgpr14_vgpr15
                                        ; implicit-def: $vgpr18_vgpr19
                                        ; implicit-def: $vgpr16_vgpr17
                                        ; implicit-def: $vgpr12_vgpr13
.LBB299_13:
	v_mov_b32_e32 v14, 0
	v_mov_b32_e32 v18, 0
	;; [unrolled: 1-line block ×8, first 2 shown]
	s_and_saveexec_b64 s[2:3], s[0:1]
	s_cbranch_execz .LBB299_19
; %bb.14:
	v_mov_b32_e32 v14, 0
	v_mov_b32_e32 v18, 0
	;; [unrolled: 1-line block ×4, first 2 shown]
	v_lshlrev_b32_e32 v20, 5, v10
	v_mov_b32_e32 v15, 0
	s_mov_b64 s[6:7], 0
	v_mov_b32_e32 v21, 0
	v_mov_b32_e32 v22, s13
	;; [unrolled: 1-line block ×7, first 2 shown]
.LBB299_15:                             ; =>This Loop Header: Depth=1
                                        ;     Child Loop BB299_16 Depth 2
	v_ashrrev_i32_e32 v11, 31, v10
	v_lshlrev_b64 v[25:26], 2, v[10:11]
	v_mov_b32_e32 v27, v21
	v_add_co_u32_e32 v25, vcc, s10, v25
	v_addc_co_u32_e32 v26, vcc, v23, v26, vcc
	global_load_dword v29, v[25:26], off
	v_lshlrev_b64 v[25:26], 4, v[20:21]
	s_mov_b64 s[8:9], 0
	v_add_co_u32_e32 v11, vcc, s12, v25
	v_addc_co_u32_e32 v25, vcc, v22, v26, vcc
	s_waitcnt vmcnt(0)
	v_subrev_u32_e32 v26, s16, v29
	v_lshlrev_b32_e32 v26, 4, v26
	v_lshlrev_b64 v[26:27], 4, v[26:27]
	v_add_co_u32_e32 v26, vcc, s14, v26
	v_addc_co_u32_e32 v27, vcc, v24, v27, vcc
.LBB299_16:                             ;   Parent Loop BB299_15 Depth=1
                                        ; =>  This Inner Loop Header: Depth=2
	v_mov_b32_e32 v29, s9
	v_add_co_u32_e64 v43, s[0:1], s8, v11
	v_add_co_u32_e32 v41, vcc, s8, v26
	v_addc_co_u32_e64 v44, s[0:1], v25, v29, s[0:1]
	v_addc_co_u32_e32 v42, vcc, v27, v29, vcc
	global_load_dwordx4 v[29:32], v[43:44], off
	global_load_dwordx4 v[33:36], v[41:42], off
	global_load_dwordx4 v[37:40], v[43:44], off offset:256
	s_add_u32 s8, s8, 64
	s_addc_u32 s9, s9, 0
	s_cmpk_eq_i32 s8, 0x100
	s_waitcnt vmcnt(1)
	v_fma_f64 v[14:15], v[31:32], v[33:34], v[14:15]
	v_fma_f64 v[18:19], v[29:30], v[33:34], v[18:19]
	s_waitcnt vmcnt(0)
	v_fma_f64 v[12:13], v[39:40], v[33:34], v[12:13]
	v_fma_f64 v[47:48], v[29:30], v[35:36], v[14:15]
	;; [unrolled: 1-line block ×3, first 2 shown]
	v_fma_f64 v[45:46], -v[31:32], v[35:36], v[18:19]
	global_load_dwordx4 v[29:32], v[43:44], off offset:16
	v_fma_f64 v[33:34], -v[39:40], v[35:36], v[14:15]
	v_fma_f64 v[35:36], v[37:38], v[35:36], v[12:13]
	global_load_dwordx4 v[12:15], v[41:42], off offset:16
	global_load_dwordx4 v[16:19], v[43:44], off offset:272
	s_waitcnt vmcnt(1)
	v_fma_f64 v[37:38], v[29:30], v[12:13], v[45:46]
	v_fma_f64 v[39:40], v[31:32], v[12:13], v[47:48]
	s_waitcnt vmcnt(0)
	v_fma_f64 v[33:34], v[16:17], v[12:13], v[33:34]
	v_fma_f64 v[12:13], v[18:19], v[12:13], v[35:36]
	v_fma_f64 v[37:38], -v[31:32], v[14:15], v[37:38]
	v_fma_f64 v[39:40], v[29:30], v[14:15], v[39:40]
	global_load_dwordx4 v[29:32], v[43:44], off offset:32
	v_fma_f64 v[33:34], -v[18:19], v[14:15], v[33:34]
	v_fma_f64 v[35:36], v[16:17], v[14:15], v[12:13]
	global_load_dwordx4 v[12:15], v[41:42], off offset:32
	global_load_dwordx4 v[16:19], v[43:44], off offset:288
	s_waitcnt vmcnt(1)
	v_fma_f64 v[37:38], v[29:30], v[12:13], v[37:38]
	v_fma_f64 v[39:40], v[31:32], v[12:13], v[39:40]
	s_waitcnt vmcnt(0)
	v_fma_f64 v[33:34], v[16:17], v[12:13], v[33:34]
	v_fma_f64 v[12:13], v[18:19], v[12:13], v[35:36]
	v_fma_f64 v[45:46], -v[31:32], v[14:15], v[37:38]
	v_fma_f64 v[47:48], v[29:30], v[14:15], v[39:40]
	global_load_dwordx4 v[29:32], v[43:44], off offset:48
	v_fma_f64 v[18:19], -v[18:19], v[14:15], v[33:34]
	global_load_dwordx4 v[33:36], v[41:42], off offset:48
	global_load_dwordx4 v[37:40], v[43:44], off offset:304
	v_fma_f64 v[12:13], v[16:17], v[14:15], v[12:13]
	s_waitcnt vmcnt(1)
	v_fma_f64 v[14:15], v[29:30], v[33:34], v[45:46]
	v_fma_f64 v[16:17], v[31:32], v[33:34], v[47:48]
	s_waitcnt vmcnt(0)
	v_fma_f64 v[41:42], v[37:38], v[33:34], v[18:19]
	v_fma_f64 v[12:13], v[39:40], v[33:34], v[12:13]
	v_fma_f64 v[18:19], -v[31:32], v[35:36], v[14:15]
	v_fma_f64 v[14:15], v[29:30], v[35:36], v[16:17]
	v_fma_f64 v[16:17], -v[39:40], v[35:36], v[41:42]
	v_fma_f64 v[12:13], v[37:38], v[35:36], v[12:13]
	s_cbranch_scc0 .LBB299_16
; %bb.17:                               ;   in Loop: Header=BB299_15 Depth=1
	v_add_u32_e32 v10, 8, v10
	v_cmp_ge_i32_e32 vcc, v10, v28
	s_or_b64 s[6:7], vcc, s[6:7]
	v_add_u32_e32 v20, 0x100, v20
	s_andn2_b64 exec, exec, s[6:7]
	s_cbranch_execnz .LBB299_15
; %bb.18:
	s_or_b64 exec, exec, s[6:7]
.LBB299_19:
	s_or_b64 exec, exec, s[2:3]
.LBB299_20:
	v_mov_b32_dpp v10, v18 row_shr:1 row_mask:0xf bank_mask:0xf
	v_mov_b32_dpp v11, v19 row_shr:1 row_mask:0xf bank_mask:0xf
	v_add_f64 v[10:11], v[18:19], v[10:11]
	v_mov_b32_dpp v18, v14 row_shr:1 row_mask:0xf bank_mask:0xf
	v_mov_b32_dpp v19, v15 row_shr:1 row_mask:0xf bank_mask:0xf
	;; [unrolled: 1-line block ×4, first 2 shown]
	v_add_f64 v[14:15], v[14:15], v[18:19]
	v_add_f64 v[16:17], v[16:17], v[20:21]
	v_mov_b32_dpp v20, v12 row_shr:1 row_mask:0xf bank_mask:0xf
	v_mov_b32_dpp v21, v13 row_shr:1 row_mask:0xf bank_mask:0xf
	v_add_f64 v[20:21], v[12:13], v[20:21]
	v_mov_b32_dpp v18, v10 row_shr:2 row_mask:0xf bank_mask:0xf
	v_mov_b32_dpp v19, v11 row_shr:2 row_mask:0xf bank_mask:0xf
	;; [unrolled: 3-line block ×6, first 2 shown]
	v_mov_b32_dpp v16, v12 row_shr:4 row_mask:0xf bank_mask:0xe
	v_mov_b32_dpp v17, v13 row_shr:4 row_mask:0xf bank_mask:0xe
	;; [unrolled: 1-line block ×4, first 2 shown]
	v_cmp_eq_u32_e32 vcc, 7, v0
	v_mov_b32_dpp v20, v14 row_shr:4 row_mask:0xf bank_mask:0xe
	v_mov_b32_dpp v21, v15 row_shr:4 row_mask:0xf bank_mask:0xe
	s_and_b64 exec, exec, vcc
	s_cbranch_execz .LBB299_25
; %bb.21:
	v_cmp_eq_f64_e32 vcc, 0, v[5:6]
	v_cmp_eq_f64_e64 s[0:1], 0, v[7:8]
	v_add_f64 v[10:11], v[10:11], v[24:25]
	v_add_f64 v[16:17], v[12:13], v[16:17]
	;; [unrolled: 1-line block ×4, first 2 shown]
	s_load_dwordx2 s[2:3], s[4:5], 0x48
	s_and_b64 s[0:1], vcc, s[0:1]
	s_and_saveexec_b64 s[4:5], s[0:1]
	s_xor_b64 s[0:1], exec, s[4:5]
	s_cbranch_execz .LBB299_23
; %bb.22:
	v_mul_f64 v[5:6], v[16:17], -v[3:4]
	v_mul_f64 v[7:8], v[1:2], v[16:17]
	v_mul_f64 v[16:17], v[14:15], -v[3:4]
	v_mul_f64 v[14:15], v[1:2], v[14:15]
	v_lshlrev_b32_e32 v9, 1, v9
	s_waitcnt lgkmcnt(0)
	v_mov_b32_e32 v18, s3
	v_fma_f64 v[5:6], v[1:2], v[10:11], v[5:6]
	v_fma_f64 v[7:8], v[3:4], v[10:11], v[7:8]
	;; [unrolled: 1-line block ×4, first 2 shown]
	v_ashrrev_i32_e32 v10, 31, v9
	v_lshlrev_b64 v[9:10], 4, v[9:10]
                                        ; implicit-def: $vgpr16_vgpr17
                                        ; implicit-def: $vgpr12_vgpr13
                                        ; implicit-def: $vgpr14_vgpr15
	v_add_co_u32_e32 v9, vcc, s2, v9
	v_addc_co_u32_e32 v10, vcc, v18, v10, vcc
	global_store_dwordx4 v[9:10], v[5:8], off
	global_store_dwordx4 v[9:10], v[0:3], off offset:16
                                        ; implicit-def: $vgpr9
                                        ; implicit-def: $vgpr10_vgpr11
                                        ; implicit-def: $vgpr7_vgpr8
                                        ; implicit-def: $vgpr3_vgpr4
.LBB299_23:
	s_andn2_saveexec_b64 s[0:1], s[0:1]
	s_cbranch_execz .LBB299_25
; %bb.24:
	v_lshlrev_b32_e32 v18, 1, v9
	v_ashrrev_i32_e32 v19, 31, v18
	v_lshlrev_b64 v[18:19], 4, v[18:19]
	s_waitcnt lgkmcnt(0)
	v_mov_b32_e32 v0, s3
	v_add_co_u32_e32 v26, vcc, s2, v18
	v_addc_co_u32_e32 v27, vcc, v0, v19, vcc
	global_load_dwordx4 v[18:21], v[26:27], off
	global_load_dwordx4 v[22:25], v[26:27], off offset:16
	v_mul_f64 v[28:29], v[16:17], -v[3:4]
	v_mul_f64 v[16:17], v[1:2], v[16:17]
	v_mul_f64 v[30:31], v[14:15], -v[3:4]
	v_mul_f64 v[14:15], v[1:2], v[14:15]
	v_fma_f64 v[28:29], v[1:2], v[10:11], v[28:29]
	v_fma_f64 v[9:10], v[3:4], v[10:11], v[16:17]
	;; [unrolled: 1-line block ×4, first 2 shown]
	s_waitcnt vmcnt(1)
	v_fma_f64 v[11:12], v[5:6], v[18:19], v[28:29]
	v_fma_f64 v[9:10], v[7:8], v[18:19], v[9:10]
	s_waitcnt vmcnt(0)
	v_fma_f64 v[13:14], v[5:6], v[22:23], v[0:1]
	v_fma_f64 v[15:16], v[7:8], v[22:23], v[2:3]
	v_fma_f64 v[0:1], -v[7:8], v[20:21], v[11:12]
	v_fma_f64 v[2:3], v[5:6], v[20:21], v[9:10]
	v_fma_f64 v[7:8], -v[7:8], v[24:25], v[13:14]
	v_fma_f64 v[9:10], v[5:6], v[24:25], v[15:16]
	global_store_dwordx4 v[26:27], v[0:3], off
	global_store_dwordx4 v[26:27], v[7:10], off offset:16
.LBB299_25:
	s_endpgm
	.section	.rodata,"a",@progbits
	.p2align	6, 0x0
	.amdhsa_kernel _ZN9rocsparseL19gebsrmvn_2xn_kernelILj128ELj16ELj8E21rocsparse_complex_numIdEEEvi20rocsparse_direction_NS_24const_host_device_scalarIT2_EEPKiS8_PKS5_SA_S6_PS5_21rocsparse_index_base_b
		.amdhsa_group_segment_fixed_size 0
		.amdhsa_private_segment_fixed_size 0
		.amdhsa_kernarg_size 88
		.amdhsa_user_sgpr_count 6
		.amdhsa_user_sgpr_private_segment_buffer 1
		.amdhsa_user_sgpr_dispatch_ptr 0
		.amdhsa_user_sgpr_queue_ptr 0
		.amdhsa_user_sgpr_kernarg_segment_ptr 1
		.amdhsa_user_sgpr_dispatch_id 0
		.amdhsa_user_sgpr_flat_scratch_init 0
		.amdhsa_user_sgpr_private_segment_size 0
		.amdhsa_uses_dynamic_stack 0
		.amdhsa_system_sgpr_private_segment_wavefront_offset 0
		.amdhsa_system_sgpr_workgroup_id_x 1
		.amdhsa_system_sgpr_workgroup_id_y 0
		.amdhsa_system_sgpr_workgroup_id_z 0
		.amdhsa_system_sgpr_workgroup_info 0
		.amdhsa_system_vgpr_workitem_id 0
		.amdhsa_next_free_vgpr 59
		.amdhsa_next_free_sgpr 20
		.amdhsa_reserve_vcc 1
		.amdhsa_reserve_flat_scratch 0
		.amdhsa_float_round_mode_32 0
		.amdhsa_float_round_mode_16_64 0
		.amdhsa_float_denorm_mode_32 3
		.amdhsa_float_denorm_mode_16_64 3
		.amdhsa_dx10_clamp 1
		.amdhsa_ieee_mode 1
		.amdhsa_fp16_overflow 0
		.amdhsa_exception_fp_ieee_invalid_op 0
		.amdhsa_exception_fp_denorm_src 0
		.amdhsa_exception_fp_ieee_div_zero 0
		.amdhsa_exception_fp_ieee_overflow 0
		.amdhsa_exception_fp_ieee_underflow 0
		.amdhsa_exception_fp_ieee_inexact 0
		.amdhsa_exception_int_div_zero 0
	.end_amdhsa_kernel
	.section	.text._ZN9rocsparseL19gebsrmvn_2xn_kernelILj128ELj16ELj8E21rocsparse_complex_numIdEEEvi20rocsparse_direction_NS_24const_host_device_scalarIT2_EEPKiS8_PKS5_SA_S6_PS5_21rocsparse_index_base_b,"axG",@progbits,_ZN9rocsparseL19gebsrmvn_2xn_kernelILj128ELj16ELj8E21rocsparse_complex_numIdEEEvi20rocsparse_direction_NS_24const_host_device_scalarIT2_EEPKiS8_PKS5_SA_S6_PS5_21rocsparse_index_base_b,comdat
.Lfunc_end299:
	.size	_ZN9rocsparseL19gebsrmvn_2xn_kernelILj128ELj16ELj8E21rocsparse_complex_numIdEEEvi20rocsparse_direction_NS_24const_host_device_scalarIT2_EEPKiS8_PKS5_SA_S6_PS5_21rocsparse_index_base_b, .Lfunc_end299-_ZN9rocsparseL19gebsrmvn_2xn_kernelILj128ELj16ELj8E21rocsparse_complex_numIdEEEvi20rocsparse_direction_NS_24const_host_device_scalarIT2_EEPKiS8_PKS5_SA_S6_PS5_21rocsparse_index_base_b
                                        ; -- End function
	.set _ZN9rocsparseL19gebsrmvn_2xn_kernelILj128ELj16ELj8E21rocsparse_complex_numIdEEEvi20rocsparse_direction_NS_24const_host_device_scalarIT2_EEPKiS8_PKS5_SA_S6_PS5_21rocsparse_index_base_b.num_vgpr, 59
	.set _ZN9rocsparseL19gebsrmvn_2xn_kernelILj128ELj16ELj8E21rocsparse_complex_numIdEEEvi20rocsparse_direction_NS_24const_host_device_scalarIT2_EEPKiS8_PKS5_SA_S6_PS5_21rocsparse_index_base_b.num_agpr, 0
	.set _ZN9rocsparseL19gebsrmvn_2xn_kernelILj128ELj16ELj8E21rocsparse_complex_numIdEEEvi20rocsparse_direction_NS_24const_host_device_scalarIT2_EEPKiS8_PKS5_SA_S6_PS5_21rocsparse_index_base_b.numbered_sgpr, 20
	.set _ZN9rocsparseL19gebsrmvn_2xn_kernelILj128ELj16ELj8E21rocsparse_complex_numIdEEEvi20rocsparse_direction_NS_24const_host_device_scalarIT2_EEPKiS8_PKS5_SA_S6_PS5_21rocsparse_index_base_b.num_named_barrier, 0
	.set _ZN9rocsparseL19gebsrmvn_2xn_kernelILj128ELj16ELj8E21rocsparse_complex_numIdEEEvi20rocsparse_direction_NS_24const_host_device_scalarIT2_EEPKiS8_PKS5_SA_S6_PS5_21rocsparse_index_base_b.private_seg_size, 0
	.set _ZN9rocsparseL19gebsrmvn_2xn_kernelILj128ELj16ELj8E21rocsparse_complex_numIdEEEvi20rocsparse_direction_NS_24const_host_device_scalarIT2_EEPKiS8_PKS5_SA_S6_PS5_21rocsparse_index_base_b.uses_vcc, 1
	.set _ZN9rocsparseL19gebsrmvn_2xn_kernelILj128ELj16ELj8E21rocsparse_complex_numIdEEEvi20rocsparse_direction_NS_24const_host_device_scalarIT2_EEPKiS8_PKS5_SA_S6_PS5_21rocsparse_index_base_b.uses_flat_scratch, 0
	.set _ZN9rocsparseL19gebsrmvn_2xn_kernelILj128ELj16ELj8E21rocsparse_complex_numIdEEEvi20rocsparse_direction_NS_24const_host_device_scalarIT2_EEPKiS8_PKS5_SA_S6_PS5_21rocsparse_index_base_b.has_dyn_sized_stack, 0
	.set _ZN9rocsparseL19gebsrmvn_2xn_kernelILj128ELj16ELj8E21rocsparse_complex_numIdEEEvi20rocsparse_direction_NS_24const_host_device_scalarIT2_EEPKiS8_PKS5_SA_S6_PS5_21rocsparse_index_base_b.has_recursion, 0
	.set _ZN9rocsparseL19gebsrmvn_2xn_kernelILj128ELj16ELj8E21rocsparse_complex_numIdEEEvi20rocsparse_direction_NS_24const_host_device_scalarIT2_EEPKiS8_PKS5_SA_S6_PS5_21rocsparse_index_base_b.has_indirect_call, 0
	.section	.AMDGPU.csdata,"",@progbits
; Kernel info:
; codeLenInByte = 2320
; TotalNumSgprs: 24
; NumVgprs: 59
; ScratchSize: 0
; MemoryBound: 1
; FloatMode: 240
; IeeeMode: 1
; LDSByteSize: 0 bytes/workgroup (compile time only)
; SGPRBlocks: 2
; VGPRBlocks: 14
; NumSGPRsForWavesPerEU: 24
; NumVGPRsForWavesPerEU: 59
; Occupancy: 4
; WaveLimiterHint : 1
; COMPUTE_PGM_RSRC2:SCRATCH_EN: 0
; COMPUTE_PGM_RSRC2:USER_SGPR: 6
; COMPUTE_PGM_RSRC2:TRAP_HANDLER: 0
; COMPUTE_PGM_RSRC2:TGID_X_EN: 1
; COMPUTE_PGM_RSRC2:TGID_Y_EN: 0
; COMPUTE_PGM_RSRC2:TGID_Z_EN: 0
; COMPUTE_PGM_RSRC2:TIDIG_COMP_CNT: 0
	.section	.text._ZN9rocsparseL19gebsrmvn_2xn_kernelILj128ELj16ELj16E21rocsparse_complex_numIdEEEvi20rocsparse_direction_NS_24const_host_device_scalarIT2_EEPKiS8_PKS5_SA_S6_PS5_21rocsparse_index_base_b,"axG",@progbits,_ZN9rocsparseL19gebsrmvn_2xn_kernelILj128ELj16ELj16E21rocsparse_complex_numIdEEEvi20rocsparse_direction_NS_24const_host_device_scalarIT2_EEPKiS8_PKS5_SA_S6_PS5_21rocsparse_index_base_b,comdat
	.globl	_ZN9rocsparseL19gebsrmvn_2xn_kernelILj128ELj16ELj16E21rocsparse_complex_numIdEEEvi20rocsparse_direction_NS_24const_host_device_scalarIT2_EEPKiS8_PKS5_SA_S6_PS5_21rocsparse_index_base_b ; -- Begin function _ZN9rocsparseL19gebsrmvn_2xn_kernelILj128ELj16ELj16E21rocsparse_complex_numIdEEEvi20rocsparse_direction_NS_24const_host_device_scalarIT2_EEPKiS8_PKS5_SA_S6_PS5_21rocsparse_index_base_b
	.p2align	8
	.type	_ZN9rocsparseL19gebsrmvn_2xn_kernelILj128ELj16ELj16E21rocsparse_complex_numIdEEEvi20rocsparse_direction_NS_24const_host_device_scalarIT2_EEPKiS8_PKS5_SA_S6_PS5_21rocsparse_index_base_b,@function
_ZN9rocsparseL19gebsrmvn_2xn_kernelILj128ELj16ELj16E21rocsparse_complex_numIdEEEvi20rocsparse_direction_NS_24const_host_device_scalarIT2_EEPKiS8_PKS5_SA_S6_PS5_21rocsparse_index_base_b: ; @_ZN9rocsparseL19gebsrmvn_2xn_kernelILj128ELj16ELj16E21rocsparse_complex_numIdEEEvi20rocsparse_direction_NS_24const_host_device_scalarIT2_EEPKiS8_PKS5_SA_S6_PS5_21rocsparse_index_base_b
; %bb.0:
	s_load_dwordx2 s[0:1], s[4:5], 0x8
	s_load_dwordx2 s[2:3], s[4:5], 0x38
	;; [unrolled: 1-line block ×3, first 2 shown]
	s_add_u32 s7, s4, 8
	s_addc_u32 s8, s5, 0
	s_add_u32 s9, s4, 56
	s_addc_u32 s10, s5, 0
	s_waitcnt lgkmcnt(0)
	s_bitcmp1_b32 s17, 0
	s_cselect_b32 s1, s8, s1
	s_cselect_b32 s0, s7, s0
	v_mov_b32_e32 v1, s0
	v_mov_b32_e32 v2, s1
	flat_load_dwordx4 v[1:4], v[1:2]
	s_cselect_b32 s0, s10, s3
	s_cselect_b32 s1, s9, s2
	v_mov_b32_e32 v5, s1
	v_mov_b32_e32 v6, s0
	flat_load_dwordx4 v[5:8], v[5:6]
	s_waitcnt vmcnt(0) lgkmcnt(0)
	v_cmp_eq_f64_e32 vcc, 0, v[1:2]
	v_cmp_eq_f64_e64 s[0:1], 0, v[3:4]
	s_and_b64 s[8:9], vcc, s[0:1]
	s_mov_b64 s[0:1], -1
	s_and_saveexec_b64 s[2:3], s[8:9]
	s_cbranch_execz .LBB300_2
; %bb.1:
	v_cmp_neq_f64_e32 vcc, 1.0, v[5:6]
	v_cmp_neq_f64_e64 s[0:1], 0, v[7:8]
	s_or_b64 s[0:1], vcc, s[0:1]
	s_orn2_b64 s[0:1], s[0:1], exec
.LBB300_2:
	s_or_b64 exec, exec, s[2:3]
	s_and_saveexec_b64 s[2:3], s[0:1]
	s_cbranch_execz .LBB300_25
; %bb.3:
	s_load_dwordx2 s[0:1], s[4:5], 0x0
	v_lshrrev_b32_e32 v9, 4, v0
	v_lshl_or_b32 v9, s6, 3, v9
	s_waitcnt lgkmcnt(0)
	v_cmp_gt_i32_e32 vcc, s0, v9
	s_and_b64 exec, exec, vcc
	s_cbranch_execz .LBB300_25
; %bb.4:
	s_load_dwordx8 s[8:15], s[4:5], 0x18
	v_ashrrev_i32_e32 v10, 31, v9
	v_lshlrev_b64 v[10:11], 2, v[9:10]
	v_and_b32_e32 v0, 15, v0
	s_cmp_lg_u32 s1, 0
	s_waitcnt lgkmcnt(0)
	v_mov_b32_e32 v12, s9
	v_add_co_u32_e32 v10, vcc, s8, v10
	v_addc_co_u32_e32 v11, vcc, v12, v11, vcc
	global_load_dwordx2 v[10:11], v[10:11], off
	s_waitcnt vmcnt(0)
	v_subrev_u32_e32 v10, s16, v10
	v_subrev_u32_e32 v28, s16, v11
	v_add_u32_e32 v10, v10, v0
	v_cmp_lt_i32_e64 s[0:1], v10, v28
	s_cbranch_scc0 .LBB300_12
; %bb.5:
	v_mov_b32_e32 v16, 0
	v_mov_b32_e32 v18, 0
	v_mov_b32_e32 v12, 0
	v_mov_b32_e32 v14, 0
	v_mov_b32_e32 v17, 0
	v_mov_b32_e32 v19, 0
	v_mov_b32_e32 v13, 0
	v_mov_b32_e32 v15, 0
	s_and_saveexec_b64 s[6:7], s[0:1]
	s_cbranch_execz .LBB300_11
; %bb.6:
	s_add_u32 s17, s12, 16
	v_lshlrev_b32_e32 v20, 5, v10
	s_addc_u32 s2, s13, 0
	v_mov_b32_e32 v16, 0
	v_mov_b32_e32 v18, 0
	;; [unrolled: 1-line block ×4, first 2 shown]
	v_or_b32_e32 v11, 6, v20
	v_mov_b32_e32 v17, 0
	s_mov_b64 s[8:9], 0
	v_mov_b32_e32 v22, 0
	v_mov_b32_e32 v29, s2
	;; [unrolled: 1-line block ×8, first 2 shown]
.LBB300_7:                              ; =>This Loop Header: Depth=1
                                        ;     Child Loop BB300_8 Depth 2
	v_ashrrev_i32_e32 v24, 31, v23
	v_lshlrev_b64 v[24:25], 2, v[23:24]
	v_mov_b32_e32 v21, v22
	v_add_co_u32_e32 v24, vcc, s10, v24
	v_addc_co_u32_e32 v25, vcc, v30, v25, vcc
	global_load_dword v25, v[24:25], off
	v_lshlrev_b64 v[26:27], 4, v[20:21]
	v_mov_b32_e32 v24, v11
	v_add_co_u32_e32 v26, vcc, s17, v26
	v_addc_co_u32_e32 v27, vcc, v29, v27, vcc
	s_mov_b64 s[18:19], 0
	s_waitcnt vmcnt(0)
	v_subrev_u32_e32 v21, s16, v25
	v_lshlrev_b32_e32 v21, 4, v21
	v_lshlrev_b64 v[32:33], 4, v[21:22]
	v_add_co_u32_e32 v32, vcc, s14, v32
	v_addc_co_u32_e32 v33, vcc, v31, v33, vcc
.LBB300_8:                              ;   Parent Loop BB300_7 Depth=1
                                        ; =>  This Inner Loop Header: Depth=2
	v_mov_b32_e32 v42, s19
	v_add_co_u32_e32 v46, vcc, s18, v32
	v_addc_co_u32_e32 v47, vcc, v33, v42, vcc
	global_load_dwordx4 v[34:37], v[26:27], off
	global_load_dwordx4 v[38:41], v[26:27], off offset:-16
	global_load_dwordx4 v[42:45], v[46:47], off
	v_add_u32_e32 v21, -4, v24
	v_lshlrev_b64 v[48:49], 4, v[21:22]
	v_mov_b32_e32 v58, s13
	v_add_u32_e32 v21, -2, v24
	v_mov_b32_e32 v25, v22
	v_lshlrev_b64 v[50:51], 4, v[24:25]
	s_add_u32 s18, s18, 64
	s_addc_u32 s19, s19, 0
	v_add_u32_e32 v24, 8, v24
	s_cmpk_eq_i32 s18, 0x100
	s_waitcnt vmcnt(0)
	v_fma_f64 v[18:19], v[38:39], v[42:43], v[18:19]
	v_fma_f64 v[16:17], v[40:41], v[42:43], v[16:17]
	;; [unrolled: 1-line block ×4, first 2 shown]
	v_fma_f64 v[52:53], -v[40:41], v[44:45], v[18:19]
	v_fma_f64 v[54:55], v[38:39], v[44:45], v[16:17]
	global_load_dwordx4 v[16:19], v[46:47], off offset:16
	v_fma_f64 v[42:43], -v[36:37], v[44:45], v[12:13]
	v_fma_f64 v[44:45], v[34:35], v[44:45], v[14:15]
	global_load_dwordx4 v[12:15], v[46:47], off offset:48
	global_load_dwordx4 v[34:37], v[46:47], off offset:32
	v_add_co_u32_e32 v46, vcc, s12, v48
	v_addc_co_u32_e32 v47, vcc, v58, v49, vcc
	global_load_dwordx4 v[38:41], v[46:47], off
	v_add_co_u32_e32 v50, vcc, s12, v50
	v_addc_co_u32_e32 v51, vcc, v58, v51, vcc
	v_add_co_u32_e32 v26, vcc, 0x80, v26
	v_addc_co_u32_e32 v27, vcc, 0, v27, vcc
	s_waitcnt vmcnt(0)
	v_fma_f64 v[48:49], v[38:39], v[16:17], v[52:53]
	v_fma_f64 v[52:53], v[40:41], v[16:17], v[54:55]
	v_lshlrev_b64 v[54:55], 4, v[21:22]
	v_fma_f64 v[48:49], -v[40:41], v[18:19], v[48:49]
	v_fma_f64 v[52:53], v[38:39], v[18:19], v[52:53]
	global_load_dwordx4 v[38:41], v[46:47], off offset:16
	s_waitcnt vmcnt(0)
	v_fma_f64 v[42:43], v[38:39], v[16:17], v[42:43]
	v_fma_f64 v[16:17], v[40:41], v[16:17], v[44:45]
	v_fma_f64 v[46:47], -v[40:41], v[18:19], v[42:43]
	v_add_co_u32_e64 v42, s[2:3], s12, v54
	v_addc_co_u32_e64 v43, s[2:3], v58, v55, s[2:3]
	v_fma_f64 v[56:57], v[38:39], v[18:19], v[16:17]
	global_load_dwordx4 v[16:19], v[42:43], off
	global_load_dwordx4 v[38:41], v[42:43], off offset:16
	s_waitcnt vmcnt(1)
	v_fma_f64 v[42:43], v[16:17], v[34:35], v[48:49]
	v_fma_f64 v[44:45], v[18:19], v[34:35], v[52:53]
	s_waitcnt vmcnt(0)
	v_fma_f64 v[46:47], v[38:39], v[34:35], v[46:47]
	v_fma_f64 v[34:35], v[40:41], v[34:35], v[56:57]
	v_fma_f64 v[48:49], -v[18:19], v[36:37], v[42:43]
	v_fma_f64 v[52:53], v[16:17], v[36:37], v[44:45]
	global_load_dwordx4 v[16:19], v[50:51], off
	global_load_dwordx4 v[42:45], v[50:51], off offset:16
	v_fma_f64 v[40:41], -v[40:41], v[36:37], v[46:47]
	v_fma_f64 v[34:35], v[38:39], v[36:37], v[34:35]
	s_waitcnt vmcnt(1)
	v_fma_f64 v[36:37], v[16:17], v[12:13], v[48:49]
	v_fma_f64 v[38:39], v[18:19], v[12:13], v[52:53]
	s_waitcnt vmcnt(0)
	v_fma_f64 v[40:41], v[42:43], v[12:13], v[40:41]
	v_fma_f64 v[34:35], v[44:45], v[12:13], v[34:35]
	v_fma_f64 v[18:19], -v[18:19], v[14:15], v[36:37]
	v_fma_f64 v[16:17], v[16:17], v[14:15], v[38:39]
	v_fma_f64 v[12:13], -v[44:45], v[14:15], v[40:41]
	v_fma_f64 v[14:15], v[42:43], v[14:15], v[34:35]
	s_cbranch_scc0 .LBB300_8
; %bb.9:                                ;   in Loop: Header=BB300_7 Depth=1
	v_add_u32_e32 v23, 16, v23
	v_cmp_ge_i32_e32 vcc, v23, v28
	v_add_u32_e32 v11, 0x200, v11
	s_or_b64 s[8:9], vcc, s[8:9]
	v_add_u32_e32 v20, 0x200, v20
	s_andn2_b64 exec, exec, s[8:9]
	s_cbranch_execnz .LBB300_7
; %bb.10:
	s_or_b64 exec, exec, s[8:9]
.LBB300_11:
	s_or_b64 exec, exec, s[6:7]
	s_cbranch_execz .LBB300_13
	s_branch .LBB300_20
.LBB300_12:
                                        ; implicit-def: $vgpr16_vgpr17
                                        ; implicit-def: $vgpr18_vgpr19
                                        ; implicit-def: $vgpr12_vgpr13
                                        ; implicit-def: $vgpr14_vgpr15
.LBB300_13:
	v_mov_b32_e32 v16, 0
	v_mov_b32_e32 v18, 0
	;; [unrolled: 1-line block ×8, first 2 shown]
	s_and_saveexec_b64 s[2:3], s[0:1]
	s_cbranch_execz .LBB300_19
; %bb.14:
	v_mov_b32_e32 v16, 0
	v_mov_b32_e32 v18, 0
	;; [unrolled: 1-line block ×4, first 2 shown]
	v_lshlrev_b32_e32 v20, 5, v10
	v_mov_b32_e32 v17, 0
	s_mov_b64 s[6:7], 0
	v_mov_b32_e32 v21, 0
	v_mov_b32_e32 v22, s13
	;; [unrolled: 1-line block ×7, first 2 shown]
.LBB300_15:                             ; =>This Loop Header: Depth=1
                                        ;     Child Loop BB300_16 Depth 2
	v_ashrrev_i32_e32 v11, 31, v10
	v_lshlrev_b64 v[25:26], 2, v[10:11]
	v_mov_b32_e32 v27, v21
	v_add_co_u32_e32 v25, vcc, s10, v25
	v_addc_co_u32_e32 v26, vcc, v23, v26, vcc
	global_load_dword v29, v[25:26], off
	v_lshlrev_b64 v[25:26], 4, v[20:21]
	s_mov_b64 s[8:9], 0
	v_add_co_u32_e32 v11, vcc, s12, v25
	v_addc_co_u32_e32 v25, vcc, v22, v26, vcc
	s_waitcnt vmcnt(0)
	v_subrev_u32_e32 v26, s16, v29
	v_lshlrev_b32_e32 v26, 4, v26
	v_lshlrev_b64 v[26:27], 4, v[26:27]
	v_add_co_u32_e32 v26, vcc, s14, v26
	v_addc_co_u32_e32 v27, vcc, v24, v27, vcc
.LBB300_16:                             ;   Parent Loop BB300_15 Depth=1
                                        ; =>  This Inner Loop Header: Depth=2
	v_mov_b32_e32 v29, s9
	v_add_co_u32_e64 v43, s[0:1], s8, v11
	v_add_co_u32_e32 v41, vcc, s8, v26
	v_addc_co_u32_e64 v44, s[0:1], v25, v29, s[0:1]
	v_addc_co_u32_e32 v42, vcc, v27, v29, vcc
	global_load_dwordx4 v[29:32], v[43:44], off
	global_load_dwordx4 v[33:36], v[41:42], off
	global_load_dwordx4 v[37:40], v[43:44], off offset:256
	s_add_u32 s8, s8, 64
	s_addc_u32 s9, s9, 0
	s_cmpk_eq_i32 s8, 0x100
	s_waitcnt vmcnt(1)
	v_fma_f64 v[18:19], v[29:30], v[33:34], v[18:19]
	v_fma_f64 v[16:17], v[31:32], v[33:34], v[16:17]
	s_waitcnt vmcnt(0)
	v_fma_f64 v[12:13], v[37:38], v[33:34], v[12:13]
	v_fma_f64 v[14:15], v[39:40], v[33:34], v[14:15]
	v_fma_f64 v[45:46], -v[31:32], v[35:36], v[18:19]
	v_fma_f64 v[47:48], v[29:30], v[35:36], v[16:17]
	global_load_dwordx4 v[16:19], v[43:44], off offset:16
	v_fma_f64 v[33:34], -v[39:40], v[35:36], v[12:13]
	v_fma_f64 v[35:36], v[37:38], v[35:36], v[14:15]
	global_load_dwordx4 v[12:15], v[41:42], off offset:16
	global_load_dwordx4 v[29:32], v[43:44], off offset:272
	s_waitcnt vmcnt(1)
	v_fma_f64 v[37:38], v[16:17], v[12:13], v[45:46]
	v_fma_f64 v[39:40], v[18:19], v[12:13], v[47:48]
	s_waitcnt vmcnt(0)
	v_fma_f64 v[33:34], v[29:30], v[12:13], v[33:34]
	v_fma_f64 v[12:13], v[31:32], v[12:13], v[35:36]
	v_fma_f64 v[37:38], -v[18:19], v[14:15], v[37:38]
	v_fma_f64 v[39:40], v[16:17], v[14:15], v[39:40]
	global_load_dwordx4 v[16:19], v[43:44], off offset:32
	v_fma_f64 v[33:34], -v[31:32], v[14:15], v[33:34]
	v_fma_f64 v[35:36], v[29:30], v[14:15], v[12:13]
	global_load_dwordx4 v[12:15], v[41:42], off offset:32
	global_load_dwordx4 v[29:32], v[43:44], off offset:288
	;; [unrolled: 13-line block ×3, first 2 shown]
	s_waitcnt vmcnt(1)
	v_fma_f64 v[37:38], v[16:17], v[12:13], v[37:38]
	v_fma_f64 v[39:40], v[18:19], v[12:13], v[39:40]
	s_waitcnt vmcnt(0)
	v_fma_f64 v[33:34], v[29:30], v[12:13], v[33:34]
	v_fma_f64 v[35:36], v[31:32], v[12:13], v[35:36]
	v_fma_f64 v[18:19], -v[18:19], v[14:15], v[37:38]
	v_fma_f64 v[16:17], v[16:17], v[14:15], v[39:40]
	v_fma_f64 v[12:13], -v[31:32], v[14:15], v[33:34]
	v_fma_f64 v[14:15], v[29:30], v[14:15], v[35:36]
	s_cbranch_scc0 .LBB300_16
; %bb.17:                               ;   in Loop: Header=BB300_15 Depth=1
	v_add_u32_e32 v10, 16, v10
	v_cmp_ge_i32_e32 vcc, v10, v28
	s_or_b64 s[6:7], vcc, s[6:7]
	v_add_u32_e32 v20, 0x200, v20
	s_andn2_b64 exec, exec, s[6:7]
	s_cbranch_execnz .LBB300_15
; %bb.18:
	s_or_b64 exec, exec, s[6:7]
.LBB300_19:
	s_or_b64 exec, exec, s[2:3]
.LBB300_20:
	v_mov_b32_dpp v10, v18 row_shr:1 row_mask:0xf bank_mask:0xf
	v_mov_b32_dpp v11, v19 row_shr:1 row_mask:0xf bank_mask:0xf
	v_add_f64 v[10:11], v[18:19], v[10:11]
	v_mov_b32_dpp v18, v16 row_shr:1 row_mask:0xf bank_mask:0xf
	v_mov_b32_dpp v19, v17 row_shr:1 row_mask:0xf bank_mask:0xf
	;; [unrolled: 1-line block ×3, first 2 shown]
	v_add_f64 v[16:17], v[16:17], v[18:19]
	v_mov_b32_dpp v21, v13 row_shr:1 row_mask:0xf bank_mask:0xf
	v_add_f64 v[12:13], v[12:13], v[20:21]
	v_cmp_eq_u32_e32 vcc, 15, v0
	v_mov_b32_dpp v18, v10 row_shr:2 row_mask:0xf bank_mask:0xf
	v_mov_b32_dpp v19, v11 row_shr:2 row_mask:0xf bank_mask:0xf
	v_add_f64 v[10:11], v[10:11], v[18:19]
	v_mov_b32_dpp v18, v14 row_shr:1 row_mask:0xf bank_mask:0xf
	v_mov_b32_dpp v19, v15 row_shr:1 row_mask:0xf bank_mask:0xf
	v_add_f64 v[14:15], v[14:15], v[18:19]
	;; [unrolled: 3-line block ×4, first 2 shown]
	v_mov_b32_dpp v20, v10 row_shr:4 row_mask:0xf bank_mask:0xe
	v_mov_b32_dpp v12, v14 row_shr:2 row_mask:0xf bank_mask:0xf
	;; [unrolled: 1-line block ×3, first 2 shown]
	v_add_f64 v[14:15], v[14:15], v[12:13]
	v_mov_b32_dpp v12, v16 row_shr:4 row_mask:0xf bank_mask:0xe
	v_mov_b32_dpp v13, v17 row_shr:4 row_mask:0xf bank_mask:0xe
	v_add_f64 v[12:13], v[16:17], v[12:13]
	v_mov_b32_dpp v16, v18 row_shr:4 row_mask:0xf bank_mask:0xe
	v_mov_b32_dpp v17, v19 row_shr:4 row_mask:0xf bank_mask:0xe
	;; [unrolled: 1-line block ×3, first 2 shown]
	v_add_f64 v[18:19], v[18:19], v[16:17]
	v_mov_b32_dpp v16, v14 row_shr:4 row_mask:0xf bank_mask:0xe
	v_mov_b32_dpp v17, v15 row_shr:4 row_mask:0xf bank_mask:0xe
	v_add_f64 v[10:11], v[10:11], v[20:21]
	v_add_f64 v[14:15], v[14:15], v[16:17]
	v_mov_b32_dpp v16, v12 row_shr:8 row_mask:0xf bank_mask:0xc
	v_mov_b32_dpp v17, v13 row_shr:8 row_mask:0xf bank_mask:0xc
	;; [unrolled: 1-line block ×8, first 2 shown]
	s_and_b64 exec, exec, vcc
	s_cbranch_execz .LBB300_25
; %bb.21:
	v_cmp_eq_f64_e32 vcc, 0, v[5:6]
	v_cmp_eq_f64_e64 s[0:1], 0, v[7:8]
	v_add_f64 v[10:11], v[10:11], v[24:25]
	v_add_f64 v[16:17], v[12:13], v[16:17]
	;; [unrolled: 1-line block ×4, first 2 shown]
	s_load_dwordx2 s[2:3], s[4:5], 0x48
	s_and_b64 s[0:1], vcc, s[0:1]
	s_and_saveexec_b64 s[4:5], s[0:1]
	s_xor_b64 s[0:1], exec, s[4:5]
	s_cbranch_execz .LBB300_23
; %bb.22:
	v_mul_f64 v[5:6], v[16:17], -v[3:4]
	v_mul_f64 v[7:8], v[1:2], v[16:17]
	v_mul_f64 v[16:17], v[14:15], -v[3:4]
	v_mul_f64 v[14:15], v[1:2], v[14:15]
	v_lshlrev_b32_e32 v9, 1, v9
	s_waitcnt lgkmcnt(0)
	v_mov_b32_e32 v18, s3
	v_fma_f64 v[5:6], v[1:2], v[10:11], v[5:6]
	v_fma_f64 v[7:8], v[3:4], v[10:11], v[7:8]
	;; [unrolled: 1-line block ×4, first 2 shown]
	v_ashrrev_i32_e32 v10, 31, v9
	v_lshlrev_b64 v[9:10], 4, v[9:10]
                                        ; implicit-def: $vgpr16_vgpr17
                                        ; implicit-def: $vgpr12_vgpr13
                                        ; implicit-def: $vgpr14_vgpr15
	v_add_co_u32_e32 v9, vcc, s2, v9
	v_addc_co_u32_e32 v10, vcc, v18, v10, vcc
	global_store_dwordx4 v[9:10], v[5:8], off
	global_store_dwordx4 v[9:10], v[0:3], off offset:16
                                        ; implicit-def: $vgpr9
                                        ; implicit-def: $vgpr10_vgpr11
                                        ; implicit-def: $vgpr7_vgpr8
                                        ; implicit-def: $vgpr3_vgpr4
.LBB300_23:
	s_andn2_saveexec_b64 s[0:1], s[0:1]
	s_cbranch_execz .LBB300_25
; %bb.24:
	v_lshlrev_b32_e32 v18, 1, v9
	v_ashrrev_i32_e32 v19, 31, v18
	v_lshlrev_b64 v[18:19], 4, v[18:19]
	s_waitcnt lgkmcnt(0)
	v_mov_b32_e32 v0, s3
	v_add_co_u32_e32 v26, vcc, s2, v18
	v_addc_co_u32_e32 v27, vcc, v0, v19, vcc
	global_load_dwordx4 v[18:21], v[26:27], off
	global_load_dwordx4 v[22:25], v[26:27], off offset:16
	v_mul_f64 v[28:29], v[16:17], -v[3:4]
	v_mul_f64 v[16:17], v[1:2], v[16:17]
	v_mul_f64 v[30:31], v[14:15], -v[3:4]
	v_mul_f64 v[14:15], v[1:2], v[14:15]
	v_fma_f64 v[28:29], v[1:2], v[10:11], v[28:29]
	v_fma_f64 v[9:10], v[3:4], v[10:11], v[16:17]
	;; [unrolled: 1-line block ×4, first 2 shown]
	s_waitcnt vmcnt(1)
	v_fma_f64 v[11:12], v[5:6], v[18:19], v[28:29]
	v_fma_f64 v[9:10], v[7:8], v[18:19], v[9:10]
	s_waitcnt vmcnt(0)
	v_fma_f64 v[13:14], v[5:6], v[22:23], v[0:1]
	v_fma_f64 v[15:16], v[7:8], v[22:23], v[2:3]
	v_fma_f64 v[0:1], -v[7:8], v[20:21], v[11:12]
	v_fma_f64 v[2:3], v[5:6], v[20:21], v[9:10]
	v_fma_f64 v[7:8], -v[7:8], v[24:25], v[13:14]
	v_fma_f64 v[9:10], v[5:6], v[24:25], v[15:16]
	global_store_dwordx4 v[26:27], v[0:3], off
	global_store_dwordx4 v[26:27], v[7:10], off offset:16
.LBB300_25:
	s_endpgm
	.section	.rodata,"a",@progbits
	.p2align	6, 0x0
	.amdhsa_kernel _ZN9rocsparseL19gebsrmvn_2xn_kernelILj128ELj16ELj16E21rocsparse_complex_numIdEEEvi20rocsparse_direction_NS_24const_host_device_scalarIT2_EEPKiS8_PKS5_SA_S6_PS5_21rocsparse_index_base_b
		.amdhsa_group_segment_fixed_size 0
		.amdhsa_private_segment_fixed_size 0
		.amdhsa_kernarg_size 88
		.amdhsa_user_sgpr_count 6
		.amdhsa_user_sgpr_private_segment_buffer 1
		.amdhsa_user_sgpr_dispatch_ptr 0
		.amdhsa_user_sgpr_queue_ptr 0
		.amdhsa_user_sgpr_kernarg_segment_ptr 1
		.amdhsa_user_sgpr_dispatch_id 0
		.amdhsa_user_sgpr_flat_scratch_init 0
		.amdhsa_user_sgpr_private_segment_size 0
		.amdhsa_uses_dynamic_stack 0
		.amdhsa_system_sgpr_private_segment_wavefront_offset 0
		.amdhsa_system_sgpr_workgroup_id_x 1
		.amdhsa_system_sgpr_workgroup_id_y 0
		.amdhsa_system_sgpr_workgroup_id_z 0
		.amdhsa_system_sgpr_workgroup_info 0
		.amdhsa_system_vgpr_workitem_id 0
		.amdhsa_next_free_vgpr 59
		.amdhsa_next_free_sgpr 20
		.amdhsa_reserve_vcc 1
		.amdhsa_reserve_flat_scratch 0
		.amdhsa_float_round_mode_32 0
		.amdhsa_float_round_mode_16_64 0
		.amdhsa_float_denorm_mode_32 3
		.amdhsa_float_denorm_mode_16_64 3
		.amdhsa_dx10_clamp 1
		.amdhsa_ieee_mode 1
		.amdhsa_fp16_overflow 0
		.amdhsa_exception_fp_ieee_invalid_op 0
		.amdhsa_exception_fp_denorm_src 0
		.amdhsa_exception_fp_ieee_div_zero 0
		.amdhsa_exception_fp_ieee_overflow 0
		.amdhsa_exception_fp_ieee_underflow 0
		.amdhsa_exception_fp_ieee_inexact 0
		.amdhsa_exception_int_div_zero 0
	.end_amdhsa_kernel
	.section	.text._ZN9rocsparseL19gebsrmvn_2xn_kernelILj128ELj16ELj16E21rocsparse_complex_numIdEEEvi20rocsparse_direction_NS_24const_host_device_scalarIT2_EEPKiS8_PKS5_SA_S6_PS5_21rocsparse_index_base_b,"axG",@progbits,_ZN9rocsparseL19gebsrmvn_2xn_kernelILj128ELj16ELj16E21rocsparse_complex_numIdEEEvi20rocsparse_direction_NS_24const_host_device_scalarIT2_EEPKiS8_PKS5_SA_S6_PS5_21rocsparse_index_base_b,comdat
.Lfunc_end300:
	.size	_ZN9rocsparseL19gebsrmvn_2xn_kernelILj128ELj16ELj16E21rocsparse_complex_numIdEEEvi20rocsparse_direction_NS_24const_host_device_scalarIT2_EEPKiS8_PKS5_SA_S6_PS5_21rocsparse_index_base_b, .Lfunc_end300-_ZN9rocsparseL19gebsrmvn_2xn_kernelILj128ELj16ELj16E21rocsparse_complex_numIdEEEvi20rocsparse_direction_NS_24const_host_device_scalarIT2_EEPKiS8_PKS5_SA_S6_PS5_21rocsparse_index_base_b
                                        ; -- End function
	.set _ZN9rocsparseL19gebsrmvn_2xn_kernelILj128ELj16ELj16E21rocsparse_complex_numIdEEEvi20rocsparse_direction_NS_24const_host_device_scalarIT2_EEPKiS8_PKS5_SA_S6_PS5_21rocsparse_index_base_b.num_vgpr, 59
	.set _ZN9rocsparseL19gebsrmvn_2xn_kernelILj128ELj16ELj16E21rocsparse_complex_numIdEEEvi20rocsparse_direction_NS_24const_host_device_scalarIT2_EEPKiS8_PKS5_SA_S6_PS5_21rocsparse_index_base_b.num_agpr, 0
	.set _ZN9rocsparseL19gebsrmvn_2xn_kernelILj128ELj16ELj16E21rocsparse_complex_numIdEEEvi20rocsparse_direction_NS_24const_host_device_scalarIT2_EEPKiS8_PKS5_SA_S6_PS5_21rocsparse_index_base_b.numbered_sgpr, 20
	.set _ZN9rocsparseL19gebsrmvn_2xn_kernelILj128ELj16ELj16E21rocsparse_complex_numIdEEEvi20rocsparse_direction_NS_24const_host_device_scalarIT2_EEPKiS8_PKS5_SA_S6_PS5_21rocsparse_index_base_b.num_named_barrier, 0
	.set _ZN9rocsparseL19gebsrmvn_2xn_kernelILj128ELj16ELj16E21rocsparse_complex_numIdEEEvi20rocsparse_direction_NS_24const_host_device_scalarIT2_EEPKiS8_PKS5_SA_S6_PS5_21rocsparse_index_base_b.private_seg_size, 0
	.set _ZN9rocsparseL19gebsrmvn_2xn_kernelILj128ELj16ELj16E21rocsparse_complex_numIdEEEvi20rocsparse_direction_NS_24const_host_device_scalarIT2_EEPKiS8_PKS5_SA_S6_PS5_21rocsparse_index_base_b.uses_vcc, 1
	.set _ZN9rocsparseL19gebsrmvn_2xn_kernelILj128ELj16ELj16E21rocsparse_complex_numIdEEEvi20rocsparse_direction_NS_24const_host_device_scalarIT2_EEPKiS8_PKS5_SA_S6_PS5_21rocsparse_index_base_b.uses_flat_scratch, 0
	.set _ZN9rocsparseL19gebsrmvn_2xn_kernelILj128ELj16ELj16E21rocsparse_complex_numIdEEEvi20rocsparse_direction_NS_24const_host_device_scalarIT2_EEPKiS8_PKS5_SA_S6_PS5_21rocsparse_index_base_b.has_dyn_sized_stack, 0
	.set _ZN9rocsparseL19gebsrmvn_2xn_kernelILj128ELj16ELj16E21rocsparse_complex_numIdEEEvi20rocsparse_direction_NS_24const_host_device_scalarIT2_EEPKiS8_PKS5_SA_S6_PS5_21rocsparse_index_base_b.has_recursion, 0
	.set _ZN9rocsparseL19gebsrmvn_2xn_kernelILj128ELj16ELj16E21rocsparse_complex_numIdEEEvi20rocsparse_direction_NS_24const_host_device_scalarIT2_EEPKiS8_PKS5_SA_S6_PS5_21rocsparse_index_base_b.has_indirect_call, 0
	.section	.AMDGPU.csdata,"",@progbits
; Kernel info:
; codeLenInByte = 2416
; TotalNumSgprs: 24
; NumVgprs: 59
; ScratchSize: 0
; MemoryBound: 1
; FloatMode: 240
; IeeeMode: 1
; LDSByteSize: 0 bytes/workgroup (compile time only)
; SGPRBlocks: 2
; VGPRBlocks: 14
; NumSGPRsForWavesPerEU: 24
; NumVGPRsForWavesPerEU: 59
; Occupancy: 4
; WaveLimiterHint : 1
; COMPUTE_PGM_RSRC2:SCRATCH_EN: 0
; COMPUTE_PGM_RSRC2:USER_SGPR: 6
; COMPUTE_PGM_RSRC2:TRAP_HANDLER: 0
; COMPUTE_PGM_RSRC2:TGID_X_EN: 1
; COMPUTE_PGM_RSRC2:TGID_Y_EN: 0
; COMPUTE_PGM_RSRC2:TGID_Z_EN: 0
; COMPUTE_PGM_RSRC2:TIDIG_COMP_CNT: 0
	.section	.text._ZN9rocsparseL19gebsrmvn_2xn_kernelILj128ELj16ELj32E21rocsparse_complex_numIdEEEvi20rocsparse_direction_NS_24const_host_device_scalarIT2_EEPKiS8_PKS5_SA_S6_PS5_21rocsparse_index_base_b,"axG",@progbits,_ZN9rocsparseL19gebsrmvn_2xn_kernelILj128ELj16ELj32E21rocsparse_complex_numIdEEEvi20rocsparse_direction_NS_24const_host_device_scalarIT2_EEPKiS8_PKS5_SA_S6_PS5_21rocsparse_index_base_b,comdat
	.globl	_ZN9rocsparseL19gebsrmvn_2xn_kernelILj128ELj16ELj32E21rocsparse_complex_numIdEEEvi20rocsparse_direction_NS_24const_host_device_scalarIT2_EEPKiS8_PKS5_SA_S6_PS5_21rocsparse_index_base_b ; -- Begin function _ZN9rocsparseL19gebsrmvn_2xn_kernelILj128ELj16ELj32E21rocsparse_complex_numIdEEEvi20rocsparse_direction_NS_24const_host_device_scalarIT2_EEPKiS8_PKS5_SA_S6_PS5_21rocsparse_index_base_b
	.p2align	8
	.type	_ZN9rocsparseL19gebsrmvn_2xn_kernelILj128ELj16ELj32E21rocsparse_complex_numIdEEEvi20rocsparse_direction_NS_24const_host_device_scalarIT2_EEPKiS8_PKS5_SA_S6_PS5_21rocsparse_index_base_b,@function
_ZN9rocsparseL19gebsrmvn_2xn_kernelILj128ELj16ELj32E21rocsparse_complex_numIdEEEvi20rocsparse_direction_NS_24const_host_device_scalarIT2_EEPKiS8_PKS5_SA_S6_PS5_21rocsparse_index_base_b: ; @_ZN9rocsparseL19gebsrmvn_2xn_kernelILj128ELj16ELj32E21rocsparse_complex_numIdEEEvi20rocsparse_direction_NS_24const_host_device_scalarIT2_EEPKiS8_PKS5_SA_S6_PS5_21rocsparse_index_base_b
; %bb.0:
	s_load_dwordx2 s[0:1], s[4:5], 0x8
	s_load_dwordx2 s[2:3], s[4:5], 0x38
	;; [unrolled: 1-line block ×3, first 2 shown]
	s_add_u32 s7, s4, 8
	s_addc_u32 s8, s5, 0
	s_add_u32 s9, s4, 56
	s_addc_u32 s10, s5, 0
	s_waitcnt lgkmcnt(0)
	s_bitcmp1_b32 s17, 0
	s_cselect_b32 s1, s8, s1
	s_cselect_b32 s0, s7, s0
	v_mov_b32_e32 v1, s0
	v_mov_b32_e32 v2, s1
	flat_load_dwordx4 v[1:4], v[1:2]
	s_cselect_b32 s0, s10, s3
	s_cselect_b32 s1, s9, s2
	v_mov_b32_e32 v5, s1
	v_mov_b32_e32 v6, s0
	flat_load_dwordx4 v[5:8], v[5:6]
	s_waitcnt vmcnt(0) lgkmcnt(0)
	v_cmp_eq_f64_e32 vcc, 0, v[1:2]
	v_cmp_eq_f64_e64 s[0:1], 0, v[3:4]
	s_and_b64 s[8:9], vcc, s[0:1]
	s_mov_b64 s[0:1], -1
	s_and_saveexec_b64 s[2:3], s[8:9]
	s_cbranch_execz .LBB301_2
; %bb.1:
	v_cmp_neq_f64_e32 vcc, 1.0, v[5:6]
	v_cmp_neq_f64_e64 s[0:1], 0, v[7:8]
	s_or_b64 s[0:1], vcc, s[0:1]
	s_orn2_b64 s[0:1], s[0:1], exec
.LBB301_2:
	s_or_b64 exec, exec, s[2:3]
	s_and_saveexec_b64 s[2:3], s[0:1]
	s_cbranch_execz .LBB301_25
; %bb.3:
	s_load_dwordx2 s[0:1], s[4:5], 0x0
	v_lshrrev_b32_e32 v9, 5, v0
	v_lshl_or_b32 v9, s6, 2, v9
	s_waitcnt lgkmcnt(0)
	v_cmp_gt_i32_e32 vcc, s0, v9
	s_and_b64 exec, exec, vcc
	s_cbranch_execz .LBB301_25
; %bb.4:
	s_load_dwordx8 s[8:15], s[4:5], 0x18
	v_ashrrev_i32_e32 v10, 31, v9
	v_lshlrev_b64 v[10:11], 2, v[9:10]
	v_and_b32_e32 v0, 31, v0
	s_cmp_lg_u32 s1, 0
	s_waitcnt lgkmcnt(0)
	v_mov_b32_e32 v12, s9
	v_add_co_u32_e32 v10, vcc, s8, v10
	v_addc_co_u32_e32 v11, vcc, v12, v11, vcc
	global_load_dwordx2 v[10:11], v[10:11], off
	s_waitcnt vmcnt(0)
	v_subrev_u32_e32 v10, s16, v10
	v_subrev_u32_e32 v28, s16, v11
	v_add_u32_e32 v10, v10, v0
	v_cmp_lt_i32_e64 s[0:1], v10, v28
	s_cbranch_scc0 .LBB301_12
; %bb.5:
	v_mov_b32_e32 v16, 0
	v_mov_b32_e32 v18, 0
	;; [unrolled: 1-line block ×8, first 2 shown]
	s_and_saveexec_b64 s[6:7], s[0:1]
	s_cbranch_execz .LBB301_11
; %bb.6:
	s_add_u32 s17, s12, 16
	v_lshlrev_b32_e32 v20, 5, v10
	s_addc_u32 s2, s13, 0
	v_mov_b32_e32 v16, 0
	v_mov_b32_e32 v18, 0
	v_mov_b32_e32 v12, 0
	v_mov_b32_e32 v14, 0
	v_or_b32_e32 v11, 6, v20
	v_mov_b32_e32 v17, 0
	s_mov_b64 s[8:9], 0
	v_mov_b32_e32 v22, 0
	v_mov_b32_e32 v29, s2
	;; [unrolled: 1-line block ×8, first 2 shown]
.LBB301_7:                              ; =>This Loop Header: Depth=1
                                        ;     Child Loop BB301_8 Depth 2
	v_ashrrev_i32_e32 v24, 31, v23
	v_lshlrev_b64 v[24:25], 2, v[23:24]
	v_mov_b32_e32 v21, v22
	v_add_co_u32_e32 v24, vcc, s10, v24
	v_addc_co_u32_e32 v25, vcc, v30, v25, vcc
	global_load_dword v25, v[24:25], off
	v_lshlrev_b64 v[26:27], 4, v[20:21]
	v_mov_b32_e32 v24, v11
	v_add_co_u32_e32 v26, vcc, s17, v26
	v_addc_co_u32_e32 v27, vcc, v29, v27, vcc
	s_mov_b64 s[18:19], 0
	s_waitcnt vmcnt(0)
	v_subrev_u32_e32 v21, s16, v25
	v_lshlrev_b32_e32 v21, 4, v21
	v_lshlrev_b64 v[32:33], 4, v[21:22]
	v_add_co_u32_e32 v32, vcc, s14, v32
	v_addc_co_u32_e32 v33, vcc, v31, v33, vcc
.LBB301_8:                              ;   Parent Loop BB301_7 Depth=1
                                        ; =>  This Inner Loop Header: Depth=2
	v_mov_b32_e32 v42, s19
	v_add_co_u32_e32 v46, vcc, s18, v32
	v_addc_co_u32_e32 v47, vcc, v33, v42, vcc
	global_load_dwordx4 v[34:37], v[26:27], off
	global_load_dwordx4 v[38:41], v[26:27], off offset:-16
	global_load_dwordx4 v[42:45], v[46:47], off
	v_add_u32_e32 v21, -4, v24
	v_lshlrev_b64 v[48:49], 4, v[21:22]
	v_mov_b32_e32 v58, s13
	v_add_u32_e32 v21, -2, v24
	v_mov_b32_e32 v25, v22
	v_lshlrev_b64 v[50:51], 4, v[24:25]
	s_add_u32 s18, s18, 64
	s_addc_u32 s19, s19, 0
	v_add_u32_e32 v24, 8, v24
	s_cmpk_eq_i32 s18, 0x100
	s_waitcnt vmcnt(0)
	v_fma_f64 v[18:19], v[38:39], v[42:43], v[18:19]
	v_fma_f64 v[16:17], v[40:41], v[42:43], v[16:17]
	;; [unrolled: 1-line block ×4, first 2 shown]
	v_fma_f64 v[52:53], -v[40:41], v[44:45], v[18:19]
	v_fma_f64 v[54:55], v[38:39], v[44:45], v[16:17]
	global_load_dwordx4 v[16:19], v[46:47], off offset:16
	v_fma_f64 v[42:43], -v[36:37], v[44:45], v[12:13]
	v_fma_f64 v[44:45], v[34:35], v[44:45], v[14:15]
	global_load_dwordx4 v[12:15], v[46:47], off offset:48
	global_load_dwordx4 v[34:37], v[46:47], off offset:32
	v_add_co_u32_e32 v46, vcc, s12, v48
	v_addc_co_u32_e32 v47, vcc, v58, v49, vcc
	global_load_dwordx4 v[38:41], v[46:47], off
	v_add_co_u32_e32 v50, vcc, s12, v50
	v_addc_co_u32_e32 v51, vcc, v58, v51, vcc
	v_add_co_u32_e32 v26, vcc, 0x80, v26
	v_addc_co_u32_e32 v27, vcc, 0, v27, vcc
	s_waitcnt vmcnt(0)
	v_fma_f64 v[48:49], v[38:39], v[16:17], v[52:53]
	v_fma_f64 v[52:53], v[40:41], v[16:17], v[54:55]
	v_lshlrev_b64 v[54:55], 4, v[21:22]
	v_fma_f64 v[48:49], -v[40:41], v[18:19], v[48:49]
	v_fma_f64 v[52:53], v[38:39], v[18:19], v[52:53]
	global_load_dwordx4 v[38:41], v[46:47], off offset:16
	s_waitcnt vmcnt(0)
	v_fma_f64 v[42:43], v[38:39], v[16:17], v[42:43]
	v_fma_f64 v[16:17], v[40:41], v[16:17], v[44:45]
	v_fma_f64 v[46:47], -v[40:41], v[18:19], v[42:43]
	v_add_co_u32_e64 v42, s[2:3], s12, v54
	v_addc_co_u32_e64 v43, s[2:3], v58, v55, s[2:3]
	v_fma_f64 v[56:57], v[38:39], v[18:19], v[16:17]
	global_load_dwordx4 v[16:19], v[42:43], off
	global_load_dwordx4 v[38:41], v[42:43], off offset:16
	s_waitcnt vmcnt(1)
	v_fma_f64 v[42:43], v[16:17], v[34:35], v[48:49]
	v_fma_f64 v[44:45], v[18:19], v[34:35], v[52:53]
	s_waitcnt vmcnt(0)
	v_fma_f64 v[46:47], v[38:39], v[34:35], v[46:47]
	v_fma_f64 v[34:35], v[40:41], v[34:35], v[56:57]
	v_fma_f64 v[48:49], -v[18:19], v[36:37], v[42:43]
	v_fma_f64 v[52:53], v[16:17], v[36:37], v[44:45]
	global_load_dwordx4 v[16:19], v[50:51], off
	global_load_dwordx4 v[42:45], v[50:51], off offset:16
	v_fma_f64 v[40:41], -v[40:41], v[36:37], v[46:47]
	v_fma_f64 v[34:35], v[38:39], v[36:37], v[34:35]
	s_waitcnt vmcnt(1)
	v_fma_f64 v[36:37], v[16:17], v[12:13], v[48:49]
	v_fma_f64 v[38:39], v[18:19], v[12:13], v[52:53]
	s_waitcnt vmcnt(0)
	v_fma_f64 v[40:41], v[42:43], v[12:13], v[40:41]
	v_fma_f64 v[34:35], v[44:45], v[12:13], v[34:35]
	v_fma_f64 v[18:19], -v[18:19], v[14:15], v[36:37]
	v_fma_f64 v[16:17], v[16:17], v[14:15], v[38:39]
	v_fma_f64 v[12:13], -v[44:45], v[14:15], v[40:41]
	v_fma_f64 v[14:15], v[42:43], v[14:15], v[34:35]
	s_cbranch_scc0 .LBB301_8
; %bb.9:                                ;   in Loop: Header=BB301_7 Depth=1
	v_add_u32_e32 v23, 32, v23
	v_cmp_ge_i32_e32 vcc, v23, v28
	v_add_u32_e32 v11, 0x400, v11
	s_or_b64 s[8:9], vcc, s[8:9]
	v_add_u32_e32 v20, 0x400, v20
	s_andn2_b64 exec, exec, s[8:9]
	s_cbranch_execnz .LBB301_7
; %bb.10:
	s_or_b64 exec, exec, s[8:9]
.LBB301_11:
	s_or_b64 exec, exec, s[6:7]
	s_cbranch_execz .LBB301_13
	s_branch .LBB301_20
.LBB301_12:
                                        ; implicit-def: $vgpr16_vgpr17
                                        ; implicit-def: $vgpr18_vgpr19
                                        ; implicit-def: $vgpr12_vgpr13
                                        ; implicit-def: $vgpr14_vgpr15
.LBB301_13:
	v_mov_b32_e32 v16, 0
	v_mov_b32_e32 v18, 0
	;; [unrolled: 1-line block ×8, first 2 shown]
	s_and_saveexec_b64 s[2:3], s[0:1]
	s_cbranch_execz .LBB301_19
; %bb.14:
	v_mov_b32_e32 v16, 0
	v_mov_b32_e32 v18, 0
	;; [unrolled: 1-line block ×4, first 2 shown]
	v_lshlrev_b32_e32 v20, 5, v10
	v_mov_b32_e32 v17, 0
	s_mov_b64 s[6:7], 0
	v_mov_b32_e32 v21, 0
	v_mov_b32_e32 v22, s13
	;; [unrolled: 1-line block ×7, first 2 shown]
.LBB301_15:                             ; =>This Loop Header: Depth=1
                                        ;     Child Loop BB301_16 Depth 2
	v_ashrrev_i32_e32 v11, 31, v10
	v_lshlrev_b64 v[25:26], 2, v[10:11]
	v_mov_b32_e32 v27, v21
	v_add_co_u32_e32 v25, vcc, s10, v25
	v_addc_co_u32_e32 v26, vcc, v23, v26, vcc
	global_load_dword v29, v[25:26], off
	v_lshlrev_b64 v[25:26], 4, v[20:21]
	s_mov_b64 s[8:9], 0
	v_add_co_u32_e32 v11, vcc, s12, v25
	v_addc_co_u32_e32 v25, vcc, v22, v26, vcc
	s_waitcnt vmcnt(0)
	v_subrev_u32_e32 v26, s16, v29
	v_lshlrev_b32_e32 v26, 4, v26
	v_lshlrev_b64 v[26:27], 4, v[26:27]
	v_add_co_u32_e32 v26, vcc, s14, v26
	v_addc_co_u32_e32 v27, vcc, v24, v27, vcc
.LBB301_16:                             ;   Parent Loop BB301_15 Depth=1
                                        ; =>  This Inner Loop Header: Depth=2
	v_mov_b32_e32 v29, s9
	v_add_co_u32_e64 v43, s[0:1], s8, v11
	v_add_co_u32_e32 v41, vcc, s8, v26
	v_addc_co_u32_e64 v44, s[0:1], v25, v29, s[0:1]
	v_addc_co_u32_e32 v42, vcc, v27, v29, vcc
	global_load_dwordx4 v[29:32], v[43:44], off
	global_load_dwordx4 v[33:36], v[41:42], off
	global_load_dwordx4 v[37:40], v[43:44], off offset:256
	s_add_u32 s8, s8, 64
	s_addc_u32 s9, s9, 0
	s_cmpk_eq_i32 s8, 0x100
	s_waitcnt vmcnt(1)
	v_fma_f64 v[18:19], v[29:30], v[33:34], v[18:19]
	v_fma_f64 v[16:17], v[31:32], v[33:34], v[16:17]
	s_waitcnt vmcnt(0)
	v_fma_f64 v[12:13], v[37:38], v[33:34], v[12:13]
	v_fma_f64 v[14:15], v[39:40], v[33:34], v[14:15]
	v_fma_f64 v[45:46], -v[31:32], v[35:36], v[18:19]
	v_fma_f64 v[47:48], v[29:30], v[35:36], v[16:17]
	global_load_dwordx4 v[16:19], v[43:44], off offset:16
	v_fma_f64 v[33:34], -v[39:40], v[35:36], v[12:13]
	v_fma_f64 v[35:36], v[37:38], v[35:36], v[14:15]
	global_load_dwordx4 v[12:15], v[41:42], off offset:16
	global_load_dwordx4 v[29:32], v[43:44], off offset:272
	s_waitcnt vmcnt(1)
	v_fma_f64 v[37:38], v[16:17], v[12:13], v[45:46]
	v_fma_f64 v[39:40], v[18:19], v[12:13], v[47:48]
	s_waitcnt vmcnt(0)
	v_fma_f64 v[33:34], v[29:30], v[12:13], v[33:34]
	v_fma_f64 v[12:13], v[31:32], v[12:13], v[35:36]
	v_fma_f64 v[37:38], -v[18:19], v[14:15], v[37:38]
	v_fma_f64 v[39:40], v[16:17], v[14:15], v[39:40]
	global_load_dwordx4 v[16:19], v[43:44], off offset:32
	v_fma_f64 v[33:34], -v[31:32], v[14:15], v[33:34]
	v_fma_f64 v[35:36], v[29:30], v[14:15], v[12:13]
	global_load_dwordx4 v[12:15], v[41:42], off offset:32
	global_load_dwordx4 v[29:32], v[43:44], off offset:288
	;; [unrolled: 13-line block ×3, first 2 shown]
	s_waitcnt vmcnt(1)
	v_fma_f64 v[37:38], v[16:17], v[12:13], v[37:38]
	v_fma_f64 v[39:40], v[18:19], v[12:13], v[39:40]
	s_waitcnt vmcnt(0)
	v_fma_f64 v[33:34], v[29:30], v[12:13], v[33:34]
	v_fma_f64 v[35:36], v[31:32], v[12:13], v[35:36]
	v_fma_f64 v[18:19], -v[18:19], v[14:15], v[37:38]
	v_fma_f64 v[16:17], v[16:17], v[14:15], v[39:40]
	v_fma_f64 v[12:13], -v[31:32], v[14:15], v[33:34]
	v_fma_f64 v[14:15], v[29:30], v[14:15], v[35:36]
	s_cbranch_scc0 .LBB301_16
; %bb.17:                               ;   in Loop: Header=BB301_15 Depth=1
	v_add_u32_e32 v10, 32, v10
	v_cmp_ge_i32_e32 vcc, v10, v28
	s_or_b64 s[6:7], vcc, s[6:7]
	v_add_u32_e32 v20, 0x400, v20
	s_andn2_b64 exec, exec, s[6:7]
	s_cbranch_execnz .LBB301_15
; %bb.18:
	s_or_b64 exec, exec, s[6:7]
.LBB301_19:
	s_or_b64 exec, exec, s[2:3]
.LBB301_20:
	v_mov_b32_dpp v10, v18 row_shr:1 row_mask:0xf bank_mask:0xf
	v_mov_b32_dpp v11, v19 row_shr:1 row_mask:0xf bank_mask:0xf
	v_add_f64 v[10:11], v[18:19], v[10:11]
	v_mov_b32_dpp v18, v16 row_shr:1 row_mask:0xf bank_mask:0xf
	v_mov_b32_dpp v19, v17 row_shr:1 row_mask:0xf bank_mask:0xf
	v_add_f64 v[16:17], v[16:17], v[18:19]
	;; [unrolled: 3-line block ×3, first 2 shown]
	v_cmp_eq_u32_e32 vcc, 31, v0
	v_mov_b32_dpp v18, v10 row_shr:2 row_mask:0xf bank_mask:0xf
	v_mov_b32_dpp v19, v11 row_shr:2 row_mask:0xf bank_mask:0xf
	v_add_f64 v[10:11], v[10:11], v[18:19]
	v_mov_b32_dpp v18, v14 row_shr:1 row_mask:0xf bank_mask:0xf
	v_mov_b32_dpp v19, v15 row_shr:1 row_mask:0xf bank_mask:0xf
	v_add_f64 v[14:15], v[14:15], v[18:19]
	;; [unrolled: 3-line block ×4, first 2 shown]
	v_mov_b32_dpp v20, v12 row_shr:2 row_mask:0xf bank_mask:0xf
	v_mov_b32_dpp v21, v13 row_shr:2 row_mask:0xf bank_mask:0xf
	;; [unrolled: 1-line block ×3, first 2 shown]
	v_add_f64 v[12:13], v[12:13], v[20:21]
	v_mov_b32_dpp v19, v15 row_shr:2 row_mask:0xf bank_mask:0xf
	v_add_f64 v[14:15], v[14:15], v[18:19]
	v_mov_b32_dpp v20, v16 row_shr:4 row_mask:0xf bank_mask:0xe
	v_mov_b32_dpp v21, v17 row_shr:4 row_mask:0xf bank_mask:0xe
	v_add_f64 v[16:17], v[16:17], v[20:21]
	v_mov_b32_dpp v18, v10 row_shr:8 row_mask:0xf bank_mask:0xc
	v_mov_b32_dpp v19, v11 row_shr:8 row_mask:0xf bank_mask:0xc
	v_mov_b32_dpp v20, v12 row_shr:4 row_mask:0xf bank_mask:0xe
	v_mov_b32_dpp v21, v13 row_shr:4 row_mask:0xf bank_mask:0xe
	v_add_f64 v[20:21], v[12:13], v[20:21]
	v_mov_b32_dpp v12, v14 row_shr:4 row_mask:0xf bank_mask:0xe
	v_mov_b32_dpp v13, v15 row_shr:4 row_mask:0xf bank_mask:0xe
	v_add_f64 v[14:15], v[14:15], v[12:13]
	v_mov_b32_dpp v12, v16 row_shr:8 row_mask:0xf bank_mask:0xc
	v_mov_b32_dpp v13, v17 row_shr:8 row_mask:0xf bank_mask:0xc
	v_add_f64 v[12:13], v[16:17], v[12:13]
	v_add_f64 v[10:11], v[10:11], v[18:19]
	v_mov_b32_dpp v16, v20 row_shr:8 row_mask:0xf bank_mask:0xc
	v_mov_b32_dpp v17, v21 row_shr:8 row_mask:0xf bank_mask:0xc
	v_add_f64 v[18:19], v[20:21], v[16:17]
	v_mov_b32_dpp v16, v14 row_shr:8 row_mask:0xf bank_mask:0xc
	v_mov_b32_dpp v17, v15 row_shr:8 row_mask:0xf bank_mask:0xc
	v_add_f64 v[14:15], v[14:15], v[16:17]
	v_mov_b32_dpp v16, v12 row_bcast:15 row_mask:0xa bank_mask:0xf
	v_mov_b32_dpp v24, v10 row_bcast:15 row_mask:0xa bank_mask:0xf
	;; [unrolled: 1-line block ×8, first 2 shown]
	s_and_b64 exec, exec, vcc
	s_cbranch_execz .LBB301_25
; %bb.21:
	v_cmp_eq_f64_e32 vcc, 0, v[5:6]
	v_cmp_eq_f64_e64 s[0:1], 0, v[7:8]
	v_add_f64 v[10:11], v[10:11], v[24:25]
	v_add_f64 v[16:17], v[12:13], v[16:17]
	;; [unrolled: 1-line block ×4, first 2 shown]
	s_load_dwordx2 s[2:3], s[4:5], 0x48
	s_and_b64 s[0:1], vcc, s[0:1]
	s_and_saveexec_b64 s[4:5], s[0:1]
	s_xor_b64 s[0:1], exec, s[4:5]
	s_cbranch_execz .LBB301_23
; %bb.22:
	v_mul_f64 v[5:6], v[16:17], -v[3:4]
	v_mul_f64 v[7:8], v[1:2], v[16:17]
	v_mul_f64 v[16:17], v[14:15], -v[3:4]
	v_mul_f64 v[14:15], v[1:2], v[14:15]
	v_lshlrev_b32_e32 v9, 1, v9
	s_waitcnt lgkmcnt(0)
	v_mov_b32_e32 v18, s3
	v_fma_f64 v[5:6], v[1:2], v[10:11], v[5:6]
	v_fma_f64 v[7:8], v[3:4], v[10:11], v[7:8]
	;; [unrolled: 1-line block ×4, first 2 shown]
	v_ashrrev_i32_e32 v10, 31, v9
	v_lshlrev_b64 v[9:10], 4, v[9:10]
                                        ; implicit-def: $vgpr16_vgpr17
                                        ; implicit-def: $vgpr12_vgpr13
                                        ; implicit-def: $vgpr14_vgpr15
	v_add_co_u32_e32 v9, vcc, s2, v9
	v_addc_co_u32_e32 v10, vcc, v18, v10, vcc
	global_store_dwordx4 v[9:10], v[5:8], off
	global_store_dwordx4 v[9:10], v[0:3], off offset:16
                                        ; implicit-def: $vgpr9
                                        ; implicit-def: $vgpr10_vgpr11
                                        ; implicit-def: $vgpr7_vgpr8
                                        ; implicit-def: $vgpr3_vgpr4
.LBB301_23:
	s_andn2_saveexec_b64 s[0:1], s[0:1]
	s_cbranch_execz .LBB301_25
; %bb.24:
	v_lshlrev_b32_e32 v18, 1, v9
	v_ashrrev_i32_e32 v19, 31, v18
	v_lshlrev_b64 v[18:19], 4, v[18:19]
	s_waitcnt lgkmcnt(0)
	v_mov_b32_e32 v0, s3
	v_add_co_u32_e32 v26, vcc, s2, v18
	v_addc_co_u32_e32 v27, vcc, v0, v19, vcc
	global_load_dwordx4 v[18:21], v[26:27], off
	global_load_dwordx4 v[22:25], v[26:27], off offset:16
	v_mul_f64 v[28:29], v[16:17], -v[3:4]
	v_mul_f64 v[16:17], v[1:2], v[16:17]
	v_mul_f64 v[30:31], v[14:15], -v[3:4]
	v_mul_f64 v[14:15], v[1:2], v[14:15]
	v_fma_f64 v[28:29], v[1:2], v[10:11], v[28:29]
	v_fma_f64 v[9:10], v[3:4], v[10:11], v[16:17]
	;; [unrolled: 1-line block ×4, first 2 shown]
	s_waitcnt vmcnt(1)
	v_fma_f64 v[11:12], v[5:6], v[18:19], v[28:29]
	v_fma_f64 v[9:10], v[7:8], v[18:19], v[9:10]
	s_waitcnt vmcnt(0)
	v_fma_f64 v[13:14], v[5:6], v[22:23], v[0:1]
	v_fma_f64 v[15:16], v[7:8], v[22:23], v[2:3]
	v_fma_f64 v[0:1], -v[7:8], v[20:21], v[11:12]
	v_fma_f64 v[2:3], v[5:6], v[20:21], v[9:10]
	v_fma_f64 v[7:8], -v[7:8], v[24:25], v[13:14]
	v_fma_f64 v[9:10], v[5:6], v[24:25], v[15:16]
	global_store_dwordx4 v[26:27], v[0:3], off
	global_store_dwordx4 v[26:27], v[7:10], off offset:16
.LBB301_25:
	s_endpgm
	.section	.rodata,"a",@progbits
	.p2align	6, 0x0
	.amdhsa_kernel _ZN9rocsparseL19gebsrmvn_2xn_kernelILj128ELj16ELj32E21rocsparse_complex_numIdEEEvi20rocsparse_direction_NS_24const_host_device_scalarIT2_EEPKiS8_PKS5_SA_S6_PS5_21rocsparse_index_base_b
		.amdhsa_group_segment_fixed_size 0
		.amdhsa_private_segment_fixed_size 0
		.amdhsa_kernarg_size 88
		.amdhsa_user_sgpr_count 6
		.amdhsa_user_sgpr_private_segment_buffer 1
		.amdhsa_user_sgpr_dispatch_ptr 0
		.amdhsa_user_sgpr_queue_ptr 0
		.amdhsa_user_sgpr_kernarg_segment_ptr 1
		.amdhsa_user_sgpr_dispatch_id 0
		.amdhsa_user_sgpr_flat_scratch_init 0
		.amdhsa_user_sgpr_private_segment_size 0
		.amdhsa_uses_dynamic_stack 0
		.amdhsa_system_sgpr_private_segment_wavefront_offset 0
		.amdhsa_system_sgpr_workgroup_id_x 1
		.amdhsa_system_sgpr_workgroup_id_y 0
		.amdhsa_system_sgpr_workgroup_id_z 0
		.amdhsa_system_sgpr_workgroup_info 0
		.amdhsa_system_vgpr_workitem_id 0
		.amdhsa_next_free_vgpr 59
		.amdhsa_next_free_sgpr 20
		.amdhsa_reserve_vcc 1
		.amdhsa_reserve_flat_scratch 0
		.amdhsa_float_round_mode_32 0
		.amdhsa_float_round_mode_16_64 0
		.amdhsa_float_denorm_mode_32 3
		.amdhsa_float_denorm_mode_16_64 3
		.amdhsa_dx10_clamp 1
		.amdhsa_ieee_mode 1
		.amdhsa_fp16_overflow 0
		.amdhsa_exception_fp_ieee_invalid_op 0
		.amdhsa_exception_fp_denorm_src 0
		.amdhsa_exception_fp_ieee_div_zero 0
		.amdhsa_exception_fp_ieee_overflow 0
		.amdhsa_exception_fp_ieee_underflow 0
		.amdhsa_exception_fp_ieee_inexact 0
		.amdhsa_exception_int_div_zero 0
	.end_amdhsa_kernel
	.section	.text._ZN9rocsparseL19gebsrmvn_2xn_kernelILj128ELj16ELj32E21rocsparse_complex_numIdEEEvi20rocsparse_direction_NS_24const_host_device_scalarIT2_EEPKiS8_PKS5_SA_S6_PS5_21rocsparse_index_base_b,"axG",@progbits,_ZN9rocsparseL19gebsrmvn_2xn_kernelILj128ELj16ELj32E21rocsparse_complex_numIdEEEvi20rocsparse_direction_NS_24const_host_device_scalarIT2_EEPKiS8_PKS5_SA_S6_PS5_21rocsparse_index_base_b,comdat
.Lfunc_end301:
	.size	_ZN9rocsparseL19gebsrmvn_2xn_kernelILj128ELj16ELj32E21rocsparse_complex_numIdEEEvi20rocsparse_direction_NS_24const_host_device_scalarIT2_EEPKiS8_PKS5_SA_S6_PS5_21rocsparse_index_base_b, .Lfunc_end301-_ZN9rocsparseL19gebsrmvn_2xn_kernelILj128ELj16ELj32E21rocsparse_complex_numIdEEEvi20rocsparse_direction_NS_24const_host_device_scalarIT2_EEPKiS8_PKS5_SA_S6_PS5_21rocsparse_index_base_b
                                        ; -- End function
	.set _ZN9rocsparseL19gebsrmvn_2xn_kernelILj128ELj16ELj32E21rocsparse_complex_numIdEEEvi20rocsparse_direction_NS_24const_host_device_scalarIT2_EEPKiS8_PKS5_SA_S6_PS5_21rocsparse_index_base_b.num_vgpr, 59
	.set _ZN9rocsparseL19gebsrmvn_2xn_kernelILj128ELj16ELj32E21rocsparse_complex_numIdEEEvi20rocsparse_direction_NS_24const_host_device_scalarIT2_EEPKiS8_PKS5_SA_S6_PS5_21rocsparse_index_base_b.num_agpr, 0
	.set _ZN9rocsparseL19gebsrmvn_2xn_kernelILj128ELj16ELj32E21rocsparse_complex_numIdEEEvi20rocsparse_direction_NS_24const_host_device_scalarIT2_EEPKiS8_PKS5_SA_S6_PS5_21rocsparse_index_base_b.numbered_sgpr, 20
	.set _ZN9rocsparseL19gebsrmvn_2xn_kernelILj128ELj16ELj32E21rocsparse_complex_numIdEEEvi20rocsparse_direction_NS_24const_host_device_scalarIT2_EEPKiS8_PKS5_SA_S6_PS5_21rocsparse_index_base_b.num_named_barrier, 0
	.set _ZN9rocsparseL19gebsrmvn_2xn_kernelILj128ELj16ELj32E21rocsparse_complex_numIdEEEvi20rocsparse_direction_NS_24const_host_device_scalarIT2_EEPKiS8_PKS5_SA_S6_PS5_21rocsparse_index_base_b.private_seg_size, 0
	.set _ZN9rocsparseL19gebsrmvn_2xn_kernelILj128ELj16ELj32E21rocsparse_complex_numIdEEEvi20rocsparse_direction_NS_24const_host_device_scalarIT2_EEPKiS8_PKS5_SA_S6_PS5_21rocsparse_index_base_b.uses_vcc, 1
	.set _ZN9rocsparseL19gebsrmvn_2xn_kernelILj128ELj16ELj32E21rocsparse_complex_numIdEEEvi20rocsparse_direction_NS_24const_host_device_scalarIT2_EEPKiS8_PKS5_SA_S6_PS5_21rocsparse_index_base_b.uses_flat_scratch, 0
	.set _ZN9rocsparseL19gebsrmvn_2xn_kernelILj128ELj16ELj32E21rocsparse_complex_numIdEEEvi20rocsparse_direction_NS_24const_host_device_scalarIT2_EEPKiS8_PKS5_SA_S6_PS5_21rocsparse_index_base_b.has_dyn_sized_stack, 0
	.set _ZN9rocsparseL19gebsrmvn_2xn_kernelILj128ELj16ELj32E21rocsparse_complex_numIdEEEvi20rocsparse_direction_NS_24const_host_device_scalarIT2_EEPKiS8_PKS5_SA_S6_PS5_21rocsparse_index_base_b.has_recursion, 0
	.set _ZN9rocsparseL19gebsrmvn_2xn_kernelILj128ELj16ELj32E21rocsparse_complex_numIdEEEvi20rocsparse_direction_NS_24const_host_device_scalarIT2_EEPKiS8_PKS5_SA_S6_PS5_21rocsparse_index_base_b.has_indirect_call, 0
	.section	.AMDGPU.csdata,"",@progbits
; Kernel info:
; codeLenInByte = 2512
; TotalNumSgprs: 24
; NumVgprs: 59
; ScratchSize: 0
; MemoryBound: 1
; FloatMode: 240
; IeeeMode: 1
; LDSByteSize: 0 bytes/workgroup (compile time only)
; SGPRBlocks: 2
; VGPRBlocks: 14
; NumSGPRsForWavesPerEU: 24
; NumVGPRsForWavesPerEU: 59
; Occupancy: 4
; WaveLimiterHint : 1
; COMPUTE_PGM_RSRC2:SCRATCH_EN: 0
; COMPUTE_PGM_RSRC2:USER_SGPR: 6
; COMPUTE_PGM_RSRC2:TRAP_HANDLER: 0
; COMPUTE_PGM_RSRC2:TGID_X_EN: 1
; COMPUTE_PGM_RSRC2:TGID_Y_EN: 0
; COMPUTE_PGM_RSRC2:TGID_Z_EN: 0
; COMPUTE_PGM_RSRC2:TIDIG_COMP_CNT: 0
	.section	.text._ZN9rocsparseL19gebsrmvn_2xn_kernelILj128ELj16ELj64E21rocsparse_complex_numIdEEEvi20rocsparse_direction_NS_24const_host_device_scalarIT2_EEPKiS8_PKS5_SA_S6_PS5_21rocsparse_index_base_b,"axG",@progbits,_ZN9rocsparseL19gebsrmvn_2xn_kernelILj128ELj16ELj64E21rocsparse_complex_numIdEEEvi20rocsparse_direction_NS_24const_host_device_scalarIT2_EEPKiS8_PKS5_SA_S6_PS5_21rocsparse_index_base_b,comdat
	.globl	_ZN9rocsparseL19gebsrmvn_2xn_kernelILj128ELj16ELj64E21rocsparse_complex_numIdEEEvi20rocsparse_direction_NS_24const_host_device_scalarIT2_EEPKiS8_PKS5_SA_S6_PS5_21rocsparse_index_base_b ; -- Begin function _ZN9rocsparseL19gebsrmvn_2xn_kernelILj128ELj16ELj64E21rocsparse_complex_numIdEEEvi20rocsparse_direction_NS_24const_host_device_scalarIT2_EEPKiS8_PKS5_SA_S6_PS5_21rocsparse_index_base_b
	.p2align	8
	.type	_ZN9rocsparseL19gebsrmvn_2xn_kernelILj128ELj16ELj64E21rocsparse_complex_numIdEEEvi20rocsparse_direction_NS_24const_host_device_scalarIT2_EEPKiS8_PKS5_SA_S6_PS5_21rocsparse_index_base_b,@function
_ZN9rocsparseL19gebsrmvn_2xn_kernelILj128ELj16ELj64E21rocsparse_complex_numIdEEEvi20rocsparse_direction_NS_24const_host_device_scalarIT2_EEPKiS8_PKS5_SA_S6_PS5_21rocsparse_index_base_b: ; @_ZN9rocsparseL19gebsrmvn_2xn_kernelILj128ELj16ELj64E21rocsparse_complex_numIdEEEvi20rocsparse_direction_NS_24const_host_device_scalarIT2_EEPKiS8_PKS5_SA_S6_PS5_21rocsparse_index_base_b
; %bb.0:
	s_load_dwordx2 s[0:1], s[4:5], 0x8
	s_load_dwordx2 s[2:3], s[4:5], 0x38
	;; [unrolled: 1-line block ×3, first 2 shown]
	s_add_u32 s7, s4, 8
	s_addc_u32 s8, s5, 0
	s_add_u32 s9, s4, 56
	s_addc_u32 s10, s5, 0
	s_waitcnt lgkmcnt(0)
	s_bitcmp1_b32 s17, 0
	s_cselect_b32 s1, s8, s1
	s_cselect_b32 s0, s7, s0
	v_mov_b32_e32 v1, s0
	v_mov_b32_e32 v2, s1
	flat_load_dwordx4 v[1:4], v[1:2]
	s_cselect_b32 s0, s10, s3
	s_cselect_b32 s1, s9, s2
	v_mov_b32_e32 v5, s1
	v_mov_b32_e32 v6, s0
	flat_load_dwordx4 v[5:8], v[5:6]
	s_waitcnt vmcnt(0) lgkmcnt(0)
	v_cmp_eq_f64_e32 vcc, 0, v[1:2]
	v_cmp_eq_f64_e64 s[0:1], 0, v[3:4]
	s_and_b64 s[8:9], vcc, s[0:1]
	s_mov_b64 s[0:1], -1
	s_and_saveexec_b64 s[2:3], s[8:9]
	s_cbranch_execz .LBB302_2
; %bb.1:
	v_cmp_neq_f64_e32 vcc, 1.0, v[5:6]
	v_cmp_neq_f64_e64 s[0:1], 0, v[7:8]
	s_or_b64 s[0:1], vcc, s[0:1]
	s_orn2_b64 s[0:1], s[0:1], exec
.LBB302_2:
	s_or_b64 exec, exec, s[2:3]
	s_and_saveexec_b64 s[2:3], s[0:1]
	s_cbranch_execz .LBB302_25
; %bb.3:
	s_load_dwordx2 s[0:1], s[4:5], 0x0
	v_lshrrev_b32_e32 v9, 6, v0
	v_lshl_or_b32 v9, s6, 1, v9
	s_waitcnt lgkmcnt(0)
	v_cmp_gt_i32_e32 vcc, s0, v9
	s_and_b64 exec, exec, vcc
	s_cbranch_execz .LBB302_25
; %bb.4:
	s_load_dwordx8 s[8:15], s[4:5], 0x18
	v_ashrrev_i32_e32 v10, 31, v9
	v_lshlrev_b64 v[10:11], 2, v[9:10]
	v_and_b32_e32 v0, 63, v0
	s_cmp_lg_u32 s1, 0
	s_waitcnt lgkmcnt(0)
	v_mov_b32_e32 v12, s9
	v_add_co_u32_e32 v10, vcc, s8, v10
	v_addc_co_u32_e32 v11, vcc, v12, v11, vcc
	global_load_dwordx2 v[10:11], v[10:11], off
	s_waitcnt vmcnt(0)
	v_subrev_u32_e32 v10, s16, v10
	v_subrev_u32_e32 v28, s16, v11
	v_add_u32_e32 v10, v10, v0
	v_cmp_lt_i32_e64 s[0:1], v10, v28
	s_cbranch_scc0 .LBB302_12
; %bb.5:
	v_mov_b32_e32 v16, 0
	v_mov_b32_e32 v18, 0
	;; [unrolled: 1-line block ×8, first 2 shown]
	s_and_saveexec_b64 s[6:7], s[0:1]
	s_cbranch_execz .LBB302_11
; %bb.6:
	s_add_u32 s17, s12, 16
	v_lshlrev_b32_e32 v20, 5, v10
	s_addc_u32 s2, s13, 0
	v_mov_b32_e32 v16, 0
	v_mov_b32_e32 v18, 0
	;; [unrolled: 1-line block ×4, first 2 shown]
	v_or_b32_e32 v11, 6, v20
	v_mov_b32_e32 v17, 0
	s_mov_b64 s[8:9], 0
	v_mov_b32_e32 v22, 0
	v_mov_b32_e32 v29, s2
	;; [unrolled: 1-line block ×8, first 2 shown]
.LBB302_7:                              ; =>This Loop Header: Depth=1
                                        ;     Child Loop BB302_8 Depth 2
	v_ashrrev_i32_e32 v24, 31, v23
	v_lshlrev_b64 v[24:25], 2, v[23:24]
	v_mov_b32_e32 v21, v22
	v_add_co_u32_e32 v24, vcc, s10, v24
	v_addc_co_u32_e32 v25, vcc, v30, v25, vcc
	global_load_dword v25, v[24:25], off
	v_lshlrev_b64 v[26:27], 4, v[20:21]
	v_mov_b32_e32 v24, v11
	v_add_co_u32_e32 v26, vcc, s17, v26
	v_addc_co_u32_e32 v27, vcc, v29, v27, vcc
	s_mov_b64 s[18:19], 0
	s_waitcnt vmcnt(0)
	v_subrev_u32_e32 v21, s16, v25
	v_lshlrev_b32_e32 v21, 4, v21
	v_lshlrev_b64 v[32:33], 4, v[21:22]
	v_add_co_u32_e32 v32, vcc, s14, v32
	v_addc_co_u32_e32 v33, vcc, v31, v33, vcc
.LBB302_8:                              ;   Parent Loop BB302_7 Depth=1
                                        ; =>  This Inner Loop Header: Depth=2
	v_mov_b32_e32 v42, s19
	v_add_co_u32_e32 v46, vcc, s18, v32
	v_addc_co_u32_e32 v47, vcc, v33, v42, vcc
	global_load_dwordx4 v[34:37], v[26:27], off
	global_load_dwordx4 v[38:41], v[26:27], off offset:-16
	global_load_dwordx4 v[42:45], v[46:47], off
	v_add_u32_e32 v21, -4, v24
	v_lshlrev_b64 v[48:49], 4, v[21:22]
	v_mov_b32_e32 v58, s13
	v_add_u32_e32 v21, -2, v24
	v_mov_b32_e32 v25, v22
	v_lshlrev_b64 v[50:51], 4, v[24:25]
	s_add_u32 s18, s18, 64
	s_addc_u32 s19, s19, 0
	v_add_u32_e32 v24, 8, v24
	s_cmpk_eq_i32 s18, 0x100
	s_waitcnt vmcnt(0)
	v_fma_f64 v[18:19], v[38:39], v[42:43], v[18:19]
	v_fma_f64 v[16:17], v[40:41], v[42:43], v[16:17]
	;; [unrolled: 1-line block ×4, first 2 shown]
	v_fma_f64 v[52:53], -v[40:41], v[44:45], v[18:19]
	v_fma_f64 v[54:55], v[38:39], v[44:45], v[16:17]
	global_load_dwordx4 v[16:19], v[46:47], off offset:16
	v_fma_f64 v[42:43], -v[36:37], v[44:45], v[12:13]
	v_fma_f64 v[44:45], v[34:35], v[44:45], v[14:15]
	global_load_dwordx4 v[12:15], v[46:47], off offset:48
	global_load_dwordx4 v[34:37], v[46:47], off offset:32
	v_add_co_u32_e32 v46, vcc, s12, v48
	v_addc_co_u32_e32 v47, vcc, v58, v49, vcc
	global_load_dwordx4 v[38:41], v[46:47], off
	v_add_co_u32_e32 v50, vcc, s12, v50
	v_addc_co_u32_e32 v51, vcc, v58, v51, vcc
	v_add_co_u32_e32 v26, vcc, 0x80, v26
	v_addc_co_u32_e32 v27, vcc, 0, v27, vcc
	s_waitcnt vmcnt(0)
	v_fma_f64 v[48:49], v[38:39], v[16:17], v[52:53]
	v_fma_f64 v[52:53], v[40:41], v[16:17], v[54:55]
	v_lshlrev_b64 v[54:55], 4, v[21:22]
	v_fma_f64 v[48:49], -v[40:41], v[18:19], v[48:49]
	v_fma_f64 v[52:53], v[38:39], v[18:19], v[52:53]
	global_load_dwordx4 v[38:41], v[46:47], off offset:16
	s_waitcnt vmcnt(0)
	v_fma_f64 v[42:43], v[38:39], v[16:17], v[42:43]
	v_fma_f64 v[16:17], v[40:41], v[16:17], v[44:45]
	v_fma_f64 v[46:47], -v[40:41], v[18:19], v[42:43]
	v_add_co_u32_e64 v42, s[2:3], s12, v54
	v_addc_co_u32_e64 v43, s[2:3], v58, v55, s[2:3]
	v_fma_f64 v[56:57], v[38:39], v[18:19], v[16:17]
	global_load_dwordx4 v[16:19], v[42:43], off
	global_load_dwordx4 v[38:41], v[42:43], off offset:16
	s_waitcnt vmcnt(1)
	v_fma_f64 v[42:43], v[16:17], v[34:35], v[48:49]
	v_fma_f64 v[44:45], v[18:19], v[34:35], v[52:53]
	s_waitcnt vmcnt(0)
	v_fma_f64 v[46:47], v[38:39], v[34:35], v[46:47]
	v_fma_f64 v[34:35], v[40:41], v[34:35], v[56:57]
	v_fma_f64 v[48:49], -v[18:19], v[36:37], v[42:43]
	v_fma_f64 v[52:53], v[16:17], v[36:37], v[44:45]
	global_load_dwordx4 v[16:19], v[50:51], off
	global_load_dwordx4 v[42:45], v[50:51], off offset:16
	v_fma_f64 v[40:41], -v[40:41], v[36:37], v[46:47]
	v_fma_f64 v[34:35], v[38:39], v[36:37], v[34:35]
	s_waitcnt vmcnt(1)
	v_fma_f64 v[36:37], v[16:17], v[12:13], v[48:49]
	v_fma_f64 v[38:39], v[18:19], v[12:13], v[52:53]
	s_waitcnt vmcnt(0)
	v_fma_f64 v[40:41], v[42:43], v[12:13], v[40:41]
	v_fma_f64 v[34:35], v[44:45], v[12:13], v[34:35]
	v_fma_f64 v[18:19], -v[18:19], v[14:15], v[36:37]
	v_fma_f64 v[16:17], v[16:17], v[14:15], v[38:39]
	v_fma_f64 v[12:13], -v[44:45], v[14:15], v[40:41]
	v_fma_f64 v[14:15], v[42:43], v[14:15], v[34:35]
	s_cbranch_scc0 .LBB302_8
; %bb.9:                                ;   in Loop: Header=BB302_7 Depth=1
	v_add_u32_e32 v23, 64, v23
	v_cmp_ge_i32_e32 vcc, v23, v28
	v_add_u32_e32 v11, 0x800, v11
	s_or_b64 s[8:9], vcc, s[8:9]
	v_add_u32_e32 v20, 0x800, v20
	s_andn2_b64 exec, exec, s[8:9]
	s_cbranch_execnz .LBB302_7
; %bb.10:
	s_or_b64 exec, exec, s[8:9]
.LBB302_11:
	s_or_b64 exec, exec, s[6:7]
	s_cbranch_execz .LBB302_13
	s_branch .LBB302_20
.LBB302_12:
                                        ; implicit-def: $vgpr16_vgpr17
                                        ; implicit-def: $vgpr18_vgpr19
                                        ; implicit-def: $vgpr12_vgpr13
                                        ; implicit-def: $vgpr14_vgpr15
.LBB302_13:
	v_mov_b32_e32 v16, 0
	v_mov_b32_e32 v18, 0
	;; [unrolled: 1-line block ×8, first 2 shown]
	s_and_saveexec_b64 s[2:3], s[0:1]
	s_cbranch_execz .LBB302_19
; %bb.14:
	v_mov_b32_e32 v16, 0
	v_mov_b32_e32 v18, 0
	;; [unrolled: 1-line block ×4, first 2 shown]
	v_lshlrev_b32_e32 v20, 5, v10
	v_mov_b32_e32 v17, 0
	s_mov_b64 s[6:7], 0
	v_mov_b32_e32 v21, 0
	v_mov_b32_e32 v22, s13
	;; [unrolled: 1-line block ×7, first 2 shown]
.LBB302_15:                             ; =>This Loop Header: Depth=1
                                        ;     Child Loop BB302_16 Depth 2
	v_ashrrev_i32_e32 v11, 31, v10
	v_lshlrev_b64 v[25:26], 2, v[10:11]
	v_mov_b32_e32 v27, v21
	v_add_co_u32_e32 v25, vcc, s10, v25
	v_addc_co_u32_e32 v26, vcc, v23, v26, vcc
	global_load_dword v29, v[25:26], off
	v_lshlrev_b64 v[25:26], 4, v[20:21]
	s_mov_b64 s[8:9], 0
	v_add_co_u32_e32 v11, vcc, s12, v25
	v_addc_co_u32_e32 v25, vcc, v22, v26, vcc
	s_waitcnt vmcnt(0)
	v_subrev_u32_e32 v26, s16, v29
	v_lshlrev_b32_e32 v26, 4, v26
	v_lshlrev_b64 v[26:27], 4, v[26:27]
	v_add_co_u32_e32 v26, vcc, s14, v26
	v_addc_co_u32_e32 v27, vcc, v24, v27, vcc
.LBB302_16:                             ;   Parent Loop BB302_15 Depth=1
                                        ; =>  This Inner Loop Header: Depth=2
	v_mov_b32_e32 v29, s9
	v_add_co_u32_e64 v43, s[0:1], s8, v11
	v_add_co_u32_e32 v41, vcc, s8, v26
	v_addc_co_u32_e64 v44, s[0:1], v25, v29, s[0:1]
	v_addc_co_u32_e32 v42, vcc, v27, v29, vcc
	global_load_dwordx4 v[29:32], v[43:44], off
	global_load_dwordx4 v[33:36], v[41:42], off
	global_load_dwordx4 v[37:40], v[43:44], off offset:256
	s_add_u32 s8, s8, 64
	s_addc_u32 s9, s9, 0
	s_cmpk_eq_i32 s8, 0x100
	s_waitcnt vmcnt(1)
	v_fma_f64 v[18:19], v[29:30], v[33:34], v[18:19]
	v_fma_f64 v[16:17], v[31:32], v[33:34], v[16:17]
	s_waitcnt vmcnt(0)
	v_fma_f64 v[12:13], v[37:38], v[33:34], v[12:13]
	v_fma_f64 v[14:15], v[39:40], v[33:34], v[14:15]
	v_fma_f64 v[45:46], -v[31:32], v[35:36], v[18:19]
	v_fma_f64 v[47:48], v[29:30], v[35:36], v[16:17]
	global_load_dwordx4 v[16:19], v[43:44], off offset:16
	v_fma_f64 v[33:34], -v[39:40], v[35:36], v[12:13]
	v_fma_f64 v[35:36], v[37:38], v[35:36], v[14:15]
	global_load_dwordx4 v[12:15], v[41:42], off offset:16
	global_load_dwordx4 v[29:32], v[43:44], off offset:272
	s_waitcnt vmcnt(1)
	v_fma_f64 v[37:38], v[16:17], v[12:13], v[45:46]
	v_fma_f64 v[39:40], v[18:19], v[12:13], v[47:48]
	s_waitcnt vmcnt(0)
	v_fma_f64 v[33:34], v[29:30], v[12:13], v[33:34]
	v_fma_f64 v[12:13], v[31:32], v[12:13], v[35:36]
	v_fma_f64 v[37:38], -v[18:19], v[14:15], v[37:38]
	v_fma_f64 v[39:40], v[16:17], v[14:15], v[39:40]
	global_load_dwordx4 v[16:19], v[43:44], off offset:32
	v_fma_f64 v[33:34], -v[31:32], v[14:15], v[33:34]
	v_fma_f64 v[35:36], v[29:30], v[14:15], v[12:13]
	global_load_dwordx4 v[12:15], v[41:42], off offset:32
	global_load_dwordx4 v[29:32], v[43:44], off offset:288
	;; [unrolled: 13-line block ×3, first 2 shown]
	s_waitcnt vmcnt(1)
	v_fma_f64 v[37:38], v[16:17], v[12:13], v[37:38]
	v_fma_f64 v[39:40], v[18:19], v[12:13], v[39:40]
	s_waitcnt vmcnt(0)
	v_fma_f64 v[33:34], v[29:30], v[12:13], v[33:34]
	v_fma_f64 v[35:36], v[31:32], v[12:13], v[35:36]
	v_fma_f64 v[18:19], -v[18:19], v[14:15], v[37:38]
	v_fma_f64 v[16:17], v[16:17], v[14:15], v[39:40]
	v_fma_f64 v[12:13], -v[31:32], v[14:15], v[33:34]
	v_fma_f64 v[14:15], v[29:30], v[14:15], v[35:36]
	s_cbranch_scc0 .LBB302_16
; %bb.17:                               ;   in Loop: Header=BB302_15 Depth=1
	v_add_u32_e32 v10, 64, v10
	v_cmp_ge_i32_e32 vcc, v10, v28
	s_or_b64 s[6:7], vcc, s[6:7]
	v_add_u32_e32 v20, 0x800, v20
	s_andn2_b64 exec, exec, s[6:7]
	s_cbranch_execnz .LBB302_15
; %bb.18:
	s_or_b64 exec, exec, s[6:7]
.LBB302_19:
	s_or_b64 exec, exec, s[2:3]
.LBB302_20:
	v_mov_b32_dpp v10, v18 row_shr:1 row_mask:0xf bank_mask:0xf
	v_mov_b32_dpp v11, v19 row_shr:1 row_mask:0xf bank_mask:0xf
	v_add_f64 v[10:11], v[18:19], v[10:11]
	v_mov_b32_dpp v18, v16 row_shr:1 row_mask:0xf bank_mask:0xf
	v_mov_b32_dpp v19, v17 row_shr:1 row_mask:0xf bank_mask:0xf
	v_add_f64 v[16:17], v[16:17], v[18:19]
	;; [unrolled: 3-line block ×3, first 2 shown]
	v_cmp_eq_u32_e32 vcc, 63, v0
	v_mov_b32_dpp v18, v10 row_shr:2 row_mask:0xf bank_mask:0xf
	v_mov_b32_dpp v19, v11 row_shr:2 row_mask:0xf bank_mask:0xf
	v_add_f64 v[10:11], v[10:11], v[18:19]
	v_mov_b32_dpp v18, v12 row_shr:1 row_mask:0xf bank_mask:0xf
	v_mov_b32_dpp v19, v13 row_shr:1 row_mask:0xf bank_mask:0xf
	v_add_f64 v[12:13], v[12:13], v[18:19]
	v_mov_b32_dpp v18, v16 row_shr:2 row_mask:0xf bank_mask:0xf
	v_mov_b32_dpp v19, v10 row_shr:4 row_mask:0xf bank_mask:0xe
	v_mov_b32_dpp v20, v11 row_shr:4 row_mask:0xf bank_mask:0xe
	v_add_f64 v[10:11], v[10:11], v[19:20]
	v_mov_b32_dpp v19, v17 row_shr:2 row_mask:0xf bank_mask:0xf
	;; [unrolled: 4-line block ×3, first 2 shown]
	v_add_f64 v[12:13], v[12:13], v[20:21]
	v_mov_b32_dpp v19, v15 row_shr:2 row_mask:0xf bank_mask:0xf
	v_add_f64 v[14:15], v[14:15], v[18:19]
	v_mov_b32_dpp v20, v10 row_shr:8 row_mask:0xf bank_mask:0xc
	v_mov_b32_dpp v21, v11 row_shr:8 row_mask:0xf bank_mask:0xc
	v_add_f64 v[10:11], v[10:11], v[20:21]
	v_mov_b32_dpp v18, v16 row_shr:4 row_mask:0xf bank_mask:0xe
	v_mov_b32_dpp v19, v17 row_shr:4 row_mask:0xf bank_mask:0xe
	v_mov_b32_dpp v20, v12 row_shr:4 row_mask:0xf bank_mask:0xe
	v_add_f64 v[16:17], v[16:17], v[18:19]
	v_mov_b32_dpp v21, v13 row_shr:4 row_mask:0xf bank_mask:0xe
	v_add_f64 v[12:13], v[12:13], v[20:21]
	v_mov_b32_dpp v19, v14 row_shr:4 row_mask:0xf bank_mask:0xe
	v_mov_b32_dpp v20, v15 row_shr:4 row_mask:0xf bank_mask:0xe
	v_add_f64 v[14:15], v[14:15], v[19:20]
	v_mov_b32_dpp v18, v10 row_bcast:15 row_mask:0xa bank_mask:0xf
	v_mov_b32_dpp v19, v11 row_bcast:15 row_mask:0xa bank_mask:0xf
	v_mov_b32_dpp v20, v16 row_shr:8 row_mask:0xf bank_mask:0xc
	v_mov_b32_dpp v21, v17 row_shr:8 row_mask:0xf bank_mask:0xc
	v_add_f64 v[16:17], v[16:17], v[20:21]
	v_mov_b32_dpp v20, v12 row_shr:8 row_mask:0xf bank_mask:0xc
	v_mov_b32_dpp v21, v13 row_shr:8 row_mask:0xf bank_mask:0xc
	v_add_f64 v[20:21], v[12:13], v[20:21]
	;; [unrolled: 3-line block ×3, first 2 shown]
	v_add_f64 v[10:11], v[10:11], v[18:19]
	v_mov_b32_dpp v12, v16 row_bcast:15 row_mask:0xa bank_mask:0xf
	v_mov_b32_dpp v13, v17 row_bcast:15 row_mask:0xa bank_mask:0xf
	v_add_f64 v[12:13], v[16:17], v[12:13]
	v_mov_b32_dpp v16, v20 row_bcast:15 row_mask:0xa bank_mask:0xf
	v_mov_b32_dpp v17, v21 row_bcast:15 row_mask:0xa bank_mask:0xf
	;; [unrolled: 3-line block ×4, first 2 shown]
	v_mov_b32_dpp v16, v12 row_bcast:31 row_mask:0xc bank_mask:0xf
	v_mov_b32_dpp v17, v13 row_bcast:31 row_mask:0xc bank_mask:0xf
	;; [unrolled: 1-line block ×6, first 2 shown]
	s_and_b64 exec, exec, vcc
	s_cbranch_execz .LBB302_25
; %bb.21:
	v_cmp_eq_f64_e32 vcc, 0, v[5:6]
	v_cmp_eq_f64_e64 s[0:1], 0, v[7:8]
	v_add_f64 v[10:11], v[10:11], v[24:25]
	v_add_f64 v[16:17], v[12:13], v[16:17]
	;; [unrolled: 1-line block ×4, first 2 shown]
	s_load_dwordx2 s[2:3], s[4:5], 0x48
	s_and_b64 s[0:1], vcc, s[0:1]
	s_and_saveexec_b64 s[4:5], s[0:1]
	s_xor_b64 s[0:1], exec, s[4:5]
	s_cbranch_execz .LBB302_23
; %bb.22:
	v_mul_f64 v[5:6], v[16:17], -v[3:4]
	v_mul_f64 v[7:8], v[1:2], v[16:17]
	v_mul_f64 v[16:17], v[14:15], -v[3:4]
	v_mul_f64 v[14:15], v[1:2], v[14:15]
	v_lshlrev_b32_e32 v9, 1, v9
	s_waitcnt lgkmcnt(0)
	v_mov_b32_e32 v18, s3
	v_fma_f64 v[5:6], v[1:2], v[10:11], v[5:6]
	v_fma_f64 v[7:8], v[3:4], v[10:11], v[7:8]
	;; [unrolled: 1-line block ×4, first 2 shown]
	v_ashrrev_i32_e32 v10, 31, v9
	v_lshlrev_b64 v[9:10], 4, v[9:10]
                                        ; implicit-def: $vgpr16_vgpr17
                                        ; implicit-def: $vgpr12_vgpr13
                                        ; implicit-def: $vgpr14_vgpr15
	v_add_co_u32_e32 v9, vcc, s2, v9
	v_addc_co_u32_e32 v10, vcc, v18, v10, vcc
	global_store_dwordx4 v[9:10], v[5:8], off
	global_store_dwordx4 v[9:10], v[0:3], off offset:16
                                        ; implicit-def: $vgpr9
                                        ; implicit-def: $vgpr10_vgpr11
                                        ; implicit-def: $vgpr7_vgpr8
                                        ; implicit-def: $vgpr3_vgpr4
.LBB302_23:
	s_andn2_saveexec_b64 s[0:1], s[0:1]
	s_cbranch_execz .LBB302_25
; %bb.24:
	v_lshlrev_b32_e32 v18, 1, v9
	v_ashrrev_i32_e32 v19, 31, v18
	v_lshlrev_b64 v[18:19], 4, v[18:19]
	s_waitcnt lgkmcnt(0)
	v_mov_b32_e32 v0, s3
	v_add_co_u32_e32 v26, vcc, s2, v18
	v_addc_co_u32_e32 v27, vcc, v0, v19, vcc
	global_load_dwordx4 v[18:21], v[26:27], off
	global_load_dwordx4 v[22:25], v[26:27], off offset:16
	v_mul_f64 v[28:29], v[16:17], -v[3:4]
	v_mul_f64 v[16:17], v[1:2], v[16:17]
	v_mul_f64 v[30:31], v[14:15], -v[3:4]
	v_mul_f64 v[14:15], v[1:2], v[14:15]
	v_fma_f64 v[28:29], v[1:2], v[10:11], v[28:29]
	v_fma_f64 v[9:10], v[3:4], v[10:11], v[16:17]
	;; [unrolled: 1-line block ×4, first 2 shown]
	s_waitcnt vmcnt(1)
	v_fma_f64 v[11:12], v[5:6], v[18:19], v[28:29]
	v_fma_f64 v[9:10], v[7:8], v[18:19], v[9:10]
	s_waitcnt vmcnt(0)
	v_fma_f64 v[13:14], v[5:6], v[22:23], v[0:1]
	v_fma_f64 v[15:16], v[7:8], v[22:23], v[2:3]
	v_fma_f64 v[0:1], -v[7:8], v[20:21], v[11:12]
	v_fma_f64 v[2:3], v[5:6], v[20:21], v[9:10]
	v_fma_f64 v[7:8], -v[7:8], v[24:25], v[13:14]
	v_fma_f64 v[9:10], v[5:6], v[24:25], v[15:16]
	global_store_dwordx4 v[26:27], v[0:3], off
	global_store_dwordx4 v[26:27], v[7:10], off offset:16
.LBB302_25:
	s_endpgm
	.section	.rodata,"a",@progbits
	.p2align	6, 0x0
	.amdhsa_kernel _ZN9rocsparseL19gebsrmvn_2xn_kernelILj128ELj16ELj64E21rocsparse_complex_numIdEEEvi20rocsparse_direction_NS_24const_host_device_scalarIT2_EEPKiS8_PKS5_SA_S6_PS5_21rocsparse_index_base_b
		.amdhsa_group_segment_fixed_size 0
		.amdhsa_private_segment_fixed_size 0
		.amdhsa_kernarg_size 88
		.amdhsa_user_sgpr_count 6
		.amdhsa_user_sgpr_private_segment_buffer 1
		.amdhsa_user_sgpr_dispatch_ptr 0
		.amdhsa_user_sgpr_queue_ptr 0
		.amdhsa_user_sgpr_kernarg_segment_ptr 1
		.amdhsa_user_sgpr_dispatch_id 0
		.amdhsa_user_sgpr_flat_scratch_init 0
		.amdhsa_user_sgpr_private_segment_size 0
		.amdhsa_uses_dynamic_stack 0
		.amdhsa_system_sgpr_private_segment_wavefront_offset 0
		.amdhsa_system_sgpr_workgroup_id_x 1
		.amdhsa_system_sgpr_workgroup_id_y 0
		.amdhsa_system_sgpr_workgroup_id_z 0
		.amdhsa_system_sgpr_workgroup_info 0
		.amdhsa_system_vgpr_workitem_id 0
		.amdhsa_next_free_vgpr 59
		.amdhsa_next_free_sgpr 20
		.amdhsa_reserve_vcc 1
		.amdhsa_reserve_flat_scratch 0
		.amdhsa_float_round_mode_32 0
		.amdhsa_float_round_mode_16_64 0
		.amdhsa_float_denorm_mode_32 3
		.amdhsa_float_denorm_mode_16_64 3
		.amdhsa_dx10_clamp 1
		.amdhsa_ieee_mode 1
		.amdhsa_fp16_overflow 0
		.amdhsa_exception_fp_ieee_invalid_op 0
		.amdhsa_exception_fp_denorm_src 0
		.amdhsa_exception_fp_ieee_div_zero 0
		.amdhsa_exception_fp_ieee_overflow 0
		.amdhsa_exception_fp_ieee_underflow 0
		.amdhsa_exception_fp_ieee_inexact 0
		.amdhsa_exception_int_div_zero 0
	.end_amdhsa_kernel
	.section	.text._ZN9rocsparseL19gebsrmvn_2xn_kernelILj128ELj16ELj64E21rocsparse_complex_numIdEEEvi20rocsparse_direction_NS_24const_host_device_scalarIT2_EEPKiS8_PKS5_SA_S6_PS5_21rocsparse_index_base_b,"axG",@progbits,_ZN9rocsparseL19gebsrmvn_2xn_kernelILj128ELj16ELj64E21rocsparse_complex_numIdEEEvi20rocsparse_direction_NS_24const_host_device_scalarIT2_EEPKiS8_PKS5_SA_S6_PS5_21rocsparse_index_base_b,comdat
.Lfunc_end302:
	.size	_ZN9rocsparseL19gebsrmvn_2xn_kernelILj128ELj16ELj64E21rocsparse_complex_numIdEEEvi20rocsparse_direction_NS_24const_host_device_scalarIT2_EEPKiS8_PKS5_SA_S6_PS5_21rocsparse_index_base_b, .Lfunc_end302-_ZN9rocsparseL19gebsrmvn_2xn_kernelILj128ELj16ELj64E21rocsparse_complex_numIdEEEvi20rocsparse_direction_NS_24const_host_device_scalarIT2_EEPKiS8_PKS5_SA_S6_PS5_21rocsparse_index_base_b
                                        ; -- End function
	.set _ZN9rocsparseL19gebsrmvn_2xn_kernelILj128ELj16ELj64E21rocsparse_complex_numIdEEEvi20rocsparse_direction_NS_24const_host_device_scalarIT2_EEPKiS8_PKS5_SA_S6_PS5_21rocsparse_index_base_b.num_vgpr, 59
	.set _ZN9rocsparseL19gebsrmvn_2xn_kernelILj128ELj16ELj64E21rocsparse_complex_numIdEEEvi20rocsparse_direction_NS_24const_host_device_scalarIT2_EEPKiS8_PKS5_SA_S6_PS5_21rocsparse_index_base_b.num_agpr, 0
	.set _ZN9rocsparseL19gebsrmvn_2xn_kernelILj128ELj16ELj64E21rocsparse_complex_numIdEEEvi20rocsparse_direction_NS_24const_host_device_scalarIT2_EEPKiS8_PKS5_SA_S6_PS5_21rocsparse_index_base_b.numbered_sgpr, 20
	.set _ZN9rocsparseL19gebsrmvn_2xn_kernelILj128ELj16ELj64E21rocsparse_complex_numIdEEEvi20rocsparse_direction_NS_24const_host_device_scalarIT2_EEPKiS8_PKS5_SA_S6_PS5_21rocsparse_index_base_b.num_named_barrier, 0
	.set _ZN9rocsparseL19gebsrmvn_2xn_kernelILj128ELj16ELj64E21rocsparse_complex_numIdEEEvi20rocsparse_direction_NS_24const_host_device_scalarIT2_EEPKiS8_PKS5_SA_S6_PS5_21rocsparse_index_base_b.private_seg_size, 0
	.set _ZN9rocsparseL19gebsrmvn_2xn_kernelILj128ELj16ELj64E21rocsparse_complex_numIdEEEvi20rocsparse_direction_NS_24const_host_device_scalarIT2_EEPKiS8_PKS5_SA_S6_PS5_21rocsparse_index_base_b.uses_vcc, 1
	.set _ZN9rocsparseL19gebsrmvn_2xn_kernelILj128ELj16ELj64E21rocsparse_complex_numIdEEEvi20rocsparse_direction_NS_24const_host_device_scalarIT2_EEPKiS8_PKS5_SA_S6_PS5_21rocsparse_index_base_b.uses_flat_scratch, 0
	.set _ZN9rocsparseL19gebsrmvn_2xn_kernelILj128ELj16ELj64E21rocsparse_complex_numIdEEEvi20rocsparse_direction_NS_24const_host_device_scalarIT2_EEPKiS8_PKS5_SA_S6_PS5_21rocsparse_index_base_b.has_dyn_sized_stack, 0
	.set _ZN9rocsparseL19gebsrmvn_2xn_kernelILj128ELj16ELj64E21rocsparse_complex_numIdEEEvi20rocsparse_direction_NS_24const_host_device_scalarIT2_EEPKiS8_PKS5_SA_S6_PS5_21rocsparse_index_base_b.has_recursion, 0
	.set _ZN9rocsparseL19gebsrmvn_2xn_kernelILj128ELj16ELj64E21rocsparse_complex_numIdEEEvi20rocsparse_direction_NS_24const_host_device_scalarIT2_EEPKiS8_PKS5_SA_S6_PS5_21rocsparse_index_base_b.has_indirect_call, 0
	.section	.AMDGPU.csdata,"",@progbits
; Kernel info:
; codeLenInByte = 2608
; TotalNumSgprs: 24
; NumVgprs: 59
; ScratchSize: 0
; MemoryBound: 1
; FloatMode: 240
; IeeeMode: 1
; LDSByteSize: 0 bytes/workgroup (compile time only)
; SGPRBlocks: 2
; VGPRBlocks: 14
; NumSGPRsForWavesPerEU: 24
; NumVGPRsForWavesPerEU: 59
; Occupancy: 4
; WaveLimiterHint : 1
; COMPUTE_PGM_RSRC2:SCRATCH_EN: 0
; COMPUTE_PGM_RSRC2:USER_SGPR: 6
; COMPUTE_PGM_RSRC2:TRAP_HANDLER: 0
; COMPUTE_PGM_RSRC2:TGID_X_EN: 1
; COMPUTE_PGM_RSRC2:TGID_Y_EN: 0
; COMPUTE_PGM_RSRC2:TGID_Z_EN: 0
; COMPUTE_PGM_RSRC2:TIDIG_COMP_CNT: 0
	.section	.text._ZN9rocsparseL23gebsrmvn_general_kernelILj32ELj32E21rocsparse_complex_numIdEEEvi20rocsparse_direction_NS_24const_host_device_scalarIT1_EEPKiS8_PKS5_iiSA_S6_PS5_21rocsparse_index_base_b,"axG",@progbits,_ZN9rocsparseL23gebsrmvn_general_kernelILj32ELj32E21rocsparse_complex_numIdEEEvi20rocsparse_direction_NS_24const_host_device_scalarIT1_EEPKiS8_PKS5_iiSA_S6_PS5_21rocsparse_index_base_b,comdat
	.globl	_ZN9rocsparseL23gebsrmvn_general_kernelILj32ELj32E21rocsparse_complex_numIdEEEvi20rocsparse_direction_NS_24const_host_device_scalarIT1_EEPKiS8_PKS5_iiSA_S6_PS5_21rocsparse_index_base_b ; -- Begin function _ZN9rocsparseL23gebsrmvn_general_kernelILj32ELj32E21rocsparse_complex_numIdEEEvi20rocsparse_direction_NS_24const_host_device_scalarIT1_EEPKiS8_PKS5_iiSA_S6_PS5_21rocsparse_index_base_b
	.p2align	8
	.type	_ZN9rocsparseL23gebsrmvn_general_kernelILj32ELj32E21rocsparse_complex_numIdEEEvi20rocsparse_direction_NS_24const_host_device_scalarIT1_EEPKiS8_PKS5_iiSA_S6_PS5_21rocsparse_index_base_b,@function
_ZN9rocsparseL23gebsrmvn_general_kernelILj32ELj32E21rocsparse_complex_numIdEEEvi20rocsparse_direction_NS_24const_host_device_scalarIT1_EEPKiS8_PKS5_iiSA_S6_PS5_21rocsparse_index_base_b: ; @_ZN9rocsparseL23gebsrmvn_general_kernelILj32ELj32E21rocsparse_complex_numIdEEEvi20rocsparse_direction_NS_24const_host_device_scalarIT1_EEPKiS8_PKS5_iiSA_S6_PS5_21rocsparse_index_base_b
; %bb.0:
	s_load_dwordx2 s[0:1], s[4:5], 0x8
	s_load_dwordx2 s[2:3], s[4:5], 0x40
	;; [unrolled: 1-line block ×3, first 2 shown]
	s_add_u32 s7, s4, 8
	s_addc_u32 s8, s5, 0
	s_add_u32 s9, s4, 64
	s_addc_u32 s10, s5, 0
	s_waitcnt lgkmcnt(0)
	s_bitcmp1_b32 s13, 0
	s_cselect_b32 s1, s8, s1
	s_cselect_b32 s0, s7, s0
	v_mov_b32_e32 v1, s0
	v_mov_b32_e32 v2, s1
	flat_load_dwordx4 v[1:4], v[1:2]
	s_cselect_b32 s0, s10, s3
	s_cselect_b32 s1, s9, s2
	v_mov_b32_e32 v5, s1
	v_mov_b32_e32 v6, s0
	flat_load_dwordx4 v[5:8], v[5:6]
	s_waitcnt vmcnt(0) lgkmcnt(0)
	v_cmp_eq_f64_e32 vcc, 0, v[1:2]
	v_cmp_eq_f64_e64 s[0:1], 0, v[3:4]
	s_and_b64 s[8:9], vcc, s[0:1]
	s_mov_b64 s[0:1], -1
	s_and_saveexec_b64 s[2:3], s[8:9]
	s_cbranch_execz .LBB303_2
; %bb.1:
	v_cmp_neq_f64_e32 vcc, 1.0, v[5:6]
	v_cmp_neq_f64_e64 s[0:1], 0, v[7:8]
	s_or_b64 s[0:1], vcc, s[0:1]
	s_orn2_b64 s[0:1], s[0:1], exec
.LBB303_2:
	s_or_b64 exec, exec, s[2:3]
	s_and_saveexec_b64 s[2:3], s[0:1]
	s_cbranch_execz .LBB303_22
; %bb.3:
	s_load_dwordx2 s[14:15], s[4:5], 0x30
	s_waitcnt lgkmcnt(0)
	s_cmp_gt_i32 s14, 0
	s_cselect_b64 s[0:1], -1, 0
	s_and_b64 exec, exec, s[0:1]
	s_cbranch_execz .LBB303_22
; %bb.4:
	s_load_dwordx4 s[8:11], s[4:5], 0x18
	s_load_dword s20, s[4:5], 0x4
	s_ashr_i32 s7, s6, 31
	s_lshl_b64 s[0:1], s[6:7], 2
	v_cmp_eq_f64_e32 vcc, 0, v[5:6]
	s_waitcnt lgkmcnt(0)
	s_add_u32 s0, s8, s0
	s_addc_u32 s1, s9, s1
	s_load_dwordx2 s[2:3], s[0:1], 0x0
	s_load_dwordx2 s[8:9], s[4:5], 0x50
	;; [unrolled: 1-line block ×4, first 2 shown]
	v_cmp_eq_f64_e64 s[4:5], 0, v[7:8]
	s_waitcnt lgkmcnt(0)
	s_sub_i32 s13, s2, s12
	s_sub_i32 s33, s3, s12
	s_cmp_lt_i32 s2, s3
	s_cselect_b64 s[26:27], -1, 0
	s_cmp_lg_u32 s20, 0
	s_cselect_b64 s[20:21], -1, 0
	v_cndmask_b32_e64 v9, 0, 1, s[26:27]
	s_and_b64 s[24:25], vcc, s[4:5]
	s_mul_i32 s4, s14, s13
	s_mul_i32 s4, s15, s4
	v_mov_b32_e32 v13, 0
	v_cmp_gt_i32_e64 s[0:1], s15, v0
	v_cmp_eq_u32_e64 s[2:3], 31, v0
	s_mov_b64 s[22:23], 0
	s_mul_i32 s34, s14, s6
	v_mov_b32_e32 v18, s4
	s_mul_i32 s35, s15, s14
	v_cmp_ne_u32_e64 s[4:5], 1, v9
	s_branch .LBB303_6
.LBB303_5:                              ;   in Loop: Header=BB303_6 Depth=1
	s_or_b64 exec, exec, s[6:7]
	v_add_u32_e32 v13, 1, v13
	v_cmp_le_i32_e32 vcc, s14, v13
	s_or_b64 s[22:23], vcc, s[22:23]
	v_add_u32_e32 v18, s15, v18
	s_andn2_b64 exec, exec, s[22:23]
	s_cbranch_execz .LBB303_22
.LBB303_6:                              ; =>This Loop Header: Depth=1
                                        ;     Child Loop BB303_10 Depth 2
                                        ;       Child Loop BB303_13 Depth 3
	v_mov_b32_e32 v9, 0
	v_mov_b32_e32 v11, 0
	;; [unrolled: 1-line block ×3, first 2 shown]
	s_and_b64 vcc, exec, s[4:5]
	v_mov_b32_e32 v12, 0
	s_cbranch_vccnz .LBB303_17
; %bb.7:                                ;   in Loop: Header=BB303_6 Depth=1
	v_mov_b32_e32 v9, 0
	v_mov_b32_e32 v11, 0
	;; [unrolled: 1-line block ×5, first 2 shown]
	s_mov_b32 s6, s13
	s_branch .LBB303_10
.LBB303_8:                              ;   in Loop: Header=BB303_10 Depth=2
	s_or_b64 exec, exec, s[28:29]
.LBB303_9:                              ;   in Loop: Header=BB303_10 Depth=2
	s_or_b64 exec, exec, s[26:27]
	s_add_i32 s6, s6, 1
	s_cmp_ge_i32 s6, s33
	v_add_u32_e32 v16, s35, v16
	s_cbranch_scc1 .LBB303_17
.LBB303_10:                             ;   Parent Loop BB303_6 Depth=1
                                        ; =>  This Loop Header: Depth=2
                                        ;       Child Loop BB303_13 Depth 3
	s_and_saveexec_b64 s[26:27], s[0:1]
	s_cbranch_execz .LBB303_9
; %bb.11:                               ;   in Loop: Header=BB303_10 Depth=2
	s_ashr_i32 s7, s6, 31
	s_lshl_b64 s[28:29], s[6:7], 2
	s_add_u32 s28, s10, s28
	s_addc_u32 s29, s11, s29
	s_load_dword s30, s[28:29], 0x0
	s_mul_i32 s7, s6, s15
	s_mov_b64 s[28:29], 0
	v_mov_b32_e32 v17, v0
	s_waitcnt lgkmcnt(0)
	s_sub_i32 s36, s30, s12
	s_mul_i32 s36, s36, s15
	s_branch .LBB303_13
.LBB303_12:                             ;   in Loop: Header=BB303_13 Depth=3
	v_ashrrev_i32_e32 v15, 31, v14
	v_lshlrev_b64 v[14:15], 4, v[14:15]
	v_mov_b32_e32 v19, s17
	v_add_co_u32_e32 v14, vcc, s16, v14
	v_addc_co_u32_e32 v15, vcc, v19, v15, vcc
	global_load_dwordx4 v[19:22], v[14:15], off
	v_add_u32_e32 v14, s36, v17
	v_ashrrev_i32_e32 v15, 31, v14
	v_lshlrev_b64 v[14:15], 4, v[14:15]
	v_mov_b32_e32 v23, s19
	v_add_co_u32_e32 v14, vcc, s18, v14
	v_addc_co_u32_e32 v15, vcc, v23, v15, vcc
	global_load_dwordx4 v[23:26], v[14:15], off
	v_add_u32_e32 v17, 32, v17
	v_cmp_le_i32_e32 vcc, s15, v17
	s_or_b64 s[28:29], vcc, s[28:29]
	s_waitcnt vmcnt(0)
	v_fma_f64 v[11:12], v[19:20], v[23:24], v[11:12]
	v_fma_f64 v[9:10], v[21:22], v[23:24], v[9:10]
	v_fma_f64 v[11:12], -v[21:22], v[25:26], v[11:12]
	v_fma_f64 v[9:10], v[19:20], v[25:26], v[9:10]
	s_andn2_b64 exec, exec, s[28:29]
	s_cbranch_execz .LBB303_8
.LBB303_13:                             ;   Parent Loop BB303_6 Depth=1
                                        ;     Parent Loop BB303_10 Depth=2
                                        ; =>    This Inner Loop Header: Depth=3
	s_and_b64 vcc, exec, s[20:21]
	s_cbranch_vccz .LBB303_15
; %bb.14:                               ;   in Loop: Header=BB303_13 Depth=3
	v_add_u32_e32 v14, s7, v17
	v_mad_u64_u32 v[14:15], s[30:31], v14, s14, v[13:14]
	s_cbranch_execnz .LBB303_12
	s_branch .LBB303_16
.LBB303_15:                             ;   in Loop: Header=BB303_13 Depth=3
                                        ; implicit-def: $vgpr14
.LBB303_16:                             ;   in Loop: Header=BB303_13 Depth=3
	v_add_u32_e32 v14, v16, v17
	s_branch .LBB303_12
.LBB303_17:                             ;   in Loop: Header=BB303_6 Depth=1
	s_nop 0
	v_mov_b32_dpp v14, v11 row_shr:1 row_mask:0xf bank_mask:0xf
	v_mov_b32_dpp v15, v12 row_shr:1 row_mask:0xf bank_mask:0xf
	v_add_f64 v[11:12], v[11:12], v[14:15]
	v_mov_b32_dpp v14, v9 row_shr:1 row_mask:0xf bank_mask:0xf
	v_mov_b32_dpp v15, v10 row_shr:1 row_mask:0xf bank_mask:0xf
	v_add_f64 v[9:10], v[9:10], v[14:15]
	;; [unrolled: 3-line block ×8, first 2 shown]
	v_mov_b32_dpp v14, v9 row_bcast:15 row_mask:0xa bank_mask:0xf
	v_mov_b32_dpp v15, v10 row_bcast:15 row_mask:0xa bank_mask:0xf
	;; [unrolled: 1-line block ×4, first 2 shown]
	s_and_saveexec_b64 s[6:7], s[2:3]
	s_cbranch_execz .LBB303_5
; %bb.18:                               ;   in Loop: Header=BB303_6 Depth=1
	v_add_f64 v[11:12], v[11:12], v[16:17]
	v_add_f64 v[14:15], v[9:10], v[14:15]
	v_mul_f64 v[9:10], v[11:12], -v[3:4]
	v_mul_f64 v[11:12], v[1:2], v[11:12]
	v_fma_f64 v[9:10], v[1:2], v[14:15], v[9:10]
	v_fma_f64 v[11:12], v[3:4], v[14:15], v[11:12]
	v_add_u32_e32 v14, s34, v13
	v_ashrrev_i32_e32 v15, 31, v14
	s_and_saveexec_b64 s[26:27], s[24:25]
	s_xor_b64 s[26:27], exec, s[26:27]
	s_cbranch_execz .LBB303_20
; %bb.19:                               ;   in Loop: Header=BB303_6 Depth=1
	v_lshlrev_b64 v[14:15], 4, v[14:15]
	v_mov_b32_e32 v16, s9
	v_add_co_u32_e32 v14, vcc, s8, v14
	v_addc_co_u32_e32 v15, vcc, v16, v15, vcc
	global_store_dwordx4 v[14:15], v[9:12], off
                                        ; implicit-def: $vgpr14
                                        ; implicit-def: $vgpr9_vgpr10
.LBB303_20:                             ;   in Loop: Header=BB303_6 Depth=1
	s_andn2_saveexec_b64 s[26:27], s[26:27]
	s_cbranch_execz .LBB303_5
; %bb.21:                               ;   in Loop: Header=BB303_6 Depth=1
	v_lshlrev_b64 v[14:15], 4, v[14:15]
	v_mov_b32_e32 v16, s9
	v_add_co_u32_e32 v19, vcc, s8, v14
	v_addc_co_u32_e32 v20, vcc, v16, v15, vcc
	global_load_dwordx4 v[14:17], v[19:20], off
	s_waitcnt vmcnt(0)
	v_fma_f64 v[9:10], v[5:6], v[14:15], v[9:10]
	v_fma_f64 v[11:12], v[7:8], v[14:15], v[11:12]
	v_fma_f64 v[9:10], -v[7:8], v[16:17], v[9:10]
	v_fma_f64 v[11:12], v[5:6], v[16:17], v[11:12]
	global_store_dwordx4 v[19:20], v[9:12], off
	s_branch .LBB303_5
.LBB303_22:
	s_endpgm
	.section	.rodata,"a",@progbits
	.p2align	6, 0x0
	.amdhsa_kernel _ZN9rocsparseL23gebsrmvn_general_kernelILj32ELj32E21rocsparse_complex_numIdEEEvi20rocsparse_direction_NS_24const_host_device_scalarIT1_EEPKiS8_PKS5_iiSA_S6_PS5_21rocsparse_index_base_b
		.amdhsa_group_segment_fixed_size 0
		.amdhsa_private_segment_fixed_size 0
		.amdhsa_kernarg_size 96
		.amdhsa_user_sgpr_count 6
		.amdhsa_user_sgpr_private_segment_buffer 1
		.amdhsa_user_sgpr_dispatch_ptr 0
		.amdhsa_user_sgpr_queue_ptr 0
		.amdhsa_user_sgpr_kernarg_segment_ptr 1
		.amdhsa_user_sgpr_dispatch_id 0
		.amdhsa_user_sgpr_flat_scratch_init 0
		.amdhsa_user_sgpr_private_segment_size 0
		.amdhsa_uses_dynamic_stack 0
		.amdhsa_system_sgpr_private_segment_wavefront_offset 0
		.amdhsa_system_sgpr_workgroup_id_x 1
		.amdhsa_system_sgpr_workgroup_id_y 0
		.amdhsa_system_sgpr_workgroup_id_z 0
		.amdhsa_system_sgpr_workgroup_info 0
		.amdhsa_system_vgpr_workitem_id 0
		.amdhsa_next_free_vgpr 27
		.amdhsa_next_free_sgpr 37
		.amdhsa_reserve_vcc 1
		.amdhsa_reserve_flat_scratch 0
		.amdhsa_float_round_mode_32 0
		.amdhsa_float_round_mode_16_64 0
		.amdhsa_float_denorm_mode_32 3
		.amdhsa_float_denorm_mode_16_64 3
		.amdhsa_dx10_clamp 1
		.amdhsa_ieee_mode 1
		.amdhsa_fp16_overflow 0
		.amdhsa_exception_fp_ieee_invalid_op 0
		.amdhsa_exception_fp_denorm_src 0
		.amdhsa_exception_fp_ieee_div_zero 0
		.amdhsa_exception_fp_ieee_overflow 0
		.amdhsa_exception_fp_ieee_underflow 0
		.amdhsa_exception_fp_ieee_inexact 0
		.amdhsa_exception_int_div_zero 0
	.end_amdhsa_kernel
	.section	.text._ZN9rocsparseL23gebsrmvn_general_kernelILj32ELj32E21rocsparse_complex_numIdEEEvi20rocsparse_direction_NS_24const_host_device_scalarIT1_EEPKiS8_PKS5_iiSA_S6_PS5_21rocsparse_index_base_b,"axG",@progbits,_ZN9rocsparseL23gebsrmvn_general_kernelILj32ELj32E21rocsparse_complex_numIdEEEvi20rocsparse_direction_NS_24const_host_device_scalarIT1_EEPKiS8_PKS5_iiSA_S6_PS5_21rocsparse_index_base_b,comdat
.Lfunc_end303:
	.size	_ZN9rocsparseL23gebsrmvn_general_kernelILj32ELj32E21rocsparse_complex_numIdEEEvi20rocsparse_direction_NS_24const_host_device_scalarIT1_EEPKiS8_PKS5_iiSA_S6_PS5_21rocsparse_index_base_b, .Lfunc_end303-_ZN9rocsparseL23gebsrmvn_general_kernelILj32ELj32E21rocsparse_complex_numIdEEEvi20rocsparse_direction_NS_24const_host_device_scalarIT1_EEPKiS8_PKS5_iiSA_S6_PS5_21rocsparse_index_base_b
                                        ; -- End function
	.set _ZN9rocsparseL23gebsrmvn_general_kernelILj32ELj32E21rocsparse_complex_numIdEEEvi20rocsparse_direction_NS_24const_host_device_scalarIT1_EEPKiS8_PKS5_iiSA_S6_PS5_21rocsparse_index_base_b.num_vgpr, 27
	.set _ZN9rocsparseL23gebsrmvn_general_kernelILj32ELj32E21rocsparse_complex_numIdEEEvi20rocsparse_direction_NS_24const_host_device_scalarIT1_EEPKiS8_PKS5_iiSA_S6_PS5_21rocsparse_index_base_b.num_agpr, 0
	.set _ZN9rocsparseL23gebsrmvn_general_kernelILj32ELj32E21rocsparse_complex_numIdEEEvi20rocsparse_direction_NS_24const_host_device_scalarIT1_EEPKiS8_PKS5_iiSA_S6_PS5_21rocsparse_index_base_b.numbered_sgpr, 37
	.set _ZN9rocsparseL23gebsrmvn_general_kernelILj32ELj32E21rocsparse_complex_numIdEEEvi20rocsparse_direction_NS_24const_host_device_scalarIT1_EEPKiS8_PKS5_iiSA_S6_PS5_21rocsparse_index_base_b.num_named_barrier, 0
	.set _ZN9rocsparseL23gebsrmvn_general_kernelILj32ELj32E21rocsparse_complex_numIdEEEvi20rocsparse_direction_NS_24const_host_device_scalarIT1_EEPKiS8_PKS5_iiSA_S6_PS5_21rocsparse_index_base_b.private_seg_size, 0
	.set _ZN9rocsparseL23gebsrmvn_general_kernelILj32ELj32E21rocsparse_complex_numIdEEEvi20rocsparse_direction_NS_24const_host_device_scalarIT1_EEPKiS8_PKS5_iiSA_S6_PS5_21rocsparse_index_base_b.uses_vcc, 1
	.set _ZN9rocsparseL23gebsrmvn_general_kernelILj32ELj32E21rocsparse_complex_numIdEEEvi20rocsparse_direction_NS_24const_host_device_scalarIT1_EEPKiS8_PKS5_iiSA_S6_PS5_21rocsparse_index_base_b.uses_flat_scratch, 0
	.set _ZN9rocsparseL23gebsrmvn_general_kernelILj32ELj32E21rocsparse_complex_numIdEEEvi20rocsparse_direction_NS_24const_host_device_scalarIT1_EEPKiS8_PKS5_iiSA_S6_PS5_21rocsparse_index_base_b.has_dyn_sized_stack, 0
	.set _ZN9rocsparseL23gebsrmvn_general_kernelILj32ELj32E21rocsparse_complex_numIdEEEvi20rocsparse_direction_NS_24const_host_device_scalarIT1_EEPKiS8_PKS5_iiSA_S6_PS5_21rocsparse_index_base_b.has_recursion, 0
	.set _ZN9rocsparseL23gebsrmvn_general_kernelILj32ELj32E21rocsparse_complex_numIdEEEvi20rocsparse_direction_NS_24const_host_device_scalarIT1_EEPKiS8_PKS5_iiSA_S6_PS5_21rocsparse_index_base_b.has_indirect_call, 0
	.section	.AMDGPU.csdata,"",@progbits
; Kernel info:
; codeLenInByte = 1108
; TotalNumSgprs: 41
; NumVgprs: 27
; ScratchSize: 0
; MemoryBound: 0
; FloatMode: 240
; IeeeMode: 1
; LDSByteSize: 0 bytes/workgroup (compile time only)
; SGPRBlocks: 5
; VGPRBlocks: 6
; NumSGPRsForWavesPerEU: 41
; NumVGPRsForWavesPerEU: 27
; Occupancy: 9
; WaveLimiterHint : 1
; COMPUTE_PGM_RSRC2:SCRATCH_EN: 0
; COMPUTE_PGM_RSRC2:USER_SGPR: 6
; COMPUTE_PGM_RSRC2:TRAP_HANDLER: 0
; COMPUTE_PGM_RSRC2:TGID_X_EN: 1
; COMPUTE_PGM_RSRC2:TGID_Y_EN: 0
; COMPUTE_PGM_RSRC2:TGID_Z_EN: 0
; COMPUTE_PGM_RSRC2:TIDIG_COMP_CNT: 0
	.section	.AMDGPU.gpr_maximums,"",@progbits
	.set amdgpu.max_num_vgpr, 0
	.set amdgpu.max_num_agpr, 0
	.set amdgpu.max_num_sgpr, 0
	.section	.AMDGPU.csdata,"",@progbits
	.type	__hip_cuid_8884fe71ec61a751,@object ; @__hip_cuid_8884fe71ec61a751
	.section	.bss,"aw",@nobits
	.globl	__hip_cuid_8884fe71ec61a751
__hip_cuid_8884fe71ec61a751:
	.byte	0                               ; 0x0
	.size	__hip_cuid_8884fe71ec61a751, 1

	.ident	"AMD clang version 22.0.0git (https://github.com/RadeonOpenCompute/llvm-project roc-7.2.4 26084 f58b06dce1f9c15707c5f808fd002e18c2accf7e)"
	.section	".note.GNU-stack","",@progbits
	.addrsig
	.addrsig_sym __hip_cuid_8884fe71ec61a751
	.amdgpu_metadata
---
amdhsa.kernels:
  - .args:
      - .offset:         0
        .size:           4
        .value_kind:     by_value
      - .offset:         4
        .size:           4
        .value_kind:     by_value
      - .offset:         8
        .size:           8
        .value_kind:     by_value
      - .actual_access:  read_only
        .address_space:  global
        .offset:         16
        .size:           8
        .value_kind:     global_buffer
      - .actual_access:  read_only
        .address_space:  global
        .offset:         24
        .size:           8
        .value_kind:     global_buffer
      - .actual_access:  read_only
        .address_space:  global
        .offset:         32
        .size:           8
        .value_kind:     global_buffer
      - .actual_access:  read_only
        .address_space:  global
        .offset:         40
        .size:           8
        .value_kind:     global_buffer
      - .offset:         48
        .size:           8
        .value_kind:     by_value
      - .address_space:  global
        .offset:         56
        .size:           8
        .value_kind:     global_buffer
      - .offset:         64
        .size:           4
        .value_kind:     by_value
      - .offset:         68
        .size:           1
        .value_kind:     by_value
    .group_segment_fixed_size: 0
    .kernarg_segment_align: 8
    .kernarg_segment_size: 72
    .language:       OpenCL C
    .language_version:
      - 2
      - 0
    .max_flat_workgroup_size: 128
    .name:           _ZN9rocsparseL19gebsrmvn_2xn_kernelILj128ELj1ELj4EfEEvi20rocsparse_direction_NS_24const_host_device_scalarIT2_EEPKiS6_PKS3_S8_S4_PS3_21rocsparse_index_base_b
    .private_segment_fixed_size: 0
    .sgpr_count:     24
    .sgpr_spill_count: 0
    .symbol:         _ZN9rocsparseL19gebsrmvn_2xn_kernelILj128ELj1ELj4EfEEvi20rocsparse_direction_NS_24const_host_device_scalarIT2_EEPKiS6_PKS3_S8_S4_PS3_21rocsparse_index_base_b.kd
    .uniform_work_group_size: 1
    .uses_dynamic_stack: false
    .vgpr_count:     18
    .vgpr_spill_count: 0
    .wavefront_size: 64
  - .args:
      - .offset:         0
        .size:           4
        .value_kind:     by_value
      - .offset:         4
        .size:           4
        .value_kind:     by_value
      - .offset:         8
        .size:           8
        .value_kind:     by_value
      - .actual_access:  read_only
        .address_space:  global
        .offset:         16
        .size:           8
        .value_kind:     global_buffer
      - .actual_access:  read_only
        .address_space:  global
        .offset:         24
        .size:           8
        .value_kind:     global_buffer
      - .actual_access:  read_only
        .address_space:  global
        .offset:         32
        .size:           8
        .value_kind:     global_buffer
      - .actual_access:  read_only
        .address_space:  global
        .offset:         40
        .size:           8
        .value_kind:     global_buffer
      - .offset:         48
        .size:           8
        .value_kind:     by_value
      - .address_space:  global
        .offset:         56
        .size:           8
        .value_kind:     global_buffer
      - .offset:         64
        .size:           4
        .value_kind:     by_value
      - .offset:         68
        .size:           1
        .value_kind:     by_value
    .group_segment_fixed_size: 0
    .kernarg_segment_align: 8
    .kernarg_segment_size: 72
    .language:       OpenCL C
    .language_version:
      - 2
      - 0
    .max_flat_workgroup_size: 128
    .name:           _ZN9rocsparseL19gebsrmvn_2xn_kernelILj128ELj1ELj8EfEEvi20rocsparse_direction_NS_24const_host_device_scalarIT2_EEPKiS6_PKS3_S8_S4_PS3_21rocsparse_index_base_b
    .private_segment_fixed_size: 0
    .sgpr_count:     24
    .sgpr_spill_count: 0
    .symbol:         _ZN9rocsparseL19gebsrmvn_2xn_kernelILj128ELj1ELj8EfEEvi20rocsparse_direction_NS_24const_host_device_scalarIT2_EEPKiS6_PKS3_S8_S4_PS3_21rocsparse_index_base_b.kd
    .uniform_work_group_size: 1
    .uses_dynamic_stack: false
    .vgpr_count:     18
    .vgpr_spill_count: 0
    .wavefront_size: 64
  - .args:
      - .offset:         0
        .size:           4
        .value_kind:     by_value
      - .offset:         4
        .size:           4
        .value_kind:     by_value
      - .offset:         8
        .size:           8
        .value_kind:     by_value
      - .actual_access:  read_only
        .address_space:  global
        .offset:         16
        .size:           8
        .value_kind:     global_buffer
      - .actual_access:  read_only
        .address_space:  global
        .offset:         24
        .size:           8
        .value_kind:     global_buffer
      - .actual_access:  read_only
        .address_space:  global
        .offset:         32
        .size:           8
        .value_kind:     global_buffer
      - .actual_access:  read_only
        .address_space:  global
        .offset:         40
        .size:           8
        .value_kind:     global_buffer
      - .offset:         48
        .size:           8
        .value_kind:     by_value
      - .address_space:  global
        .offset:         56
        .size:           8
        .value_kind:     global_buffer
      - .offset:         64
        .size:           4
        .value_kind:     by_value
      - .offset:         68
        .size:           1
        .value_kind:     by_value
    .group_segment_fixed_size: 0
    .kernarg_segment_align: 8
    .kernarg_segment_size: 72
    .language:       OpenCL C
    .language_version:
      - 2
      - 0
    .max_flat_workgroup_size: 128
    .name:           _ZN9rocsparseL19gebsrmvn_2xn_kernelILj128ELj1ELj16EfEEvi20rocsparse_direction_NS_24const_host_device_scalarIT2_EEPKiS6_PKS3_S8_S4_PS3_21rocsparse_index_base_b
    .private_segment_fixed_size: 0
    .sgpr_count:     24
    .sgpr_spill_count: 0
    .symbol:         _ZN9rocsparseL19gebsrmvn_2xn_kernelILj128ELj1ELj16EfEEvi20rocsparse_direction_NS_24const_host_device_scalarIT2_EEPKiS6_PKS3_S8_S4_PS3_21rocsparse_index_base_b.kd
    .uniform_work_group_size: 1
    .uses_dynamic_stack: false
    .vgpr_count:     18
    .vgpr_spill_count: 0
    .wavefront_size: 64
  - .args:
      - .offset:         0
        .size:           4
        .value_kind:     by_value
      - .offset:         4
        .size:           4
        .value_kind:     by_value
      - .offset:         8
        .size:           8
        .value_kind:     by_value
      - .actual_access:  read_only
        .address_space:  global
        .offset:         16
        .size:           8
        .value_kind:     global_buffer
      - .actual_access:  read_only
        .address_space:  global
        .offset:         24
        .size:           8
        .value_kind:     global_buffer
      - .actual_access:  read_only
        .address_space:  global
        .offset:         32
        .size:           8
        .value_kind:     global_buffer
      - .actual_access:  read_only
        .address_space:  global
        .offset:         40
        .size:           8
        .value_kind:     global_buffer
      - .offset:         48
        .size:           8
        .value_kind:     by_value
      - .address_space:  global
        .offset:         56
        .size:           8
        .value_kind:     global_buffer
      - .offset:         64
        .size:           4
        .value_kind:     by_value
      - .offset:         68
        .size:           1
        .value_kind:     by_value
    .group_segment_fixed_size: 0
    .kernarg_segment_align: 8
    .kernarg_segment_size: 72
    .language:       OpenCL C
    .language_version:
      - 2
      - 0
    .max_flat_workgroup_size: 128
    .name:           _ZN9rocsparseL19gebsrmvn_2xn_kernelILj128ELj1ELj32EfEEvi20rocsparse_direction_NS_24const_host_device_scalarIT2_EEPKiS6_PKS3_S8_S4_PS3_21rocsparse_index_base_b
    .private_segment_fixed_size: 0
    .sgpr_count:     24
    .sgpr_spill_count: 0
    .symbol:         _ZN9rocsparseL19gebsrmvn_2xn_kernelILj128ELj1ELj32EfEEvi20rocsparse_direction_NS_24const_host_device_scalarIT2_EEPKiS6_PKS3_S8_S4_PS3_21rocsparse_index_base_b.kd
    .uniform_work_group_size: 1
    .uses_dynamic_stack: false
    .vgpr_count:     18
    .vgpr_spill_count: 0
    .wavefront_size: 64
  - .args:
      - .offset:         0
        .size:           4
        .value_kind:     by_value
      - .offset:         4
        .size:           4
        .value_kind:     by_value
      - .offset:         8
        .size:           8
        .value_kind:     by_value
      - .actual_access:  read_only
        .address_space:  global
        .offset:         16
        .size:           8
        .value_kind:     global_buffer
      - .actual_access:  read_only
        .address_space:  global
        .offset:         24
        .size:           8
        .value_kind:     global_buffer
      - .actual_access:  read_only
        .address_space:  global
        .offset:         32
        .size:           8
        .value_kind:     global_buffer
      - .actual_access:  read_only
        .address_space:  global
        .offset:         40
        .size:           8
        .value_kind:     global_buffer
      - .offset:         48
        .size:           8
        .value_kind:     by_value
      - .address_space:  global
        .offset:         56
        .size:           8
        .value_kind:     global_buffer
      - .offset:         64
        .size:           4
        .value_kind:     by_value
      - .offset:         68
        .size:           1
        .value_kind:     by_value
    .group_segment_fixed_size: 0
    .kernarg_segment_align: 8
    .kernarg_segment_size: 72
    .language:       OpenCL C
    .language_version:
      - 2
      - 0
    .max_flat_workgroup_size: 128
    .name:           _ZN9rocsparseL19gebsrmvn_2xn_kernelILj128ELj1ELj64EfEEvi20rocsparse_direction_NS_24const_host_device_scalarIT2_EEPKiS6_PKS3_S8_S4_PS3_21rocsparse_index_base_b
    .private_segment_fixed_size: 0
    .sgpr_count:     24
    .sgpr_spill_count: 0
    .symbol:         _ZN9rocsparseL19gebsrmvn_2xn_kernelILj128ELj1ELj64EfEEvi20rocsparse_direction_NS_24const_host_device_scalarIT2_EEPKiS6_PKS3_S8_S4_PS3_21rocsparse_index_base_b.kd
    .uniform_work_group_size: 1
    .uses_dynamic_stack: false
    .vgpr_count:     18
    .vgpr_spill_count: 0
    .wavefront_size: 64
  - .args:
      - .offset:         0
        .size:           4
        .value_kind:     by_value
      - .offset:         4
        .size:           4
        .value_kind:     by_value
      - .offset:         8
        .size:           8
        .value_kind:     by_value
      - .actual_access:  read_only
        .address_space:  global
        .offset:         16
        .size:           8
        .value_kind:     global_buffer
      - .actual_access:  read_only
        .address_space:  global
        .offset:         24
        .size:           8
        .value_kind:     global_buffer
      - .actual_access:  read_only
        .address_space:  global
        .offset:         32
        .size:           8
        .value_kind:     global_buffer
      - .actual_access:  read_only
        .address_space:  global
        .offset:         40
        .size:           8
        .value_kind:     global_buffer
      - .offset:         48
        .size:           8
        .value_kind:     by_value
      - .address_space:  global
        .offset:         56
        .size:           8
        .value_kind:     global_buffer
      - .offset:         64
        .size:           4
        .value_kind:     by_value
      - .offset:         68
        .size:           1
        .value_kind:     by_value
    .group_segment_fixed_size: 0
    .kernarg_segment_align: 8
    .kernarg_segment_size: 72
    .language:       OpenCL C
    .language_version:
      - 2
      - 0
    .max_flat_workgroup_size: 128
    .name:           _ZN9rocsparseL19gebsrmvn_2xn_kernelILj128ELj3ELj4EfEEvi20rocsparse_direction_NS_24const_host_device_scalarIT2_EEPKiS6_PKS3_S8_S4_PS3_21rocsparse_index_base_b
    .private_segment_fixed_size: 0
    .sgpr_count:     24
    .sgpr_spill_count: 0
    .symbol:         _ZN9rocsparseL19gebsrmvn_2xn_kernelILj128ELj3ELj4EfEEvi20rocsparse_direction_NS_24const_host_device_scalarIT2_EEPKiS6_PKS3_S8_S4_PS3_21rocsparse_index_base_b.kd
    .uniform_work_group_size: 1
    .uses_dynamic_stack: false
    .vgpr_count:     36
    .vgpr_spill_count: 0
    .wavefront_size: 64
  - .args:
      - .offset:         0
        .size:           4
        .value_kind:     by_value
      - .offset:         4
        .size:           4
        .value_kind:     by_value
      - .offset:         8
        .size:           8
        .value_kind:     by_value
      - .actual_access:  read_only
        .address_space:  global
        .offset:         16
        .size:           8
        .value_kind:     global_buffer
      - .actual_access:  read_only
        .address_space:  global
        .offset:         24
        .size:           8
        .value_kind:     global_buffer
      - .actual_access:  read_only
        .address_space:  global
        .offset:         32
        .size:           8
        .value_kind:     global_buffer
      - .actual_access:  read_only
        .address_space:  global
        .offset:         40
        .size:           8
        .value_kind:     global_buffer
      - .offset:         48
        .size:           8
        .value_kind:     by_value
      - .address_space:  global
        .offset:         56
        .size:           8
        .value_kind:     global_buffer
      - .offset:         64
        .size:           4
        .value_kind:     by_value
      - .offset:         68
        .size:           1
        .value_kind:     by_value
    .group_segment_fixed_size: 0
    .kernarg_segment_align: 8
    .kernarg_segment_size: 72
    .language:       OpenCL C
    .language_version:
      - 2
      - 0
    .max_flat_workgroup_size: 128
    .name:           _ZN9rocsparseL19gebsrmvn_2xn_kernelILj128ELj3ELj8EfEEvi20rocsparse_direction_NS_24const_host_device_scalarIT2_EEPKiS6_PKS3_S8_S4_PS3_21rocsparse_index_base_b
    .private_segment_fixed_size: 0
    .sgpr_count:     24
    .sgpr_spill_count: 0
    .symbol:         _ZN9rocsparseL19gebsrmvn_2xn_kernelILj128ELj3ELj8EfEEvi20rocsparse_direction_NS_24const_host_device_scalarIT2_EEPKiS6_PKS3_S8_S4_PS3_21rocsparse_index_base_b.kd
    .uniform_work_group_size: 1
    .uses_dynamic_stack: false
    .vgpr_count:     36
    .vgpr_spill_count: 0
    .wavefront_size: 64
  - .args:
      - .offset:         0
        .size:           4
        .value_kind:     by_value
      - .offset:         4
        .size:           4
        .value_kind:     by_value
      - .offset:         8
        .size:           8
        .value_kind:     by_value
      - .actual_access:  read_only
        .address_space:  global
        .offset:         16
        .size:           8
        .value_kind:     global_buffer
      - .actual_access:  read_only
        .address_space:  global
        .offset:         24
        .size:           8
        .value_kind:     global_buffer
      - .actual_access:  read_only
        .address_space:  global
        .offset:         32
        .size:           8
        .value_kind:     global_buffer
      - .actual_access:  read_only
        .address_space:  global
        .offset:         40
        .size:           8
        .value_kind:     global_buffer
      - .offset:         48
        .size:           8
        .value_kind:     by_value
      - .address_space:  global
        .offset:         56
        .size:           8
        .value_kind:     global_buffer
      - .offset:         64
        .size:           4
        .value_kind:     by_value
      - .offset:         68
        .size:           1
        .value_kind:     by_value
    .group_segment_fixed_size: 0
    .kernarg_segment_align: 8
    .kernarg_segment_size: 72
    .language:       OpenCL C
    .language_version:
      - 2
      - 0
    .max_flat_workgroup_size: 128
    .name:           _ZN9rocsparseL19gebsrmvn_2xn_kernelILj128ELj3ELj16EfEEvi20rocsparse_direction_NS_24const_host_device_scalarIT2_EEPKiS6_PKS3_S8_S4_PS3_21rocsparse_index_base_b
    .private_segment_fixed_size: 0
    .sgpr_count:     24
    .sgpr_spill_count: 0
    .symbol:         _ZN9rocsparseL19gebsrmvn_2xn_kernelILj128ELj3ELj16EfEEvi20rocsparse_direction_NS_24const_host_device_scalarIT2_EEPKiS6_PKS3_S8_S4_PS3_21rocsparse_index_base_b.kd
    .uniform_work_group_size: 1
    .uses_dynamic_stack: false
    .vgpr_count:     36
    .vgpr_spill_count: 0
    .wavefront_size: 64
  - .args:
      - .offset:         0
        .size:           4
        .value_kind:     by_value
      - .offset:         4
        .size:           4
        .value_kind:     by_value
      - .offset:         8
        .size:           8
        .value_kind:     by_value
      - .actual_access:  read_only
        .address_space:  global
        .offset:         16
        .size:           8
        .value_kind:     global_buffer
      - .actual_access:  read_only
        .address_space:  global
        .offset:         24
        .size:           8
        .value_kind:     global_buffer
      - .actual_access:  read_only
        .address_space:  global
        .offset:         32
        .size:           8
        .value_kind:     global_buffer
      - .actual_access:  read_only
        .address_space:  global
        .offset:         40
        .size:           8
        .value_kind:     global_buffer
      - .offset:         48
        .size:           8
        .value_kind:     by_value
      - .address_space:  global
        .offset:         56
        .size:           8
        .value_kind:     global_buffer
      - .offset:         64
        .size:           4
        .value_kind:     by_value
      - .offset:         68
        .size:           1
        .value_kind:     by_value
    .group_segment_fixed_size: 0
    .kernarg_segment_align: 8
    .kernarg_segment_size: 72
    .language:       OpenCL C
    .language_version:
      - 2
      - 0
    .max_flat_workgroup_size: 128
    .name:           _ZN9rocsparseL19gebsrmvn_2xn_kernelILj128ELj3ELj32EfEEvi20rocsparse_direction_NS_24const_host_device_scalarIT2_EEPKiS6_PKS3_S8_S4_PS3_21rocsparse_index_base_b
    .private_segment_fixed_size: 0
    .sgpr_count:     24
    .sgpr_spill_count: 0
    .symbol:         _ZN9rocsparseL19gebsrmvn_2xn_kernelILj128ELj3ELj32EfEEvi20rocsparse_direction_NS_24const_host_device_scalarIT2_EEPKiS6_PKS3_S8_S4_PS3_21rocsparse_index_base_b.kd
    .uniform_work_group_size: 1
    .uses_dynamic_stack: false
    .vgpr_count:     36
    .vgpr_spill_count: 0
    .wavefront_size: 64
  - .args:
      - .offset:         0
        .size:           4
        .value_kind:     by_value
      - .offset:         4
        .size:           4
        .value_kind:     by_value
      - .offset:         8
        .size:           8
        .value_kind:     by_value
      - .actual_access:  read_only
        .address_space:  global
        .offset:         16
        .size:           8
        .value_kind:     global_buffer
      - .actual_access:  read_only
        .address_space:  global
        .offset:         24
        .size:           8
        .value_kind:     global_buffer
      - .actual_access:  read_only
        .address_space:  global
        .offset:         32
        .size:           8
        .value_kind:     global_buffer
      - .actual_access:  read_only
        .address_space:  global
        .offset:         40
        .size:           8
        .value_kind:     global_buffer
      - .offset:         48
        .size:           8
        .value_kind:     by_value
      - .address_space:  global
        .offset:         56
        .size:           8
        .value_kind:     global_buffer
      - .offset:         64
        .size:           4
        .value_kind:     by_value
      - .offset:         68
        .size:           1
        .value_kind:     by_value
    .group_segment_fixed_size: 0
    .kernarg_segment_align: 8
    .kernarg_segment_size: 72
    .language:       OpenCL C
    .language_version:
      - 2
      - 0
    .max_flat_workgroup_size: 128
    .name:           _ZN9rocsparseL19gebsrmvn_2xn_kernelILj128ELj3ELj64EfEEvi20rocsparse_direction_NS_24const_host_device_scalarIT2_EEPKiS6_PKS3_S8_S4_PS3_21rocsparse_index_base_b
    .private_segment_fixed_size: 0
    .sgpr_count:     24
    .sgpr_spill_count: 0
    .symbol:         _ZN9rocsparseL19gebsrmvn_2xn_kernelILj128ELj3ELj64EfEEvi20rocsparse_direction_NS_24const_host_device_scalarIT2_EEPKiS6_PKS3_S8_S4_PS3_21rocsparse_index_base_b.kd
    .uniform_work_group_size: 1
    .uses_dynamic_stack: false
    .vgpr_count:     36
    .vgpr_spill_count: 0
    .wavefront_size: 64
  - .args:
      - .offset:         0
        .size:           4
        .value_kind:     by_value
      - .offset:         4
        .size:           4
        .value_kind:     by_value
      - .offset:         8
        .size:           8
        .value_kind:     by_value
      - .actual_access:  read_only
        .address_space:  global
        .offset:         16
        .size:           8
        .value_kind:     global_buffer
      - .actual_access:  read_only
        .address_space:  global
        .offset:         24
        .size:           8
        .value_kind:     global_buffer
      - .actual_access:  read_only
        .address_space:  global
        .offset:         32
        .size:           8
        .value_kind:     global_buffer
      - .actual_access:  read_only
        .address_space:  global
        .offset:         40
        .size:           8
        .value_kind:     global_buffer
      - .offset:         48
        .size:           8
        .value_kind:     by_value
      - .address_space:  global
        .offset:         56
        .size:           8
        .value_kind:     global_buffer
      - .offset:         64
        .size:           4
        .value_kind:     by_value
      - .offset:         68
        .size:           1
        .value_kind:     by_value
    .group_segment_fixed_size: 0
    .kernarg_segment_align: 8
    .kernarg_segment_size: 72
    .language:       OpenCL C
    .language_version:
      - 2
      - 0
    .max_flat_workgroup_size: 128
    .name:           _ZN9rocsparseL19gebsrmvn_2xn_kernelILj128ELj4ELj4EfEEvi20rocsparse_direction_NS_24const_host_device_scalarIT2_EEPKiS6_PKS3_S8_S4_PS3_21rocsparse_index_base_b
    .private_segment_fixed_size: 0
    .sgpr_count:     24
    .sgpr_spill_count: 0
    .symbol:         _ZN9rocsparseL19gebsrmvn_2xn_kernelILj128ELj4ELj4EfEEvi20rocsparse_direction_NS_24const_host_device_scalarIT2_EEPKiS6_PKS3_S8_S4_PS3_21rocsparse_index_base_b.kd
    .uniform_work_group_size: 1
    .uses_dynamic_stack: false
    .vgpr_count:     23
    .vgpr_spill_count: 0
    .wavefront_size: 64
  - .args:
      - .offset:         0
        .size:           4
        .value_kind:     by_value
      - .offset:         4
        .size:           4
        .value_kind:     by_value
      - .offset:         8
        .size:           8
        .value_kind:     by_value
      - .actual_access:  read_only
        .address_space:  global
        .offset:         16
        .size:           8
        .value_kind:     global_buffer
      - .actual_access:  read_only
        .address_space:  global
        .offset:         24
        .size:           8
        .value_kind:     global_buffer
      - .actual_access:  read_only
        .address_space:  global
        .offset:         32
        .size:           8
        .value_kind:     global_buffer
      - .actual_access:  read_only
        .address_space:  global
        .offset:         40
        .size:           8
        .value_kind:     global_buffer
      - .offset:         48
        .size:           8
        .value_kind:     by_value
      - .address_space:  global
        .offset:         56
        .size:           8
        .value_kind:     global_buffer
      - .offset:         64
        .size:           4
        .value_kind:     by_value
      - .offset:         68
        .size:           1
        .value_kind:     by_value
    .group_segment_fixed_size: 0
    .kernarg_segment_align: 8
    .kernarg_segment_size: 72
    .language:       OpenCL C
    .language_version:
      - 2
      - 0
    .max_flat_workgroup_size: 128
    .name:           _ZN9rocsparseL19gebsrmvn_2xn_kernelILj128ELj4ELj8EfEEvi20rocsparse_direction_NS_24const_host_device_scalarIT2_EEPKiS6_PKS3_S8_S4_PS3_21rocsparse_index_base_b
    .private_segment_fixed_size: 0
    .sgpr_count:     24
    .sgpr_spill_count: 0
    .symbol:         _ZN9rocsparseL19gebsrmvn_2xn_kernelILj128ELj4ELj8EfEEvi20rocsparse_direction_NS_24const_host_device_scalarIT2_EEPKiS6_PKS3_S8_S4_PS3_21rocsparse_index_base_b.kd
    .uniform_work_group_size: 1
    .uses_dynamic_stack: false
    .vgpr_count:     23
    .vgpr_spill_count: 0
    .wavefront_size: 64
  - .args:
      - .offset:         0
        .size:           4
        .value_kind:     by_value
      - .offset:         4
        .size:           4
        .value_kind:     by_value
      - .offset:         8
        .size:           8
        .value_kind:     by_value
      - .actual_access:  read_only
        .address_space:  global
        .offset:         16
        .size:           8
        .value_kind:     global_buffer
      - .actual_access:  read_only
        .address_space:  global
        .offset:         24
        .size:           8
        .value_kind:     global_buffer
      - .actual_access:  read_only
        .address_space:  global
        .offset:         32
        .size:           8
        .value_kind:     global_buffer
      - .actual_access:  read_only
        .address_space:  global
        .offset:         40
        .size:           8
        .value_kind:     global_buffer
      - .offset:         48
        .size:           8
        .value_kind:     by_value
      - .address_space:  global
        .offset:         56
        .size:           8
        .value_kind:     global_buffer
      - .offset:         64
        .size:           4
        .value_kind:     by_value
      - .offset:         68
        .size:           1
        .value_kind:     by_value
    .group_segment_fixed_size: 0
    .kernarg_segment_align: 8
    .kernarg_segment_size: 72
    .language:       OpenCL C
    .language_version:
      - 2
      - 0
    .max_flat_workgroup_size: 128
    .name:           _ZN9rocsparseL19gebsrmvn_2xn_kernelILj128ELj4ELj16EfEEvi20rocsparse_direction_NS_24const_host_device_scalarIT2_EEPKiS6_PKS3_S8_S4_PS3_21rocsparse_index_base_b
    .private_segment_fixed_size: 0
    .sgpr_count:     24
    .sgpr_spill_count: 0
    .symbol:         _ZN9rocsparseL19gebsrmvn_2xn_kernelILj128ELj4ELj16EfEEvi20rocsparse_direction_NS_24const_host_device_scalarIT2_EEPKiS6_PKS3_S8_S4_PS3_21rocsparse_index_base_b.kd
    .uniform_work_group_size: 1
    .uses_dynamic_stack: false
    .vgpr_count:     23
    .vgpr_spill_count: 0
    .wavefront_size: 64
  - .args:
      - .offset:         0
        .size:           4
        .value_kind:     by_value
      - .offset:         4
        .size:           4
        .value_kind:     by_value
      - .offset:         8
        .size:           8
        .value_kind:     by_value
      - .actual_access:  read_only
        .address_space:  global
        .offset:         16
        .size:           8
        .value_kind:     global_buffer
      - .actual_access:  read_only
        .address_space:  global
        .offset:         24
        .size:           8
        .value_kind:     global_buffer
      - .actual_access:  read_only
        .address_space:  global
        .offset:         32
        .size:           8
        .value_kind:     global_buffer
      - .actual_access:  read_only
        .address_space:  global
        .offset:         40
        .size:           8
        .value_kind:     global_buffer
      - .offset:         48
        .size:           8
        .value_kind:     by_value
      - .address_space:  global
        .offset:         56
        .size:           8
        .value_kind:     global_buffer
      - .offset:         64
        .size:           4
        .value_kind:     by_value
      - .offset:         68
        .size:           1
        .value_kind:     by_value
    .group_segment_fixed_size: 0
    .kernarg_segment_align: 8
    .kernarg_segment_size: 72
    .language:       OpenCL C
    .language_version:
      - 2
      - 0
    .max_flat_workgroup_size: 128
    .name:           _ZN9rocsparseL19gebsrmvn_2xn_kernelILj128ELj4ELj32EfEEvi20rocsparse_direction_NS_24const_host_device_scalarIT2_EEPKiS6_PKS3_S8_S4_PS3_21rocsparse_index_base_b
    .private_segment_fixed_size: 0
    .sgpr_count:     24
    .sgpr_spill_count: 0
    .symbol:         _ZN9rocsparseL19gebsrmvn_2xn_kernelILj128ELj4ELj32EfEEvi20rocsparse_direction_NS_24const_host_device_scalarIT2_EEPKiS6_PKS3_S8_S4_PS3_21rocsparse_index_base_b.kd
    .uniform_work_group_size: 1
    .uses_dynamic_stack: false
    .vgpr_count:     23
    .vgpr_spill_count: 0
    .wavefront_size: 64
  - .args:
      - .offset:         0
        .size:           4
        .value_kind:     by_value
      - .offset:         4
        .size:           4
        .value_kind:     by_value
      - .offset:         8
        .size:           8
        .value_kind:     by_value
      - .actual_access:  read_only
        .address_space:  global
        .offset:         16
        .size:           8
        .value_kind:     global_buffer
      - .actual_access:  read_only
        .address_space:  global
        .offset:         24
        .size:           8
        .value_kind:     global_buffer
      - .actual_access:  read_only
        .address_space:  global
        .offset:         32
        .size:           8
        .value_kind:     global_buffer
      - .actual_access:  read_only
        .address_space:  global
        .offset:         40
        .size:           8
        .value_kind:     global_buffer
      - .offset:         48
        .size:           8
        .value_kind:     by_value
      - .address_space:  global
        .offset:         56
        .size:           8
        .value_kind:     global_buffer
      - .offset:         64
        .size:           4
        .value_kind:     by_value
      - .offset:         68
        .size:           1
        .value_kind:     by_value
    .group_segment_fixed_size: 0
    .kernarg_segment_align: 8
    .kernarg_segment_size: 72
    .language:       OpenCL C
    .language_version:
      - 2
      - 0
    .max_flat_workgroup_size: 128
    .name:           _ZN9rocsparseL19gebsrmvn_2xn_kernelILj128ELj4ELj64EfEEvi20rocsparse_direction_NS_24const_host_device_scalarIT2_EEPKiS6_PKS3_S8_S4_PS3_21rocsparse_index_base_b
    .private_segment_fixed_size: 0
    .sgpr_count:     24
    .sgpr_spill_count: 0
    .symbol:         _ZN9rocsparseL19gebsrmvn_2xn_kernelILj128ELj4ELj64EfEEvi20rocsparse_direction_NS_24const_host_device_scalarIT2_EEPKiS6_PKS3_S8_S4_PS3_21rocsparse_index_base_b.kd
    .uniform_work_group_size: 1
    .uses_dynamic_stack: false
    .vgpr_count:     23
    .vgpr_spill_count: 0
    .wavefront_size: 64
  - .args:
      - .offset:         0
        .size:           4
        .value_kind:     by_value
      - .offset:         4
        .size:           4
        .value_kind:     by_value
      - .offset:         8
        .size:           8
        .value_kind:     by_value
      - .actual_access:  read_only
        .address_space:  global
        .offset:         16
        .size:           8
        .value_kind:     global_buffer
      - .actual_access:  read_only
        .address_space:  global
        .offset:         24
        .size:           8
        .value_kind:     global_buffer
      - .actual_access:  read_only
        .address_space:  global
        .offset:         32
        .size:           8
        .value_kind:     global_buffer
      - .actual_access:  read_only
        .address_space:  global
        .offset:         40
        .size:           8
        .value_kind:     global_buffer
      - .offset:         48
        .size:           8
        .value_kind:     by_value
      - .address_space:  global
        .offset:         56
        .size:           8
        .value_kind:     global_buffer
      - .offset:         64
        .size:           4
        .value_kind:     by_value
      - .offset:         68
        .size:           1
        .value_kind:     by_value
    .group_segment_fixed_size: 0
    .kernarg_segment_align: 8
    .kernarg_segment_size: 72
    .language:       OpenCL C
    .language_version:
      - 2
      - 0
    .max_flat_workgroup_size: 128
    .name:           _ZN9rocsparseL19gebsrmvn_2xn_kernelILj128ELj5ELj4EfEEvi20rocsparse_direction_NS_24const_host_device_scalarIT2_EEPKiS6_PKS3_S8_S4_PS3_21rocsparse_index_base_b
    .private_segment_fixed_size: 0
    .sgpr_count:     24
    .sgpr_spill_count: 0
    .symbol:         _ZN9rocsparseL19gebsrmvn_2xn_kernelILj128ELj5ELj4EfEEvi20rocsparse_direction_NS_24const_host_device_scalarIT2_EEPKiS6_PKS3_S8_S4_PS3_21rocsparse_index_base_b.kd
    .uniform_work_group_size: 1
    .uses_dynamic_stack: false
    .vgpr_count:     33
    .vgpr_spill_count: 0
    .wavefront_size: 64
  - .args:
      - .offset:         0
        .size:           4
        .value_kind:     by_value
      - .offset:         4
        .size:           4
        .value_kind:     by_value
      - .offset:         8
        .size:           8
        .value_kind:     by_value
      - .actual_access:  read_only
        .address_space:  global
        .offset:         16
        .size:           8
        .value_kind:     global_buffer
      - .actual_access:  read_only
        .address_space:  global
        .offset:         24
        .size:           8
        .value_kind:     global_buffer
      - .actual_access:  read_only
        .address_space:  global
        .offset:         32
        .size:           8
        .value_kind:     global_buffer
      - .actual_access:  read_only
        .address_space:  global
        .offset:         40
        .size:           8
        .value_kind:     global_buffer
      - .offset:         48
        .size:           8
        .value_kind:     by_value
      - .address_space:  global
        .offset:         56
        .size:           8
        .value_kind:     global_buffer
      - .offset:         64
        .size:           4
        .value_kind:     by_value
      - .offset:         68
        .size:           1
        .value_kind:     by_value
    .group_segment_fixed_size: 0
    .kernarg_segment_align: 8
    .kernarg_segment_size: 72
    .language:       OpenCL C
    .language_version:
      - 2
      - 0
    .max_flat_workgroup_size: 128
    .name:           _ZN9rocsparseL19gebsrmvn_2xn_kernelILj128ELj5ELj8EfEEvi20rocsparse_direction_NS_24const_host_device_scalarIT2_EEPKiS6_PKS3_S8_S4_PS3_21rocsparse_index_base_b
    .private_segment_fixed_size: 0
    .sgpr_count:     24
    .sgpr_spill_count: 0
    .symbol:         _ZN9rocsparseL19gebsrmvn_2xn_kernelILj128ELj5ELj8EfEEvi20rocsparse_direction_NS_24const_host_device_scalarIT2_EEPKiS6_PKS3_S8_S4_PS3_21rocsparse_index_base_b.kd
    .uniform_work_group_size: 1
    .uses_dynamic_stack: false
    .vgpr_count:     33
    .vgpr_spill_count: 0
    .wavefront_size: 64
  - .args:
      - .offset:         0
        .size:           4
        .value_kind:     by_value
      - .offset:         4
        .size:           4
        .value_kind:     by_value
      - .offset:         8
        .size:           8
        .value_kind:     by_value
      - .actual_access:  read_only
        .address_space:  global
        .offset:         16
        .size:           8
        .value_kind:     global_buffer
      - .actual_access:  read_only
        .address_space:  global
        .offset:         24
        .size:           8
        .value_kind:     global_buffer
      - .actual_access:  read_only
        .address_space:  global
        .offset:         32
        .size:           8
        .value_kind:     global_buffer
      - .actual_access:  read_only
        .address_space:  global
        .offset:         40
        .size:           8
        .value_kind:     global_buffer
      - .offset:         48
        .size:           8
        .value_kind:     by_value
      - .address_space:  global
        .offset:         56
        .size:           8
        .value_kind:     global_buffer
      - .offset:         64
        .size:           4
        .value_kind:     by_value
      - .offset:         68
        .size:           1
        .value_kind:     by_value
    .group_segment_fixed_size: 0
    .kernarg_segment_align: 8
    .kernarg_segment_size: 72
    .language:       OpenCL C
    .language_version:
      - 2
      - 0
    .max_flat_workgroup_size: 128
    .name:           _ZN9rocsparseL19gebsrmvn_2xn_kernelILj128ELj5ELj16EfEEvi20rocsparse_direction_NS_24const_host_device_scalarIT2_EEPKiS6_PKS3_S8_S4_PS3_21rocsparse_index_base_b
    .private_segment_fixed_size: 0
    .sgpr_count:     24
    .sgpr_spill_count: 0
    .symbol:         _ZN9rocsparseL19gebsrmvn_2xn_kernelILj128ELj5ELj16EfEEvi20rocsparse_direction_NS_24const_host_device_scalarIT2_EEPKiS6_PKS3_S8_S4_PS3_21rocsparse_index_base_b.kd
    .uniform_work_group_size: 1
    .uses_dynamic_stack: false
    .vgpr_count:     33
    .vgpr_spill_count: 0
    .wavefront_size: 64
  - .args:
      - .offset:         0
        .size:           4
        .value_kind:     by_value
      - .offset:         4
        .size:           4
        .value_kind:     by_value
      - .offset:         8
        .size:           8
        .value_kind:     by_value
      - .actual_access:  read_only
        .address_space:  global
        .offset:         16
        .size:           8
        .value_kind:     global_buffer
      - .actual_access:  read_only
        .address_space:  global
        .offset:         24
        .size:           8
        .value_kind:     global_buffer
      - .actual_access:  read_only
        .address_space:  global
        .offset:         32
        .size:           8
        .value_kind:     global_buffer
      - .actual_access:  read_only
        .address_space:  global
        .offset:         40
        .size:           8
        .value_kind:     global_buffer
      - .offset:         48
        .size:           8
        .value_kind:     by_value
      - .address_space:  global
        .offset:         56
        .size:           8
        .value_kind:     global_buffer
      - .offset:         64
        .size:           4
        .value_kind:     by_value
      - .offset:         68
        .size:           1
        .value_kind:     by_value
    .group_segment_fixed_size: 0
    .kernarg_segment_align: 8
    .kernarg_segment_size: 72
    .language:       OpenCL C
    .language_version:
      - 2
      - 0
    .max_flat_workgroup_size: 128
    .name:           _ZN9rocsparseL19gebsrmvn_2xn_kernelILj128ELj5ELj32EfEEvi20rocsparse_direction_NS_24const_host_device_scalarIT2_EEPKiS6_PKS3_S8_S4_PS3_21rocsparse_index_base_b
    .private_segment_fixed_size: 0
    .sgpr_count:     24
    .sgpr_spill_count: 0
    .symbol:         _ZN9rocsparseL19gebsrmvn_2xn_kernelILj128ELj5ELj32EfEEvi20rocsparse_direction_NS_24const_host_device_scalarIT2_EEPKiS6_PKS3_S8_S4_PS3_21rocsparse_index_base_b.kd
    .uniform_work_group_size: 1
    .uses_dynamic_stack: false
    .vgpr_count:     33
    .vgpr_spill_count: 0
    .wavefront_size: 64
  - .args:
      - .offset:         0
        .size:           4
        .value_kind:     by_value
      - .offset:         4
        .size:           4
        .value_kind:     by_value
      - .offset:         8
        .size:           8
        .value_kind:     by_value
      - .actual_access:  read_only
        .address_space:  global
        .offset:         16
        .size:           8
        .value_kind:     global_buffer
      - .actual_access:  read_only
        .address_space:  global
        .offset:         24
        .size:           8
        .value_kind:     global_buffer
      - .actual_access:  read_only
        .address_space:  global
        .offset:         32
        .size:           8
        .value_kind:     global_buffer
      - .actual_access:  read_only
        .address_space:  global
        .offset:         40
        .size:           8
        .value_kind:     global_buffer
      - .offset:         48
        .size:           8
        .value_kind:     by_value
      - .address_space:  global
        .offset:         56
        .size:           8
        .value_kind:     global_buffer
      - .offset:         64
        .size:           4
        .value_kind:     by_value
      - .offset:         68
        .size:           1
        .value_kind:     by_value
    .group_segment_fixed_size: 0
    .kernarg_segment_align: 8
    .kernarg_segment_size: 72
    .language:       OpenCL C
    .language_version:
      - 2
      - 0
    .max_flat_workgroup_size: 128
    .name:           _ZN9rocsparseL19gebsrmvn_2xn_kernelILj128ELj5ELj64EfEEvi20rocsparse_direction_NS_24const_host_device_scalarIT2_EEPKiS6_PKS3_S8_S4_PS3_21rocsparse_index_base_b
    .private_segment_fixed_size: 0
    .sgpr_count:     24
    .sgpr_spill_count: 0
    .symbol:         _ZN9rocsparseL19gebsrmvn_2xn_kernelILj128ELj5ELj64EfEEvi20rocsparse_direction_NS_24const_host_device_scalarIT2_EEPKiS6_PKS3_S8_S4_PS3_21rocsparse_index_base_b.kd
    .uniform_work_group_size: 1
    .uses_dynamic_stack: false
    .vgpr_count:     33
    .vgpr_spill_count: 0
    .wavefront_size: 64
  - .args:
      - .offset:         0
        .size:           4
        .value_kind:     by_value
      - .offset:         4
        .size:           4
        .value_kind:     by_value
      - .offset:         8
        .size:           8
        .value_kind:     by_value
      - .actual_access:  read_only
        .address_space:  global
        .offset:         16
        .size:           8
        .value_kind:     global_buffer
      - .actual_access:  read_only
        .address_space:  global
        .offset:         24
        .size:           8
        .value_kind:     global_buffer
      - .actual_access:  read_only
        .address_space:  global
        .offset:         32
        .size:           8
        .value_kind:     global_buffer
      - .actual_access:  read_only
        .address_space:  global
        .offset:         40
        .size:           8
        .value_kind:     global_buffer
      - .offset:         48
        .size:           8
        .value_kind:     by_value
      - .address_space:  global
        .offset:         56
        .size:           8
        .value_kind:     global_buffer
      - .offset:         64
        .size:           4
        .value_kind:     by_value
      - .offset:         68
        .size:           1
        .value_kind:     by_value
    .group_segment_fixed_size: 0
    .kernarg_segment_align: 8
    .kernarg_segment_size: 72
    .language:       OpenCL C
    .language_version:
      - 2
      - 0
    .max_flat_workgroup_size: 128
    .name:           _ZN9rocsparseL19gebsrmvn_2xn_kernelILj128ELj6ELj4EfEEvi20rocsparse_direction_NS_24const_host_device_scalarIT2_EEPKiS6_PKS3_S8_S4_PS3_21rocsparse_index_base_b
    .private_segment_fixed_size: 0
    .sgpr_count:     24
    .sgpr_spill_count: 0
    .symbol:         _ZN9rocsparseL19gebsrmvn_2xn_kernelILj128ELj6ELj4EfEEvi20rocsparse_direction_NS_24const_host_device_scalarIT2_EEPKiS6_PKS3_S8_S4_PS3_21rocsparse_index_base_b.kd
    .uniform_work_group_size: 1
    .uses_dynamic_stack: false
    .vgpr_count:     27
    .vgpr_spill_count: 0
    .wavefront_size: 64
  - .args:
      - .offset:         0
        .size:           4
        .value_kind:     by_value
      - .offset:         4
        .size:           4
        .value_kind:     by_value
      - .offset:         8
        .size:           8
        .value_kind:     by_value
      - .actual_access:  read_only
        .address_space:  global
        .offset:         16
        .size:           8
        .value_kind:     global_buffer
      - .actual_access:  read_only
        .address_space:  global
        .offset:         24
        .size:           8
        .value_kind:     global_buffer
      - .actual_access:  read_only
        .address_space:  global
        .offset:         32
        .size:           8
        .value_kind:     global_buffer
      - .actual_access:  read_only
        .address_space:  global
        .offset:         40
        .size:           8
        .value_kind:     global_buffer
      - .offset:         48
        .size:           8
        .value_kind:     by_value
      - .address_space:  global
        .offset:         56
        .size:           8
        .value_kind:     global_buffer
      - .offset:         64
        .size:           4
        .value_kind:     by_value
      - .offset:         68
        .size:           1
        .value_kind:     by_value
    .group_segment_fixed_size: 0
    .kernarg_segment_align: 8
    .kernarg_segment_size: 72
    .language:       OpenCL C
    .language_version:
      - 2
      - 0
    .max_flat_workgroup_size: 128
    .name:           _ZN9rocsparseL19gebsrmvn_2xn_kernelILj128ELj6ELj8EfEEvi20rocsparse_direction_NS_24const_host_device_scalarIT2_EEPKiS6_PKS3_S8_S4_PS3_21rocsparse_index_base_b
    .private_segment_fixed_size: 0
    .sgpr_count:     24
    .sgpr_spill_count: 0
    .symbol:         _ZN9rocsparseL19gebsrmvn_2xn_kernelILj128ELj6ELj8EfEEvi20rocsparse_direction_NS_24const_host_device_scalarIT2_EEPKiS6_PKS3_S8_S4_PS3_21rocsparse_index_base_b.kd
    .uniform_work_group_size: 1
    .uses_dynamic_stack: false
    .vgpr_count:     27
    .vgpr_spill_count: 0
    .wavefront_size: 64
  - .args:
      - .offset:         0
        .size:           4
        .value_kind:     by_value
      - .offset:         4
        .size:           4
        .value_kind:     by_value
      - .offset:         8
        .size:           8
        .value_kind:     by_value
      - .actual_access:  read_only
        .address_space:  global
        .offset:         16
        .size:           8
        .value_kind:     global_buffer
      - .actual_access:  read_only
        .address_space:  global
        .offset:         24
        .size:           8
        .value_kind:     global_buffer
      - .actual_access:  read_only
        .address_space:  global
        .offset:         32
        .size:           8
        .value_kind:     global_buffer
      - .actual_access:  read_only
        .address_space:  global
        .offset:         40
        .size:           8
        .value_kind:     global_buffer
      - .offset:         48
        .size:           8
        .value_kind:     by_value
      - .address_space:  global
        .offset:         56
        .size:           8
        .value_kind:     global_buffer
      - .offset:         64
        .size:           4
        .value_kind:     by_value
      - .offset:         68
        .size:           1
        .value_kind:     by_value
    .group_segment_fixed_size: 0
    .kernarg_segment_align: 8
    .kernarg_segment_size: 72
    .language:       OpenCL C
    .language_version:
      - 2
      - 0
    .max_flat_workgroup_size: 128
    .name:           _ZN9rocsparseL19gebsrmvn_2xn_kernelILj128ELj6ELj16EfEEvi20rocsparse_direction_NS_24const_host_device_scalarIT2_EEPKiS6_PKS3_S8_S4_PS3_21rocsparse_index_base_b
    .private_segment_fixed_size: 0
    .sgpr_count:     24
    .sgpr_spill_count: 0
    .symbol:         _ZN9rocsparseL19gebsrmvn_2xn_kernelILj128ELj6ELj16EfEEvi20rocsparse_direction_NS_24const_host_device_scalarIT2_EEPKiS6_PKS3_S8_S4_PS3_21rocsparse_index_base_b.kd
    .uniform_work_group_size: 1
    .uses_dynamic_stack: false
    .vgpr_count:     27
    .vgpr_spill_count: 0
    .wavefront_size: 64
  - .args:
      - .offset:         0
        .size:           4
        .value_kind:     by_value
      - .offset:         4
        .size:           4
        .value_kind:     by_value
      - .offset:         8
        .size:           8
        .value_kind:     by_value
      - .actual_access:  read_only
        .address_space:  global
        .offset:         16
        .size:           8
        .value_kind:     global_buffer
      - .actual_access:  read_only
        .address_space:  global
        .offset:         24
        .size:           8
        .value_kind:     global_buffer
      - .actual_access:  read_only
        .address_space:  global
        .offset:         32
        .size:           8
        .value_kind:     global_buffer
      - .actual_access:  read_only
        .address_space:  global
        .offset:         40
        .size:           8
        .value_kind:     global_buffer
      - .offset:         48
        .size:           8
        .value_kind:     by_value
      - .address_space:  global
        .offset:         56
        .size:           8
        .value_kind:     global_buffer
      - .offset:         64
        .size:           4
        .value_kind:     by_value
      - .offset:         68
        .size:           1
        .value_kind:     by_value
    .group_segment_fixed_size: 0
    .kernarg_segment_align: 8
    .kernarg_segment_size: 72
    .language:       OpenCL C
    .language_version:
      - 2
      - 0
    .max_flat_workgroup_size: 128
    .name:           _ZN9rocsparseL19gebsrmvn_2xn_kernelILj128ELj6ELj32EfEEvi20rocsparse_direction_NS_24const_host_device_scalarIT2_EEPKiS6_PKS3_S8_S4_PS3_21rocsparse_index_base_b
    .private_segment_fixed_size: 0
    .sgpr_count:     24
    .sgpr_spill_count: 0
    .symbol:         _ZN9rocsparseL19gebsrmvn_2xn_kernelILj128ELj6ELj32EfEEvi20rocsparse_direction_NS_24const_host_device_scalarIT2_EEPKiS6_PKS3_S8_S4_PS3_21rocsparse_index_base_b.kd
    .uniform_work_group_size: 1
    .uses_dynamic_stack: false
    .vgpr_count:     27
    .vgpr_spill_count: 0
    .wavefront_size: 64
  - .args:
      - .offset:         0
        .size:           4
        .value_kind:     by_value
      - .offset:         4
        .size:           4
        .value_kind:     by_value
      - .offset:         8
        .size:           8
        .value_kind:     by_value
      - .actual_access:  read_only
        .address_space:  global
        .offset:         16
        .size:           8
        .value_kind:     global_buffer
      - .actual_access:  read_only
        .address_space:  global
        .offset:         24
        .size:           8
        .value_kind:     global_buffer
      - .actual_access:  read_only
        .address_space:  global
        .offset:         32
        .size:           8
        .value_kind:     global_buffer
      - .actual_access:  read_only
        .address_space:  global
        .offset:         40
        .size:           8
        .value_kind:     global_buffer
      - .offset:         48
        .size:           8
        .value_kind:     by_value
      - .address_space:  global
        .offset:         56
        .size:           8
        .value_kind:     global_buffer
      - .offset:         64
        .size:           4
        .value_kind:     by_value
      - .offset:         68
        .size:           1
        .value_kind:     by_value
    .group_segment_fixed_size: 0
    .kernarg_segment_align: 8
    .kernarg_segment_size: 72
    .language:       OpenCL C
    .language_version:
      - 2
      - 0
    .max_flat_workgroup_size: 128
    .name:           _ZN9rocsparseL19gebsrmvn_2xn_kernelILj128ELj6ELj64EfEEvi20rocsparse_direction_NS_24const_host_device_scalarIT2_EEPKiS6_PKS3_S8_S4_PS3_21rocsparse_index_base_b
    .private_segment_fixed_size: 0
    .sgpr_count:     24
    .sgpr_spill_count: 0
    .symbol:         _ZN9rocsparseL19gebsrmvn_2xn_kernelILj128ELj6ELj64EfEEvi20rocsparse_direction_NS_24const_host_device_scalarIT2_EEPKiS6_PKS3_S8_S4_PS3_21rocsparse_index_base_b.kd
    .uniform_work_group_size: 1
    .uses_dynamic_stack: false
    .vgpr_count:     27
    .vgpr_spill_count: 0
    .wavefront_size: 64
  - .args:
      - .offset:         0
        .size:           4
        .value_kind:     by_value
      - .offset:         4
        .size:           4
        .value_kind:     by_value
      - .offset:         8
        .size:           8
        .value_kind:     by_value
      - .actual_access:  read_only
        .address_space:  global
        .offset:         16
        .size:           8
        .value_kind:     global_buffer
      - .actual_access:  read_only
        .address_space:  global
        .offset:         24
        .size:           8
        .value_kind:     global_buffer
      - .actual_access:  read_only
        .address_space:  global
        .offset:         32
        .size:           8
        .value_kind:     global_buffer
      - .actual_access:  read_only
        .address_space:  global
        .offset:         40
        .size:           8
        .value_kind:     global_buffer
      - .offset:         48
        .size:           8
        .value_kind:     by_value
      - .address_space:  global
        .offset:         56
        .size:           8
        .value_kind:     global_buffer
      - .offset:         64
        .size:           4
        .value_kind:     by_value
      - .offset:         68
        .size:           1
        .value_kind:     by_value
    .group_segment_fixed_size: 0
    .kernarg_segment_align: 8
    .kernarg_segment_size: 72
    .language:       OpenCL C
    .language_version:
      - 2
      - 0
    .max_flat_workgroup_size: 128
    .name:           _ZN9rocsparseL19gebsrmvn_2xn_kernelILj128ELj7ELj4EfEEvi20rocsparse_direction_NS_24const_host_device_scalarIT2_EEPKiS6_PKS3_S8_S4_PS3_21rocsparse_index_base_b
    .private_segment_fixed_size: 0
    .sgpr_count:     24
    .sgpr_spill_count: 0
    .symbol:         _ZN9rocsparseL19gebsrmvn_2xn_kernelILj128ELj7ELj4EfEEvi20rocsparse_direction_NS_24const_host_device_scalarIT2_EEPKiS6_PKS3_S8_S4_PS3_21rocsparse_index_base_b.kd
    .uniform_work_group_size: 1
    .uses_dynamic_stack: false
    .vgpr_count:     39
    .vgpr_spill_count: 0
    .wavefront_size: 64
  - .args:
      - .offset:         0
        .size:           4
        .value_kind:     by_value
      - .offset:         4
        .size:           4
        .value_kind:     by_value
      - .offset:         8
        .size:           8
        .value_kind:     by_value
      - .actual_access:  read_only
        .address_space:  global
        .offset:         16
        .size:           8
        .value_kind:     global_buffer
      - .actual_access:  read_only
        .address_space:  global
        .offset:         24
        .size:           8
        .value_kind:     global_buffer
      - .actual_access:  read_only
        .address_space:  global
        .offset:         32
        .size:           8
        .value_kind:     global_buffer
      - .actual_access:  read_only
        .address_space:  global
        .offset:         40
        .size:           8
        .value_kind:     global_buffer
      - .offset:         48
        .size:           8
        .value_kind:     by_value
      - .address_space:  global
        .offset:         56
        .size:           8
        .value_kind:     global_buffer
      - .offset:         64
        .size:           4
        .value_kind:     by_value
      - .offset:         68
        .size:           1
        .value_kind:     by_value
    .group_segment_fixed_size: 0
    .kernarg_segment_align: 8
    .kernarg_segment_size: 72
    .language:       OpenCL C
    .language_version:
      - 2
      - 0
    .max_flat_workgroup_size: 128
    .name:           _ZN9rocsparseL19gebsrmvn_2xn_kernelILj128ELj7ELj8EfEEvi20rocsparse_direction_NS_24const_host_device_scalarIT2_EEPKiS6_PKS3_S8_S4_PS3_21rocsparse_index_base_b
    .private_segment_fixed_size: 0
    .sgpr_count:     24
    .sgpr_spill_count: 0
    .symbol:         _ZN9rocsparseL19gebsrmvn_2xn_kernelILj128ELj7ELj8EfEEvi20rocsparse_direction_NS_24const_host_device_scalarIT2_EEPKiS6_PKS3_S8_S4_PS3_21rocsparse_index_base_b.kd
    .uniform_work_group_size: 1
    .uses_dynamic_stack: false
    .vgpr_count:     39
    .vgpr_spill_count: 0
    .wavefront_size: 64
  - .args:
      - .offset:         0
        .size:           4
        .value_kind:     by_value
      - .offset:         4
        .size:           4
        .value_kind:     by_value
      - .offset:         8
        .size:           8
        .value_kind:     by_value
      - .actual_access:  read_only
        .address_space:  global
        .offset:         16
        .size:           8
        .value_kind:     global_buffer
      - .actual_access:  read_only
        .address_space:  global
        .offset:         24
        .size:           8
        .value_kind:     global_buffer
      - .actual_access:  read_only
        .address_space:  global
        .offset:         32
        .size:           8
        .value_kind:     global_buffer
      - .actual_access:  read_only
        .address_space:  global
        .offset:         40
        .size:           8
        .value_kind:     global_buffer
      - .offset:         48
        .size:           8
        .value_kind:     by_value
      - .address_space:  global
        .offset:         56
        .size:           8
        .value_kind:     global_buffer
      - .offset:         64
        .size:           4
        .value_kind:     by_value
      - .offset:         68
        .size:           1
        .value_kind:     by_value
    .group_segment_fixed_size: 0
    .kernarg_segment_align: 8
    .kernarg_segment_size: 72
    .language:       OpenCL C
    .language_version:
      - 2
      - 0
    .max_flat_workgroup_size: 128
    .name:           _ZN9rocsparseL19gebsrmvn_2xn_kernelILj128ELj7ELj16EfEEvi20rocsparse_direction_NS_24const_host_device_scalarIT2_EEPKiS6_PKS3_S8_S4_PS3_21rocsparse_index_base_b
    .private_segment_fixed_size: 0
    .sgpr_count:     24
    .sgpr_spill_count: 0
    .symbol:         _ZN9rocsparseL19gebsrmvn_2xn_kernelILj128ELj7ELj16EfEEvi20rocsparse_direction_NS_24const_host_device_scalarIT2_EEPKiS6_PKS3_S8_S4_PS3_21rocsparse_index_base_b.kd
    .uniform_work_group_size: 1
    .uses_dynamic_stack: false
    .vgpr_count:     39
    .vgpr_spill_count: 0
    .wavefront_size: 64
  - .args:
      - .offset:         0
        .size:           4
        .value_kind:     by_value
      - .offset:         4
        .size:           4
        .value_kind:     by_value
      - .offset:         8
        .size:           8
        .value_kind:     by_value
      - .actual_access:  read_only
        .address_space:  global
        .offset:         16
        .size:           8
        .value_kind:     global_buffer
      - .actual_access:  read_only
        .address_space:  global
        .offset:         24
        .size:           8
        .value_kind:     global_buffer
      - .actual_access:  read_only
        .address_space:  global
        .offset:         32
        .size:           8
        .value_kind:     global_buffer
      - .actual_access:  read_only
        .address_space:  global
        .offset:         40
        .size:           8
        .value_kind:     global_buffer
      - .offset:         48
        .size:           8
        .value_kind:     by_value
      - .address_space:  global
        .offset:         56
        .size:           8
        .value_kind:     global_buffer
      - .offset:         64
        .size:           4
        .value_kind:     by_value
      - .offset:         68
        .size:           1
        .value_kind:     by_value
    .group_segment_fixed_size: 0
    .kernarg_segment_align: 8
    .kernarg_segment_size: 72
    .language:       OpenCL C
    .language_version:
      - 2
      - 0
    .max_flat_workgroup_size: 128
    .name:           _ZN9rocsparseL19gebsrmvn_2xn_kernelILj128ELj7ELj32EfEEvi20rocsparse_direction_NS_24const_host_device_scalarIT2_EEPKiS6_PKS3_S8_S4_PS3_21rocsparse_index_base_b
    .private_segment_fixed_size: 0
    .sgpr_count:     24
    .sgpr_spill_count: 0
    .symbol:         _ZN9rocsparseL19gebsrmvn_2xn_kernelILj128ELj7ELj32EfEEvi20rocsparse_direction_NS_24const_host_device_scalarIT2_EEPKiS6_PKS3_S8_S4_PS3_21rocsparse_index_base_b.kd
    .uniform_work_group_size: 1
    .uses_dynamic_stack: false
    .vgpr_count:     39
    .vgpr_spill_count: 0
    .wavefront_size: 64
  - .args:
      - .offset:         0
        .size:           4
        .value_kind:     by_value
      - .offset:         4
        .size:           4
        .value_kind:     by_value
      - .offset:         8
        .size:           8
        .value_kind:     by_value
      - .actual_access:  read_only
        .address_space:  global
        .offset:         16
        .size:           8
        .value_kind:     global_buffer
      - .actual_access:  read_only
        .address_space:  global
        .offset:         24
        .size:           8
        .value_kind:     global_buffer
      - .actual_access:  read_only
        .address_space:  global
        .offset:         32
        .size:           8
        .value_kind:     global_buffer
      - .actual_access:  read_only
        .address_space:  global
        .offset:         40
        .size:           8
        .value_kind:     global_buffer
      - .offset:         48
        .size:           8
        .value_kind:     by_value
      - .address_space:  global
        .offset:         56
        .size:           8
        .value_kind:     global_buffer
      - .offset:         64
        .size:           4
        .value_kind:     by_value
      - .offset:         68
        .size:           1
        .value_kind:     by_value
    .group_segment_fixed_size: 0
    .kernarg_segment_align: 8
    .kernarg_segment_size: 72
    .language:       OpenCL C
    .language_version:
      - 2
      - 0
    .max_flat_workgroup_size: 128
    .name:           _ZN9rocsparseL19gebsrmvn_2xn_kernelILj128ELj7ELj64EfEEvi20rocsparse_direction_NS_24const_host_device_scalarIT2_EEPKiS6_PKS3_S8_S4_PS3_21rocsparse_index_base_b
    .private_segment_fixed_size: 0
    .sgpr_count:     24
    .sgpr_spill_count: 0
    .symbol:         _ZN9rocsparseL19gebsrmvn_2xn_kernelILj128ELj7ELj64EfEEvi20rocsparse_direction_NS_24const_host_device_scalarIT2_EEPKiS6_PKS3_S8_S4_PS3_21rocsparse_index_base_b.kd
    .uniform_work_group_size: 1
    .uses_dynamic_stack: false
    .vgpr_count:     39
    .vgpr_spill_count: 0
    .wavefront_size: 64
  - .args:
      - .offset:         0
        .size:           4
        .value_kind:     by_value
      - .offset:         4
        .size:           4
        .value_kind:     by_value
      - .offset:         8
        .size:           8
        .value_kind:     by_value
      - .actual_access:  read_only
        .address_space:  global
        .offset:         16
        .size:           8
        .value_kind:     global_buffer
      - .actual_access:  read_only
        .address_space:  global
        .offset:         24
        .size:           8
        .value_kind:     global_buffer
      - .actual_access:  read_only
        .address_space:  global
        .offset:         32
        .size:           8
        .value_kind:     global_buffer
      - .actual_access:  read_only
        .address_space:  global
        .offset:         40
        .size:           8
        .value_kind:     global_buffer
      - .offset:         48
        .size:           8
        .value_kind:     by_value
      - .address_space:  global
        .offset:         56
        .size:           8
        .value_kind:     global_buffer
      - .offset:         64
        .size:           4
        .value_kind:     by_value
      - .offset:         68
        .size:           1
        .value_kind:     by_value
    .group_segment_fixed_size: 0
    .kernarg_segment_align: 8
    .kernarg_segment_size: 72
    .language:       OpenCL C
    .language_version:
      - 2
      - 0
    .max_flat_workgroup_size: 128
    .name:           _ZN9rocsparseL19gebsrmvn_2xn_kernelILj128ELj8ELj4EfEEvi20rocsparse_direction_NS_24const_host_device_scalarIT2_EEPKiS6_PKS3_S8_S4_PS3_21rocsparse_index_base_b
    .private_segment_fixed_size: 0
    .sgpr_count:     24
    .sgpr_spill_count: 0
    .symbol:         _ZN9rocsparseL19gebsrmvn_2xn_kernelILj128ELj8ELj4EfEEvi20rocsparse_direction_NS_24const_host_device_scalarIT2_EEPKiS6_PKS3_S8_S4_PS3_21rocsparse_index_base_b.kd
    .uniform_work_group_size: 1
    .uses_dynamic_stack: false
    .vgpr_count:     25
    .vgpr_spill_count: 0
    .wavefront_size: 64
  - .args:
      - .offset:         0
        .size:           4
        .value_kind:     by_value
      - .offset:         4
        .size:           4
        .value_kind:     by_value
      - .offset:         8
        .size:           8
        .value_kind:     by_value
      - .actual_access:  read_only
        .address_space:  global
        .offset:         16
        .size:           8
        .value_kind:     global_buffer
      - .actual_access:  read_only
        .address_space:  global
        .offset:         24
        .size:           8
        .value_kind:     global_buffer
      - .actual_access:  read_only
        .address_space:  global
        .offset:         32
        .size:           8
        .value_kind:     global_buffer
      - .actual_access:  read_only
        .address_space:  global
        .offset:         40
        .size:           8
        .value_kind:     global_buffer
      - .offset:         48
        .size:           8
        .value_kind:     by_value
      - .address_space:  global
        .offset:         56
        .size:           8
        .value_kind:     global_buffer
      - .offset:         64
        .size:           4
        .value_kind:     by_value
      - .offset:         68
        .size:           1
        .value_kind:     by_value
    .group_segment_fixed_size: 0
    .kernarg_segment_align: 8
    .kernarg_segment_size: 72
    .language:       OpenCL C
    .language_version:
      - 2
      - 0
    .max_flat_workgroup_size: 128
    .name:           _ZN9rocsparseL19gebsrmvn_2xn_kernelILj128ELj8ELj8EfEEvi20rocsparse_direction_NS_24const_host_device_scalarIT2_EEPKiS6_PKS3_S8_S4_PS3_21rocsparse_index_base_b
    .private_segment_fixed_size: 0
    .sgpr_count:     24
    .sgpr_spill_count: 0
    .symbol:         _ZN9rocsparseL19gebsrmvn_2xn_kernelILj128ELj8ELj8EfEEvi20rocsparse_direction_NS_24const_host_device_scalarIT2_EEPKiS6_PKS3_S8_S4_PS3_21rocsparse_index_base_b.kd
    .uniform_work_group_size: 1
    .uses_dynamic_stack: false
    .vgpr_count:     25
    .vgpr_spill_count: 0
    .wavefront_size: 64
  - .args:
      - .offset:         0
        .size:           4
        .value_kind:     by_value
      - .offset:         4
        .size:           4
        .value_kind:     by_value
      - .offset:         8
        .size:           8
        .value_kind:     by_value
      - .actual_access:  read_only
        .address_space:  global
        .offset:         16
        .size:           8
        .value_kind:     global_buffer
      - .actual_access:  read_only
        .address_space:  global
        .offset:         24
        .size:           8
        .value_kind:     global_buffer
      - .actual_access:  read_only
        .address_space:  global
        .offset:         32
        .size:           8
        .value_kind:     global_buffer
      - .actual_access:  read_only
        .address_space:  global
        .offset:         40
        .size:           8
        .value_kind:     global_buffer
      - .offset:         48
        .size:           8
        .value_kind:     by_value
      - .address_space:  global
        .offset:         56
        .size:           8
        .value_kind:     global_buffer
      - .offset:         64
        .size:           4
        .value_kind:     by_value
      - .offset:         68
        .size:           1
        .value_kind:     by_value
    .group_segment_fixed_size: 0
    .kernarg_segment_align: 8
    .kernarg_segment_size: 72
    .language:       OpenCL C
    .language_version:
      - 2
      - 0
    .max_flat_workgroup_size: 128
    .name:           _ZN9rocsparseL19gebsrmvn_2xn_kernelILj128ELj8ELj16EfEEvi20rocsparse_direction_NS_24const_host_device_scalarIT2_EEPKiS6_PKS3_S8_S4_PS3_21rocsparse_index_base_b
    .private_segment_fixed_size: 0
    .sgpr_count:     24
    .sgpr_spill_count: 0
    .symbol:         _ZN9rocsparseL19gebsrmvn_2xn_kernelILj128ELj8ELj16EfEEvi20rocsparse_direction_NS_24const_host_device_scalarIT2_EEPKiS6_PKS3_S8_S4_PS3_21rocsparse_index_base_b.kd
    .uniform_work_group_size: 1
    .uses_dynamic_stack: false
    .vgpr_count:     25
    .vgpr_spill_count: 0
    .wavefront_size: 64
  - .args:
      - .offset:         0
        .size:           4
        .value_kind:     by_value
      - .offset:         4
        .size:           4
        .value_kind:     by_value
      - .offset:         8
        .size:           8
        .value_kind:     by_value
      - .actual_access:  read_only
        .address_space:  global
        .offset:         16
        .size:           8
        .value_kind:     global_buffer
      - .actual_access:  read_only
        .address_space:  global
        .offset:         24
        .size:           8
        .value_kind:     global_buffer
      - .actual_access:  read_only
        .address_space:  global
        .offset:         32
        .size:           8
        .value_kind:     global_buffer
      - .actual_access:  read_only
        .address_space:  global
        .offset:         40
        .size:           8
        .value_kind:     global_buffer
      - .offset:         48
        .size:           8
        .value_kind:     by_value
      - .address_space:  global
        .offset:         56
        .size:           8
        .value_kind:     global_buffer
      - .offset:         64
        .size:           4
        .value_kind:     by_value
      - .offset:         68
        .size:           1
        .value_kind:     by_value
    .group_segment_fixed_size: 0
    .kernarg_segment_align: 8
    .kernarg_segment_size: 72
    .language:       OpenCL C
    .language_version:
      - 2
      - 0
    .max_flat_workgroup_size: 128
    .name:           _ZN9rocsparseL19gebsrmvn_2xn_kernelILj128ELj8ELj32EfEEvi20rocsparse_direction_NS_24const_host_device_scalarIT2_EEPKiS6_PKS3_S8_S4_PS3_21rocsparse_index_base_b
    .private_segment_fixed_size: 0
    .sgpr_count:     24
    .sgpr_spill_count: 0
    .symbol:         _ZN9rocsparseL19gebsrmvn_2xn_kernelILj128ELj8ELj32EfEEvi20rocsparse_direction_NS_24const_host_device_scalarIT2_EEPKiS6_PKS3_S8_S4_PS3_21rocsparse_index_base_b.kd
    .uniform_work_group_size: 1
    .uses_dynamic_stack: false
    .vgpr_count:     25
    .vgpr_spill_count: 0
    .wavefront_size: 64
  - .args:
      - .offset:         0
        .size:           4
        .value_kind:     by_value
      - .offset:         4
        .size:           4
        .value_kind:     by_value
      - .offset:         8
        .size:           8
        .value_kind:     by_value
      - .actual_access:  read_only
        .address_space:  global
        .offset:         16
        .size:           8
        .value_kind:     global_buffer
      - .actual_access:  read_only
        .address_space:  global
        .offset:         24
        .size:           8
        .value_kind:     global_buffer
      - .actual_access:  read_only
        .address_space:  global
        .offset:         32
        .size:           8
        .value_kind:     global_buffer
      - .actual_access:  read_only
        .address_space:  global
        .offset:         40
        .size:           8
        .value_kind:     global_buffer
      - .offset:         48
        .size:           8
        .value_kind:     by_value
      - .address_space:  global
        .offset:         56
        .size:           8
        .value_kind:     global_buffer
      - .offset:         64
        .size:           4
        .value_kind:     by_value
      - .offset:         68
        .size:           1
        .value_kind:     by_value
    .group_segment_fixed_size: 0
    .kernarg_segment_align: 8
    .kernarg_segment_size: 72
    .language:       OpenCL C
    .language_version:
      - 2
      - 0
    .max_flat_workgroup_size: 128
    .name:           _ZN9rocsparseL19gebsrmvn_2xn_kernelILj128ELj8ELj64EfEEvi20rocsparse_direction_NS_24const_host_device_scalarIT2_EEPKiS6_PKS3_S8_S4_PS3_21rocsparse_index_base_b
    .private_segment_fixed_size: 0
    .sgpr_count:     24
    .sgpr_spill_count: 0
    .symbol:         _ZN9rocsparseL19gebsrmvn_2xn_kernelILj128ELj8ELj64EfEEvi20rocsparse_direction_NS_24const_host_device_scalarIT2_EEPKiS6_PKS3_S8_S4_PS3_21rocsparse_index_base_b.kd
    .uniform_work_group_size: 1
    .uses_dynamic_stack: false
    .vgpr_count:     25
    .vgpr_spill_count: 0
    .wavefront_size: 64
  - .args:
      - .offset:         0
        .size:           4
        .value_kind:     by_value
      - .offset:         4
        .size:           4
        .value_kind:     by_value
      - .offset:         8
        .size:           8
        .value_kind:     by_value
      - .actual_access:  read_only
        .address_space:  global
        .offset:         16
        .size:           8
        .value_kind:     global_buffer
      - .actual_access:  read_only
        .address_space:  global
        .offset:         24
        .size:           8
        .value_kind:     global_buffer
      - .actual_access:  read_only
        .address_space:  global
        .offset:         32
        .size:           8
        .value_kind:     global_buffer
      - .actual_access:  read_only
        .address_space:  global
        .offset:         40
        .size:           8
        .value_kind:     global_buffer
      - .offset:         48
        .size:           8
        .value_kind:     by_value
      - .address_space:  global
        .offset:         56
        .size:           8
        .value_kind:     global_buffer
      - .offset:         64
        .size:           4
        .value_kind:     by_value
      - .offset:         68
        .size:           1
        .value_kind:     by_value
    .group_segment_fixed_size: 0
    .kernarg_segment_align: 8
    .kernarg_segment_size: 72
    .language:       OpenCL C
    .language_version:
      - 2
      - 0
    .max_flat_workgroup_size: 128
    .name:           _ZN9rocsparseL19gebsrmvn_2xn_kernelILj128ELj9ELj4EfEEvi20rocsparse_direction_NS_24const_host_device_scalarIT2_EEPKiS6_PKS3_S8_S4_PS3_21rocsparse_index_base_b
    .private_segment_fixed_size: 0
    .sgpr_count:     24
    .sgpr_spill_count: 0
    .symbol:         _ZN9rocsparseL19gebsrmvn_2xn_kernelILj128ELj9ELj4EfEEvi20rocsparse_direction_NS_24const_host_device_scalarIT2_EEPKiS6_PKS3_S8_S4_PS3_21rocsparse_index_base_b.kd
    .uniform_work_group_size: 1
    .uses_dynamic_stack: false
    .vgpr_count:     45
    .vgpr_spill_count: 0
    .wavefront_size: 64
  - .args:
      - .offset:         0
        .size:           4
        .value_kind:     by_value
      - .offset:         4
        .size:           4
        .value_kind:     by_value
      - .offset:         8
        .size:           8
        .value_kind:     by_value
      - .actual_access:  read_only
        .address_space:  global
        .offset:         16
        .size:           8
        .value_kind:     global_buffer
      - .actual_access:  read_only
        .address_space:  global
        .offset:         24
        .size:           8
        .value_kind:     global_buffer
      - .actual_access:  read_only
        .address_space:  global
        .offset:         32
        .size:           8
        .value_kind:     global_buffer
      - .actual_access:  read_only
        .address_space:  global
        .offset:         40
        .size:           8
        .value_kind:     global_buffer
      - .offset:         48
        .size:           8
        .value_kind:     by_value
      - .address_space:  global
        .offset:         56
        .size:           8
        .value_kind:     global_buffer
      - .offset:         64
        .size:           4
        .value_kind:     by_value
      - .offset:         68
        .size:           1
        .value_kind:     by_value
    .group_segment_fixed_size: 0
    .kernarg_segment_align: 8
    .kernarg_segment_size: 72
    .language:       OpenCL C
    .language_version:
      - 2
      - 0
    .max_flat_workgroup_size: 128
    .name:           _ZN9rocsparseL19gebsrmvn_2xn_kernelILj128ELj9ELj8EfEEvi20rocsparse_direction_NS_24const_host_device_scalarIT2_EEPKiS6_PKS3_S8_S4_PS3_21rocsparse_index_base_b
    .private_segment_fixed_size: 0
    .sgpr_count:     24
    .sgpr_spill_count: 0
    .symbol:         _ZN9rocsparseL19gebsrmvn_2xn_kernelILj128ELj9ELj8EfEEvi20rocsparse_direction_NS_24const_host_device_scalarIT2_EEPKiS6_PKS3_S8_S4_PS3_21rocsparse_index_base_b.kd
    .uniform_work_group_size: 1
    .uses_dynamic_stack: false
    .vgpr_count:     45
    .vgpr_spill_count: 0
    .wavefront_size: 64
  - .args:
      - .offset:         0
        .size:           4
        .value_kind:     by_value
      - .offset:         4
        .size:           4
        .value_kind:     by_value
      - .offset:         8
        .size:           8
        .value_kind:     by_value
      - .actual_access:  read_only
        .address_space:  global
        .offset:         16
        .size:           8
        .value_kind:     global_buffer
      - .actual_access:  read_only
        .address_space:  global
        .offset:         24
        .size:           8
        .value_kind:     global_buffer
      - .actual_access:  read_only
        .address_space:  global
        .offset:         32
        .size:           8
        .value_kind:     global_buffer
      - .actual_access:  read_only
        .address_space:  global
        .offset:         40
        .size:           8
        .value_kind:     global_buffer
      - .offset:         48
        .size:           8
        .value_kind:     by_value
      - .address_space:  global
        .offset:         56
        .size:           8
        .value_kind:     global_buffer
      - .offset:         64
        .size:           4
        .value_kind:     by_value
      - .offset:         68
        .size:           1
        .value_kind:     by_value
    .group_segment_fixed_size: 0
    .kernarg_segment_align: 8
    .kernarg_segment_size: 72
    .language:       OpenCL C
    .language_version:
      - 2
      - 0
    .max_flat_workgroup_size: 128
    .name:           _ZN9rocsparseL19gebsrmvn_2xn_kernelILj128ELj9ELj16EfEEvi20rocsparse_direction_NS_24const_host_device_scalarIT2_EEPKiS6_PKS3_S8_S4_PS3_21rocsparse_index_base_b
    .private_segment_fixed_size: 0
    .sgpr_count:     24
    .sgpr_spill_count: 0
    .symbol:         _ZN9rocsparseL19gebsrmvn_2xn_kernelILj128ELj9ELj16EfEEvi20rocsparse_direction_NS_24const_host_device_scalarIT2_EEPKiS6_PKS3_S8_S4_PS3_21rocsparse_index_base_b.kd
    .uniform_work_group_size: 1
    .uses_dynamic_stack: false
    .vgpr_count:     45
    .vgpr_spill_count: 0
    .wavefront_size: 64
  - .args:
      - .offset:         0
        .size:           4
        .value_kind:     by_value
      - .offset:         4
        .size:           4
        .value_kind:     by_value
      - .offset:         8
        .size:           8
        .value_kind:     by_value
      - .actual_access:  read_only
        .address_space:  global
        .offset:         16
        .size:           8
        .value_kind:     global_buffer
      - .actual_access:  read_only
        .address_space:  global
        .offset:         24
        .size:           8
        .value_kind:     global_buffer
      - .actual_access:  read_only
        .address_space:  global
        .offset:         32
        .size:           8
        .value_kind:     global_buffer
      - .actual_access:  read_only
        .address_space:  global
        .offset:         40
        .size:           8
        .value_kind:     global_buffer
      - .offset:         48
        .size:           8
        .value_kind:     by_value
      - .address_space:  global
        .offset:         56
        .size:           8
        .value_kind:     global_buffer
      - .offset:         64
        .size:           4
        .value_kind:     by_value
      - .offset:         68
        .size:           1
        .value_kind:     by_value
    .group_segment_fixed_size: 0
    .kernarg_segment_align: 8
    .kernarg_segment_size: 72
    .language:       OpenCL C
    .language_version:
      - 2
      - 0
    .max_flat_workgroup_size: 128
    .name:           _ZN9rocsparseL19gebsrmvn_2xn_kernelILj128ELj9ELj32EfEEvi20rocsparse_direction_NS_24const_host_device_scalarIT2_EEPKiS6_PKS3_S8_S4_PS3_21rocsparse_index_base_b
    .private_segment_fixed_size: 0
    .sgpr_count:     24
    .sgpr_spill_count: 0
    .symbol:         _ZN9rocsparseL19gebsrmvn_2xn_kernelILj128ELj9ELj32EfEEvi20rocsparse_direction_NS_24const_host_device_scalarIT2_EEPKiS6_PKS3_S8_S4_PS3_21rocsparse_index_base_b.kd
    .uniform_work_group_size: 1
    .uses_dynamic_stack: false
    .vgpr_count:     45
    .vgpr_spill_count: 0
    .wavefront_size: 64
  - .args:
      - .offset:         0
        .size:           4
        .value_kind:     by_value
      - .offset:         4
        .size:           4
        .value_kind:     by_value
      - .offset:         8
        .size:           8
        .value_kind:     by_value
      - .actual_access:  read_only
        .address_space:  global
        .offset:         16
        .size:           8
        .value_kind:     global_buffer
      - .actual_access:  read_only
        .address_space:  global
        .offset:         24
        .size:           8
        .value_kind:     global_buffer
      - .actual_access:  read_only
        .address_space:  global
        .offset:         32
        .size:           8
        .value_kind:     global_buffer
      - .actual_access:  read_only
        .address_space:  global
        .offset:         40
        .size:           8
        .value_kind:     global_buffer
      - .offset:         48
        .size:           8
        .value_kind:     by_value
      - .address_space:  global
        .offset:         56
        .size:           8
        .value_kind:     global_buffer
      - .offset:         64
        .size:           4
        .value_kind:     by_value
      - .offset:         68
        .size:           1
        .value_kind:     by_value
    .group_segment_fixed_size: 0
    .kernarg_segment_align: 8
    .kernarg_segment_size: 72
    .language:       OpenCL C
    .language_version:
      - 2
      - 0
    .max_flat_workgroup_size: 128
    .name:           _ZN9rocsparseL19gebsrmvn_2xn_kernelILj128ELj9ELj64EfEEvi20rocsparse_direction_NS_24const_host_device_scalarIT2_EEPKiS6_PKS3_S8_S4_PS3_21rocsparse_index_base_b
    .private_segment_fixed_size: 0
    .sgpr_count:     24
    .sgpr_spill_count: 0
    .symbol:         _ZN9rocsparseL19gebsrmvn_2xn_kernelILj128ELj9ELj64EfEEvi20rocsparse_direction_NS_24const_host_device_scalarIT2_EEPKiS6_PKS3_S8_S4_PS3_21rocsparse_index_base_b.kd
    .uniform_work_group_size: 1
    .uses_dynamic_stack: false
    .vgpr_count:     45
    .vgpr_spill_count: 0
    .wavefront_size: 64
  - .args:
      - .offset:         0
        .size:           4
        .value_kind:     by_value
      - .offset:         4
        .size:           4
        .value_kind:     by_value
      - .offset:         8
        .size:           8
        .value_kind:     by_value
      - .actual_access:  read_only
        .address_space:  global
        .offset:         16
        .size:           8
        .value_kind:     global_buffer
      - .actual_access:  read_only
        .address_space:  global
        .offset:         24
        .size:           8
        .value_kind:     global_buffer
      - .actual_access:  read_only
        .address_space:  global
        .offset:         32
        .size:           8
        .value_kind:     global_buffer
      - .actual_access:  read_only
        .address_space:  global
        .offset:         40
        .size:           8
        .value_kind:     global_buffer
      - .offset:         48
        .size:           8
        .value_kind:     by_value
      - .address_space:  global
        .offset:         56
        .size:           8
        .value_kind:     global_buffer
      - .offset:         64
        .size:           4
        .value_kind:     by_value
      - .offset:         68
        .size:           1
        .value_kind:     by_value
    .group_segment_fixed_size: 0
    .kernarg_segment_align: 8
    .kernarg_segment_size: 72
    .language:       OpenCL C
    .language_version:
      - 2
      - 0
    .max_flat_workgroup_size: 128
    .name:           _ZN9rocsparseL19gebsrmvn_2xn_kernelILj128ELj10ELj4EfEEvi20rocsparse_direction_NS_24const_host_device_scalarIT2_EEPKiS6_PKS3_S8_S4_PS3_21rocsparse_index_base_b
    .private_segment_fixed_size: 0
    .sgpr_count:     24
    .sgpr_spill_count: 0
    .symbol:         _ZN9rocsparseL19gebsrmvn_2xn_kernelILj128ELj10ELj4EfEEvi20rocsparse_direction_NS_24const_host_device_scalarIT2_EEPKiS6_PKS3_S8_S4_PS3_21rocsparse_index_base_b.kd
    .uniform_work_group_size: 1
    .uses_dynamic_stack: false
    .vgpr_count:     30
    .vgpr_spill_count: 0
    .wavefront_size: 64
  - .args:
      - .offset:         0
        .size:           4
        .value_kind:     by_value
      - .offset:         4
        .size:           4
        .value_kind:     by_value
      - .offset:         8
        .size:           8
        .value_kind:     by_value
      - .actual_access:  read_only
        .address_space:  global
        .offset:         16
        .size:           8
        .value_kind:     global_buffer
      - .actual_access:  read_only
        .address_space:  global
        .offset:         24
        .size:           8
        .value_kind:     global_buffer
      - .actual_access:  read_only
        .address_space:  global
        .offset:         32
        .size:           8
        .value_kind:     global_buffer
      - .actual_access:  read_only
        .address_space:  global
        .offset:         40
        .size:           8
        .value_kind:     global_buffer
      - .offset:         48
        .size:           8
        .value_kind:     by_value
      - .address_space:  global
        .offset:         56
        .size:           8
        .value_kind:     global_buffer
      - .offset:         64
        .size:           4
        .value_kind:     by_value
      - .offset:         68
        .size:           1
        .value_kind:     by_value
    .group_segment_fixed_size: 0
    .kernarg_segment_align: 8
    .kernarg_segment_size: 72
    .language:       OpenCL C
    .language_version:
      - 2
      - 0
    .max_flat_workgroup_size: 128
    .name:           _ZN9rocsparseL19gebsrmvn_2xn_kernelILj128ELj10ELj8EfEEvi20rocsparse_direction_NS_24const_host_device_scalarIT2_EEPKiS6_PKS3_S8_S4_PS3_21rocsparse_index_base_b
    .private_segment_fixed_size: 0
    .sgpr_count:     24
    .sgpr_spill_count: 0
    .symbol:         _ZN9rocsparseL19gebsrmvn_2xn_kernelILj128ELj10ELj8EfEEvi20rocsparse_direction_NS_24const_host_device_scalarIT2_EEPKiS6_PKS3_S8_S4_PS3_21rocsparse_index_base_b.kd
    .uniform_work_group_size: 1
    .uses_dynamic_stack: false
    .vgpr_count:     30
    .vgpr_spill_count: 0
    .wavefront_size: 64
  - .args:
      - .offset:         0
        .size:           4
        .value_kind:     by_value
      - .offset:         4
        .size:           4
        .value_kind:     by_value
      - .offset:         8
        .size:           8
        .value_kind:     by_value
      - .actual_access:  read_only
        .address_space:  global
        .offset:         16
        .size:           8
        .value_kind:     global_buffer
      - .actual_access:  read_only
        .address_space:  global
        .offset:         24
        .size:           8
        .value_kind:     global_buffer
      - .actual_access:  read_only
        .address_space:  global
        .offset:         32
        .size:           8
        .value_kind:     global_buffer
      - .actual_access:  read_only
        .address_space:  global
        .offset:         40
        .size:           8
        .value_kind:     global_buffer
      - .offset:         48
        .size:           8
        .value_kind:     by_value
      - .address_space:  global
        .offset:         56
        .size:           8
        .value_kind:     global_buffer
      - .offset:         64
        .size:           4
        .value_kind:     by_value
      - .offset:         68
        .size:           1
        .value_kind:     by_value
    .group_segment_fixed_size: 0
    .kernarg_segment_align: 8
    .kernarg_segment_size: 72
    .language:       OpenCL C
    .language_version:
      - 2
      - 0
    .max_flat_workgroup_size: 128
    .name:           _ZN9rocsparseL19gebsrmvn_2xn_kernelILj128ELj10ELj16EfEEvi20rocsparse_direction_NS_24const_host_device_scalarIT2_EEPKiS6_PKS3_S8_S4_PS3_21rocsparse_index_base_b
    .private_segment_fixed_size: 0
    .sgpr_count:     24
    .sgpr_spill_count: 0
    .symbol:         _ZN9rocsparseL19gebsrmvn_2xn_kernelILj128ELj10ELj16EfEEvi20rocsparse_direction_NS_24const_host_device_scalarIT2_EEPKiS6_PKS3_S8_S4_PS3_21rocsparse_index_base_b.kd
    .uniform_work_group_size: 1
    .uses_dynamic_stack: false
    .vgpr_count:     30
    .vgpr_spill_count: 0
    .wavefront_size: 64
  - .args:
      - .offset:         0
        .size:           4
        .value_kind:     by_value
      - .offset:         4
        .size:           4
        .value_kind:     by_value
      - .offset:         8
        .size:           8
        .value_kind:     by_value
      - .actual_access:  read_only
        .address_space:  global
        .offset:         16
        .size:           8
        .value_kind:     global_buffer
      - .actual_access:  read_only
        .address_space:  global
        .offset:         24
        .size:           8
        .value_kind:     global_buffer
      - .actual_access:  read_only
        .address_space:  global
        .offset:         32
        .size:           8
        .value_kind:     global_buffer
      - .actual_access:  read_only
        .address_space:  global
        .offset:         40
        .size:           8
        .value_kind:     global_buffer
      - .offset:         48
        .size:           8
        .value_kind:     by_value
      - .address_space:  global
        .offset:         56
        .size:           8
        .value_kind:     global_buffer
      - .offset:         64
        .size:           4
        .value_kind:     by_value
      - .offset:         68
        .size:           1
        .value_kind:     by_value
    .group_segment_fixed_size: 0
    .kernarg_segment_align: 8
    .kernarg_segment_size: 72
    .language:       OpenCL C
    .language_version:
      - 2
      - 0
    .max_flat_workgroup_size: 128
    .name:           _ZN9rocsparseL19gebsrmvn_2xn_kernelILj128ELj10ELj32EfEEvi20rocsparse_direction_NS_24const_host_device_scalarIT2_EEPKiS6_PKS3_S8_S4_PS3_21rocsparse_index_base_b
    .private_segment_fixed_size: 0
    .sgpr_count:     24
    .sgpr_spill_count: 0
    .symbol:         _ZN9rocsparseL19gebsrmvn_2xn_kernelILj128ELj10ELj32EfEEvi20rocsparse_direction_NS_24const_host_device_scalarIT2_EEPKiS6_PKS3_S8_S4_PS3_21rocsparse_index_base_b.kd
    .uniform_work_group_size: 1
    .uses_dynamic_stack: false
    .vgpr_count:     30
    .vgpr_spill_count: 0
    .wavefront_size: 64
  - .args:
      - .offset:         0
        .size:           4
        .value_kind:     by_value
      - .offset:         4
        .size:           4
        .value_kind:     by_value
      - .offset:         8
        .size:           8
        .value_kind:     by_value
      - .actual_access:  read_only
        .address_space:  global
        .offset:         16
        .size:           8
        .value_kind:     global_buffer
      - .actual_access:  read_only
        .address_space:  global
        .offset:         24
        .size:           8
        .value_kind:     global_buffer
      - .actual_access:  read_only
        .address_space:  global
        .offset:         32
        .size:           8
        .value_kind:     global_buffer
      - .actual_access:  read_only
        .address_space:  global
        .offset:         40
        .size:           8
        .value_kind:     global_buffer
      - .offset:         48
        .size:           8
        .value_kind:     by_value
      - .address_space:  global
        .offset:         56
        .size:           8
        .value_kind:     global_buffer
      - .offset:         64
        .size:           4
        .value_kind:     by_value
      - .offset:         68
        .size:           1
        .value_kind:     by_value
    .group_segment_fixed_size: 0
    .kernarg_segment_align: 8
    .kernarg_segment_size: 72
    .language:       OpenCL C
    .language_version:
      - 2
      - 0
    .max_flat_workgroup_size: 128
    .name:           _ZN9rocsparseL19gebsrmvn_2xn_kernelILj128ELj10ELj64EfEEvi20rocsparse_direction_NS_24const_host_device_scalarIT2_EEPKiS6_PKS3_S8_S4_PS3_21rocsparse_index_base_b
    .private_segment_fixed_size: 0
    .sgpr_count:     24
    .sgpr_spill_count: 0
    .symbol:         _ZN9rocsparseL19gebsrmvn_2xn_kernelILj128ELj10ELj64EfEEvi20rocsparse_direction_NS_24const_host_device_scalarIT2_EEPKiS6_PKS3_S8_S4_PS3_21rocsparse_index_base_b.kd
    .uniform_work_group_size: 1
    .uses_dynamic_stack: false
    .vgpr_count:     30
    .vgpr_spill_count: 0
    .wavefront_size: 64
  - .args:
      - .offset:         0
        .size:           4
        .value_kind:     by_value
      - .offset:         4
        .size:           4
        .value_kind:     by_value
      - .offset:         8
        .size:           8
        .value_kind:     by_value
      - .actual_access:  read_only
        .address_space:  global
        .offset:         16
        .size:           8
        .value_kind:     global_buffer
      - .actual_access:  read_only
        .address_space:  global
        .offset:         24
        .size:           8
        .value_kind:     global_buffer
      - .actual_access:  read_only
        .address_space:  global
        .offset:         32
        .size:           8
        .value_kind:     global_buffer
      - .actual_access:  read_only
        .address_space:  global
        .offset:         40
        .size:           8
        .value_kind:     global_buffer
      - .offset:         48
        .size:           8
        .value_kind:     by_value
      - .address_space:  global
        .offset:         56
        .size:           8
        .value_kind:     global_buffer
      - .offset:         64
        .size:           4
        .value_kind:     by_value
      - .offset:         68
        .size:           1
        .value_kind:     by_value
    .group_segment_fixed_size: 0
    .kernarg_segment_align: 8
    .kernarg_segment_size: 72
    .language:       OpenCL C
    .language_version:
      - 2
      - 0
    .max_flat_workgroup_size: 128
    .name:           _ZN9rocsparseL19gebsrmvn_2xn_kernelILj128ELj11ELj4EfEEvi20rocsparse_direction_NS_24const_host_device_scalarIT2_EEPKiS6_PKS3_S8_S4_PS3_21rocsparse_index_base_b
    .private_segment_fixed_size: 0
    .sgpr_count:     24
    .sgpr_spill_count: 0
    .symbol:         _ZN9rocsparseL19gebsrmvn_2xn_kernelILj128ELj11ELj4EfEEvi20rocsparse_direction_NS_24const_host_device_scalarIT2_EEPKiS6_PKS3_S8_S4_PS3_21rocsparse_index_base_b.kd
    .uniform_work_group_size: 1
    .uses_dynamic_stack: false
    .vgpr_count:     26
    .vgpr_spill_count: 0
    .wavefront_size: 64
  - .args:
      - .offset:         0
        .size:           4
        .value_kind:     by_value
      - .offset:         4
        .size:           4
        .value_kind:     by_value
      - .offset:         8
        .size:           8
        .value_kind:     by_value
      - .actual_access:  read_only
        .address_space:  global
        .offset:         16
        .size:           8
        .value_kind:     global_buffer
      - .actual_access:  read_only
        .address_space:  global
        .offset:         24
        .size:           8
        .value_kind:     global_buffer
      - .actual_access:  read_only
        .address_space:  global
        .offset:         32
        .size:           8
        .value_kind:     global_buffer
      - .actual_access:  read_only
        .address_space:  global
        .offset:         40
        .size:           8
        .value_kind:     global_buffer
      - .offset:         48
        .size:           8
        .value_kind:     by_value
      - .address_space:  global
        .offset:         56
        .size:           8
        .value_kind:     global_buffer
      - .offset:         64
        .size:           4
        .value_kind:     by_value
      - .offset:         68
        .size:           1
        .value_kind:     by_value
    .group_segment_fixed_size: 0
    .kernarg_segment_align: 8
    .kernarg_segment_size: 72
    .language:       OpenCL C
    .language_version:
      - 2
      - 0
    .max_flat_workgroup_size: 128
    .name:           _ZN9rocsparseL19gebsrmvn_2xn_kernelILj128ELj11ELj8EfEEvi20rocsparse_direction_NS_24const_host_device_scalarIT2_EEPKiS6_PKS3_S8_S4_PS3_21rocsparse_index_base_b
    .private_segment_fixed_size: 0
    .sgpr_count:     24
    .sgpr_spill_count: 0
    .symbol:         _ZN9rocsparseL19gebsrmvn_2xn_kernelILj128ELj11ELj8EfEEvi20rocsparse_direction_NS_24const_host_device_scalarIT2_EEPKiS6_PKS3_S8_S4_PS3_21rocsparse_index_base_b.kd
    .uniform_work_group_size: 1
    .uses_dynamic_stack: false
    .vgpr_count:     26
    .vgpr_spill_count: 0
    .wavefront_size: 64
  - .args:
      - .offset:         0
        .size:           4
        .value_kind:     by_value
      - .offset:         4
        .size:           4
        .value_kind:     by_value
      - .offset:         8
        .size:           8
        .value_kind:     by_value
      - .actual_access:  read_only
        .address_space:  global
        .offset:         16
        .size:           8
        .value_kind:     global_buffer
      - .actual_access:  read_only
        .address_space:  global
        .offset:         24
        .size:           8
        .value_kind:     global_buffer
      - .actual_access:  read_only
        .address_space:  global
        .offset:         32
        .size:           8
        .value_kind:     global_buffer
      - .actual_access:  read_only
        .address_space:  global
        .offset:         40
        .size:           8
        .value_kind:     global_buffer
      - .offset:         48
        .size:           8
        .value_kind:     by_value
      - .address_space:  global
        .offset:         56
        .size:           8
        .value_kind:     global_buffer
      - .offset:         64
        .size:           4
        .value_kind:     by_value
      - .offset:         68
        .size:           1
        .value_kind:     by_value
    .group_segment_fixed_size: 0
    .kernarg_segment_align: 8
    .kernarg_segment_size: 72
    .language:       OpenCL C
    .language_version:
      - 2
      - 0
    .max_flat_workgroup_size: 128
    .name:           _ZN9rocsparseL19gebsrmvn_2xn_kernelILj128ELj11ELj16EfEEvi20rocsparse_direction_NS_24const_host_device_scalarIT2_EEPKiS6_PKS3_S8_S4_PS3_21rocsparse_index_base_b
    .private_segment_fixed_size: 0
    .sgpr_count:     24
    .sgpr_spill_count: 0
    .symbol:         _ZN9rocsparseL19gebsrmvn_2xn_kernelILj128ELj11ELj16EfEEvi20rocsparse_direction_NS_24const_host_device_scalarIT2_EEPKiS6_PKS3_S8_S4_PS3_21rocsparse_index_base_b.kd
    .uniform_work_group_size: 1
    .uses_dynamic_stack: false
    .vgpr_count:     26
    .vgpr_spill_count: 0
    .wavefront_size: 64
  - .args:
      - .offset:         0
        .size:           4
        .value_kind:     by_value
      - .offset:         4
        .size:           4
        .value_kind:     by_value
      - .offset:         8
        .size:           8
        .value_kind:     by_value
      - .actual_access:  read_only
        .address_space:  global
        .offset:         16
        .size:           8
        .value_kind:     global_buffer
      - .actual_access:  read_only
        .address_space:  global
        .offset:         24
        .size:           8
        .value_kind:     global_buffer
      - .actual_access:  read_only
        .address_space:  global
        .offset:         32
        .size:           8
        .value_kind:     global_buffer
      - .actual_access:  read_only
        .address_space:  global
        .offset:         40
        .size:           8
        .value_kind:     global_buffer
      - .offset:         48
        .size:           8
        .value_kind:     by_value
      - .address_space:  global
        .offset:         56
        .size:           8
        .value_kind:     global_buffer
      - .offset:         64
        .size:           4
        .value_kind:     by_value
      - .offset:         68
        .size:           1
        .value_kind:     by_value
    .group_segment_fixed_size: 0
    .kernarg_segment_align: 8
    .kernarg_segment_size: 72
    .language:       OpenCL C
    .language_version:
      - 2
      - 0
    .max_flat_workgroup_size: 128
    .name:           _ZN9rocsparseL19gebsrmvn_2xn_kernelILj128ELj11ELj32EfEEvi20rocsparse_direction_NS_24const_host_device_scalarIT2_EEPKiS6_PKS3_S8_S4_PS3_21rocsparse_index_base_b
    .private_segment_fixed_size: 0
    .sgpr_count:     24
    .sgpr_spill_count: 0
    .symbol:         _ZN9rocsparseL19gebsrmvn_2xn_kernelILj128ELj11ELj32EfEEvi20rocsparse_direction_NS_24const_host_device_scalarIT2_EEPKiS6_PKS3_S8_S4_PS3_21rocsparse_index_base_b.kd
    .uniform_work_group_size: 1
    .uses_dynamic_stack: false
    .vgpr_count:     26
    .vgpr_spill_count: 0
    .wavefront_size: 64
  - .args:
      - .offset:         0
        .size:           4
        .value_kind:     by_value
      - .offset:         4
        .size:           4
        .value_kind:     by_value
      - .offset:         8
        .size:           8
        .value_kind:     by_value
      - .actual_access:  read_only
        .address_space:  global
        .offset:         16
        .size:           8
        .value_kind:     global_buffer
      - .actual_access:  read_only
        .address_space:  global
        .offset:         24
        .size:           8
        .value_kind:     global_buffer
      - .actual_access:  read_only
        .address_space:  global
        .offset:         32
        .size:           8
        .value_kind:     global_buffer
      - .actual_access:  read_only
        .address_space:  global
        .offset:         40
        .size:           8
        .value_kind:     global_buffer
      - .offset:         48
        .size:           8
        .value_kind:     by_value
      - .address_space:  global
        .offset:         56
        .size:           8
        .value_kind:     global_buffer
      - .offset:         64
        .size:           4
        .value_kind:     by_value
      - .offset:         68
        .size:           1
        .value_kind:     by_value
    .group_segment_fixed_size: 0
    .kernarg_segment_align: 8
    .kernarg_segment_size: 72
    .language:       OpenCL C
    .language_version:
      - 2
      - 0
    .max_flat_workgroup_size: 128
    .name:           _ZN9rocsparseL19gebsrmvn_2xn_kernelILj128ELj11ELj64EfEEvi20rocsparse_direction_NS_24const_host_device_scalarIT2_EEPKiS6_PKS3_S8_S4_PS3_21rocsparse_index_base_b
    .private_segment_fixed_size: 0
    .sgpr_count:     24
    .sgpr_spill_count: 0
    .symbol:         _ZN9rocsparseL19gebsrmvn_2xn_kernelILj128ELj11ELj64EfEEvi20rocsparse_direction_NS_24const_host_device_scalarIT2_EEPKiS6_PKS3_S8_S4_PS3_21rocsparse_index_base_b.kd
    .uniform_work_group_size: 1
    .uses_dynamic_stack: false
    .vgpr_count:     26
    .vgpr_spill_count: 0
    .wavefront_size: 64
  - .args:
      - .offset:         0
        .size:           4
        .value_kind:     by_value
      - .offset:         4
        .size:           4
        .value_kind:     by_value
      - .offset:         8
        .size:           8
        .value_kind:     by_value
      - .actual_access:  read_only
        .address_space:  global
        .offset:         16
        .size:           8
        .value_kind:     global_buffer
      - .actual_access:  read_only
        .address_space:  global
        .offset:         24
        .size:           8
        .value_kind:     global_buffer
      - .actual_access:  read_only
        .address_space:  global
        .offset:         32
        .size:           8
        .value_kind:     global_buffer
      - .actual_access:  read_only
        .address_space:  global
        .offset:         40
        .size:           8
        .value_kind:     global_buffer
      - .offset:         48
        .size:           8
        .value_kind:     by_value
      - .address_space:  global
        .offset:         56
        .size:           8
        .value_kind:     global_buffer
      - .offset:         64
        .size:           4
        .value_kind:     by_value
      - .offset:         68
        .size:           1
        .value_kind:     by_value
    .group_segment_fixed_size: 0
    .kernarg_segment_align: 8
    .kernarg_segment_size: 72
    .language:       OpenCL C
    .language_version:
      - 2
      - 0
    .max_flat_workgroup_size: 128
    .name:           _ZN9rocsparseL19gebsrmvn_2xn_kernelILj128ELj12ELj4EfEEvi20rocsparse_direction_NS_24const_host_device_scalarIT2_EEPKiS6_PKS3_S8_S4_PS3_21rocsparse_index_base_b
    .private_segment_fixed_size: 0
    .sgpr_count:     24
    .sgpr_spill_count: 0
    .symbol:         _ZN9rocsparseL19gebsrmvn_2xn_kernelILj128ELj12ELj4EfEEvi20rocsparse_direction_NS_24const_host_device_scalarIT2_EEPKiS6_PKS3_S8_S4_PS3_21rocsparse_index_base_b.kd
    .uniform_work_group_size: 1
    .uses_dynamic_stack: false
    .vgpr_count:     41
    .vgpr_spill_count: 0
    .wavefront_size: 64
  - .args:
      - .offset:         0
        .size:           4
        .value_kind:     by_value
      - .offset:         4
        .size:           4
        .value_kind:     by_value
      - .offset:         8
        .size:           8
        .value_kind:     by_value
      - .actual_access:  read_only
        .address_space:  global
        .offset:         16
        .size:           8
        .value_kind:     global_buffer
      - .actual_access:  read_only
        .address_space:  global
        .offset:         24
        .size:           8
        .value_kind:     global_buffer
      - .actual_access:  read_only
        .address_space:  global
        .offset:         32
        .size:           8
        .value_kind:     global_buffer
      - .actual_access:  read_only
        .address_space:  global
        .offset:         40
        .size:           8
        .value_kind:     global_buffer
      - .offset:         48
        .size:           8
        .value_kind:     by_value
      - .address_space:  global
        .offset:         56
        .size:           8
        .value_kind:     global_buffer
      - .offset:         64
        .size:           4
        .value_kind:     by_value
      - .offset:         68
        .size:           1
        .value_kind:     by_value
    .group_segment_fixed_size: 0
    .kernarg_segment_align: 8
    .kernarg_segment_size: 72
    .language:       OpenCL C
    .language_version:
      - 2
      - 0
    .max_flat_workgroup_size: 128
    .name:           _ZN9rocsparseL19gebsrmvn_2xn_kernelILj128ELj12ELj8EfEEvi20rocsparse_direction_NS_24const_host_device_scalarIT2_EEPKiS6_PKS3_S8_S4_PS3_21rocsparse_index_base_b
    .private_segment_fixed_size: 0
    .sgpr_count:     24
    .sgpr_spill_count: 0
    .symbol:         _ZN9rocsparseL19gebsrmvn_2xn_kernelILj128ELj12ELj8EfEEvi20rocsparse_direction_NS_24const_host_device_scalarIT2_EEPKiS6_PKS3_S8_S4_PS3_21rocsparse_index_base_b.kd
    .uniform_work_group_size: 1
    .uses_dynamic_stack: false
    .vgpr_count:     41
    .vgpr_spill_count: 0
    .wavefront_size: 64
  - .args:
      - .offset:         0
        .size:           4
        .value_kind:     by_value
      - .offset:         4
        .size:           4
        .value_kind:     by_value
      - .offset:         8
        .size:           8
        .value_kind:     by_value
      - .actual_access:  read_only
        .address_space:  global
        .offset:         16
        .size:           8
        .value_kind:     global_buffer
      - .actual_access:  read_only
        .address_space:  global
        .offset:         24
        .size:           8
        .value_kind:     global_buffer
      - .actual_access:  read_only
        .address_space:  global
        .offset:         32
        .size:           8
        .value_kind:     global_buffer
      - .actual_access:  read_only
        .address_space:  global
        .offset:         40
        .size:           8
        .value_kind:     global_buffer
      - .offset:         48
        .size:           8
        .value_kind:     by_value
      - .address_space:  global
        .offset:         56
        .size:           8
        .value_kind:     global_buffer
      - .offset:         64
        .size:           4
        .value_kind:     by_value
      - .offset:         68
        .size:           1
        .value_kind:     by_value
    .group_segment_fixed_size: 0
    .kernarg_segment_align: 8
    .kernarg_segment_size: 72
    .language:       OpenCL C
    .language_version:
      - 2
      - 0
    .max_flat_workgroup_size: 128
    .name:           _ZN9rocsparseL19gebsrmvn_2xn_kernelILj128ELj12ELj16EfEEvi20rocsparse_direction_NS_24const_host_device_scalarIT2_EEPKiS6_PKS3_S8_S4_PS3_21rocsparse_index_base_b
    .private_segment_fixed_size: 0
    .sgpr_count:     24
    .sgpr_spill_count: 0
    .symbol:         _ZN9rocsparseL19gebsrmvn_2xn_kernelILj128ELj12ELj16EfEEvi20rocsparse_direction_NS_24const_host_device_scalarIT2_EEPKiS6_PKS3_S8_S4_PS3_21rocsparse_index_base_b.kd
    .uniform_work_group_size: 1
    .uses_dynamic_stack: false
    .vgpr_count:     41
    .vgpr_spill_count: 0
    .wavefront_size: 64
  - .args:
      - .offset:         0
        .size:           4
        .value_kind:     by_value
      - .offset:         4
        .size:           4
        .value_kind:     by_value
      - .offset:         8
        .size:           8
        .value_kind:     by_value
      - .actual_access:  read_only
        .address_space:  global
        .offset:         16
        .size:           8
        .value_kind:     global_buffer
      - .actual_access:  read_only
        .address_space:  global
        .offset:         24
        .size:           8
        .value_kind:     global_buffer
      - .actual_access:  read_only
        .address_space:  global
        .offset:         32
        .size:           8
        .value_kind:     global_buffer
      - .actual_access:  read_only
        .address_space:  global
        .offset:         40
        .size:           8
        .value_kind:     global_buffer
      - .offset:         48
        .size:           8
        .value_kind:     by_value
      - .address_space:  global
        .offset:         56
        .size:           8
        .value_kind:     global_buffer
      - .offset:         64
        .size:           4
        .value_kind:     by_value
      - .offset:         68
        .size:           1
        .value_kind:     by_value
    .group_segment_fixed_size: 0
    .kernarg_segment_align: 8
    .kernarg_segment_size: 72
    .language:       OpenCL C
    .language_version:
      - 2
      - 0
    .max_flat_workgroup_size: 128
    .name:           _ZN9rocsparseL19gebsrmvn_2xn_kernelILj128ELj12ELj32EfEEvi20rocsparse_direction_NS_24const_host_device_scalarIT2_EEPKiS6_PKS3_S8_S4_PS3_21rocsparse_index_base_b
    .private_segment_fixed_size: 0
    .sgpr_count:     24
    .sgpr_spill_count: 0
    .symbol:         _ZN9rocsparseL19gebsrmvn_2xn_kernelILj128ELj12ELj32EfEEvi20rocsparse_direction_NS_24const_host_device_scalarIT2_EEPKiS6_PKS3_S8_S4_PS3_21rocsparse_index_base_b.kd
    .uniform_work_group_size: 1
    .uses_dynamic_stack: false
    .vgpr_count:     41
    .vgpr_spill_count: 0
    .wavefront_size: 64
  - .args:
      - .offset:         0
        .size:           4
        .value_kind:     by_value
      - .offset:         4
        .size:           4
        .value_kind:     by_value
      - .offset:         8
        .size:           8
        .value_kind:     by_value
      - .actual_access:  read_only
        .address_space:  global
        .offset:         16
        .size:           8
        .value_kind:     global_buffer
      - .actual_access:  read_only
        .address_space:  global
        .offset:         24
        .size:           8
        .value_kind:     global_buffer
      - .actual_access:  read_only
        .address_space:  global
        .offset:         32
        .size:           8
        .value_kind:     global_buffer
      - .actual_access:  read_only
        .address_space:  global
        .offset:         40
        .size:           8
        .value_kind:     global_buffer
      - .offset:         48
        .size:           8
        .value_kind:     by_value
      - .address_space:  global
        .offset:         56
        .size:           8
        .value_kind:     global_buffer
      - .offset:         64
        .size:           4
        .value_kind:     by_value
      - .offset:         68
        .size:           1
        .value_kind:     by_value
    .group_segment_fixed_size: 0
    .kernarg_segment_align: 8
    .kernarg_segment_size: 72
    .language:       OpenCL C
    .language_version:
      - 2
      - 0
    .max_flat_workgroup_size: 128
    .name:           _ZN9rocsparseL19gebsrmvn_2xn_kernelILj128ELj12ELj64EfEEvi20rocsparse_direction_NS_24const_host_device_scalarIT2_EEPKiS6_PKS3_S8_S4_PS3_21rocsparse_index_base_b
    .private_segment_fixed_size: 0
    .sgpr_count:     24
    .sgpr_spill_count: 0
    .symbol:         _ZN9rocsparseL19gebsrmvn_2xn_kernelILj128ELj12ELj64EfEEvi20rocsparse_direction_NS_24const_host_device_scalarIT2_EEPKiS6_PKS3_S8_S4_PS3_21rocsparse_index_base_b.kd
    .uniform_work_group_size: 1
    .uses_dynamic_stack: false
    .vgpr_count:     41
    .vgpr_spill_count: 0
    .wavefront_size: 64
  - .args:
      - .offset:         0
        .size:           4
        .value_kind:     by_value
      - .offset:         4
        .size:           4
        .value_kind:     by_value
      - .offset:         8
        .size:           8
        .value_kind:     by_value
      - .actual_access:  read_only
        .address_space:  global
        .offset:         16
        .size:           8
        .value_kind:     global_buffer
      - .actual_access:  read_only
        .address_space:  global
        .offset:         24
        .size:           8
        .value_kind:     global_buffer
      - .actual_access:  read_only
        .address_space:  global
        .offset:         32
        .size:           8
        .value_kind:     global_buffer
      - .actual_access:  read_only
        .address_space:  global
        .offset:         40
        .size:           8
        .value_kind:     global_buffer
      - .offset:         48
        .size:           8
        .value_kind:     by_value
      - .address_space:  global
        .offset:         56
        .size:           8
        .value_kind:     global_buffer
      - .offset:         64
        .size:           4
        .value_kind:     by_value
      - .offset:         68
        .size:           1
        .value_kind:     by_value
    .group_segment_fixed_size: 0
    .kernarg_segment_align: 8
    .kernarg_segment_size: 72
    .language:       OpenCL C
    .language_version:
      - 2
      - 0
    .max_flat_workgroup_size: 128
    .name:           _ZN9rocsparseL19gebsrmvn_2xn_kernelILj128ELj13ELj4EfEEvi20rocsparse_direction_NS_24const_host_device_scalarIT2_EEPKiS6_PKS3_S8_S4_PS3_21rocsparse_index_base_b
    .private_segment_fixed_size: 0
    .sgpr_count:     24
    .sgpr_spill_count: 0
    .symbol:         _ZN9rocsparseL19gebsrmvn_2xn_kernelILj128ELj13ELj4EfEEvi20rocsparse_direction_NS_24const_host_device_scalarIT2_EEPKiS6_PKS3_S8_S4_PS3_21rocsparse_index_base_b.kd
    .uniform_work_group_size: 1
    .uses_dynamic_stack: false
    .vgpr_count:     26
    .vgpr_spill_count: 0
    .wavefront_size: 64
  - .args:
      - .offset:         0
        .size:           4
        .value_kind:     by_value
      - .offset:         4
        .size:           4
        .value_kind:     by_value
      - .offset:         8
        .size:           8
        .value_kind:     by_value
      - .actual_access:  read_only
        .address_space:  global
        .offset:         16
        .size:           8
        .value_kind:     global_buffer
      - .actual_access:  read_only
        .address_space:  global
        .offset:         24
        .size:           8
        .value_kind:     global_buffer
      - .actual_access:  read_only
        .address_space:  global
        .offset:         32
        .size:           8
        .value_kind:     global_buffer
      - .actual_access:  read_only
        .address_space:  global
        .offset:         40
        .size:           8
        .value_kind:     global_buffer
      - .offset:         48
        .size:           8
        .value_kind:     by_value
      - .address_space:  global
        .offset:         56
        .size:           8
        .value_kind:     global_buffer
      - .offset:         64
        .size:           4
        .value_kind:     by_value
      - .offset:         68
        .size:           1
        .value_kind:     by_value
    .group_segment_fixed_size: 0
    .kernarg_segment_align: 8
    .kernarg_segment_size: 72
    .language:       OpenCL C
    .language_version:
      - 2
      - 0
    .max_flat_workgroup_size: 128
    .name:           _ZN9rocsparseL19gebsrmvn_2xn_kernelILj128ELj13ELj8EfEEvi20rocsparse_direction_NS_24const_host_device_scalarIT2_EEPKiS6_PKS3_S8_S4_PS3_21rocsparse_index_base_b
    .private_segment_fixed_size: 0
    .sgpr_count:     24
    .sgpr_spill_count: 0
    .symbol:         _ZN9rocsparseL19gebsrmvn_2xn_kernelILj128ELj13ELj8EfEEvi20rocsparse_direction_NS_24const_host_device_scalarIT2_EEPKiS6_PKS3_S8_S4_PS3_21rocsparse_index_base_b.kd
    .uniform_work_group_size: 1
    .uses_dynamic_stack: false
    .vgpr_count:     26
    .vgpr_spill_count: 0
    .wavefront_size: 64
  - .args:
      - .offset:         0
        .size:           4
        .value_kind:     by_value
      - .offset:         4
        .size:           4
        .value_kind:     by_value
      - .offset:         8
        .size:           8
        .value_kind:     by_value
      - .actual_access:  read_only
        .address_space:  global
        .offset:         16
        .size:           8
        .value_kind:     global_buffer
      - .actual_access:  read_only
        .address_space:  global
        .offset:         24
        .size:           8
        .value_kind:     global_buffer
      - .actual_access:  read_only
        .address_space:  global
        .offset:         32
        .size:           8
        .value_kind:     global_buffer
      - .actual_access:  read_only
        .address_space:  global
        .offset:         40
        .size:           8
        .value_kind:     global_buffer
      - .offset:         48
        .size:           8
        .value_kind:     by_value
      - .address_space:  global
        .offset:         56
        .size:           8
        .value_kind:     global_buffer
      - .offset:         64
        .size:           4
        .value_kind:     by_value
      - .offset:         68
        .size:           1
        .value_kind:     by_value
    .group_segment_fixed_size: 0
    .kernarg_segment_align: 8
    .kernarg_segment_size: 72
    .language:       OpenCL C
    .language_version:
      - 2
      - 0
    .max_flat_workgroup_size: 128
    .name:           _ZN9rocsparseL19gebsrmvn_2xn_kernelILj128ELj13ELj16EfEEvi20rocsparse_direction_NS_24const_host_device_scalarIT2_EEPKiS6_PKS3_S8_S4_PS3_21rocsparse_index_base_b
    .private_segment_fixed_size: 0
    .sgpr_count:     24
    .sgpr_spill_count: 0
    .symbol:         _ZN9rocsparseL19gebsrmvn_2xn_kernelILj128ELj13ELj16EfEEvi20rocsparse_direction_NS_24const_host_device_scalarIT2_EEPKiS6_PKS3_S8_S4_PS3_21rocsparse_index_base_b.kd
    .uniform_work_group_size: 1
    .uses_dynamic_stack: false
    .vgpr_count:     26
    .vgpr_spill_count: 0
    .wavefront_size: 64
  - .args:
      - .offset:         0
        .size:           4
        .value_kind:     by_value
      - .offset:         4
        .size:           4
        .value_kind:     by_value
      - .offset:         8
        .size:           8
        .value_kind:     by_value
      - .actual_access:  read_only
        .address_space:  global
        .offset:         16
        .size:           8
        .value_kind:     global_buffer
      - .actual_access:  read_only
        .address_space:  global
        .offset:         24
        .size:           8
        .value_kind:     global_buffer
      - .actual_access:  read_only
        .address_space:  global
        .offset:         32
        .size:           8
        .value_kind:     global_buffer
      - .actual_access:  read_only
        .address_space:  global
        .offset:         40
        .size:           8
        .value_kind:     global_buffer
      - .offset:         48
        .size:           8
        .value_kind:     by_value
      - .address_space:  global
        .offset:         56
        .size:           8
        .value_kind:     global_buffer
      - .offset:         64
        .size:           4
        .value_kind:     by_value
      - .offset:         68
        .size:           1
        .value_kind:     by_value
    .group_segment_fixed_size: 0
    .kernarg_segment_align: 8
    .kernarg_segment_size: 72
    .language:       OpenCL C
    .language_version:
      - 2
      - 0
    .max_flat_workgroup_size: 128
    .name:           _ZN9rocsparseL19gebsrmvn_2xn_kernelILj128ELj13ELj32EfEEvi20rocsparse_direction_NS_24const_host_device_scalarIT2_EEPKiS6_PKS3_S8_S4_PS3_21rocsparse_index_base_b
    .private_segment_fixed_size: 0
    .sgpr_count:     24
    .sgpr_spill_count: 0
    .symbol:         _ZN9rocsparseL19gebsrmvn_2xn_kernelILj128ELj13ELj32EfEEvi20rocsparse_direction_NS_24const_host_device_scalarIT2_EEPKiS6_PKS3_S8_S4_PS3_21rocsparse_index_base_b.kd
    .uniform_work_group_size: 1
    .uses_dynamic_stack: false
    .vgpr_count:     26
    .vgpr_spill_count: 0
    .wavefront_size: 64
  - .args:
      - .offset:         0
        .size:           4
        .value_kind:     by_value
      - .offset:         4
        .size:           4
        .value_kind:     by_value
      - .offset:         8
        .size:           8
        .value_kind:     by_value
      - .actual_access:  read_only
        .address_space:  global
        .offset:         16
        .size:           8
        .value_kind:     global_buffer
      - .actual_access:  read_only
        .address_space:  global
        .offset:         24
        .size:           8
        .value_kind:     global_buffer
      - .actual_access:  read_only
        .address_space:  global
        .offset:         32
        .size:           8
        .value_kind:     global_buffer
      - .actual_access:  read_only
        .address_space:  global
        .offset:         40
        .size:           8
        .value_kind:     global_buffer
      - .offset:         48
        .size:           8
        .value_kind:     by_value
      - .address_space:  global
        .offset:         56
        .size:           8
        .value_kind:     global_buffer
      - .offset:         64
        .size:           4
        .value_kind:     by_value
      - .offset:         68
        .size:           1
        .value_kind:     by_value
    .group_segment_fixed_size: 0
    .kernarg_segment_align: 8
    .kernarg_segment_size: 72
    .language:       OpenCL C
    .language_version:
      - 2
      - 0
    .max_flat_workgroup_size: 128
    .name:           _ZN9rocsparseL19gebsrmvn_2xn_kernelILj128ELj13ELj64EfEEvi20rocsparse_direction_NS_24const_host_device_scalarIT2_EEPKiS6_PKS3_S8_S4_PS3_21rocsparse_index_base_b
    .private_segment_fixed_size: 0
    .sgpr_count:     24
    .sgpr_spill_count: 0
    .symbol:         _ZN9rocsparseL19gebsrmvn_2xn_kernelILj128ELj13ELj64EfEEvi20rocsparse_direction_NS_24const_host_device_scalarIT2_EEPKiS6_PKS3_S8_S4_PS3_21rocsparse_index_base_b.kd
    .uniform_work_group_size: 1
    .uses_dynamic_stack: false
    .vgpr_count:     26
    .vgpr_spill_count: 0
    .wavefront_size: 64
  - .args:
      - .offset:         0
        .size:           4
        .value_kind:     by_value
      - .offset:         4
        .size:           4
        .value_kind:     by_value
      - .offset:         8
        .size:           8
        .value_kind:     by_value
      - .actual_access:  read_only
        .address_space:  global
        .offset:         16
        .size:           8
        .value_kind:     global_buffer
      - .actual_access:  read_only
        .address_space:  global
        .offset:         24
        .size:           8
        .value_kind:     global_buffer
      - .actual_access:  read_only
        .address_space:  global
        .offset:         32
        .size:           8
        .value_kind:     global_buffer
      - .actual_access:  read_only
        .address_space:  global
        .offset:         40
        .size:           8
        .value_kind:     global_buffer
      - .offset:         48
        .size:           8
        .value_kind:     by_value
      - .address_space:  global
        .offset:         56
        .size:           8
        .value_kind:     global_buffer
      - .offset:         64
        .size:           4
        .value_kind:     by_value
      - .offset:         68
        .size:           1
        .value_kind:     by_value
    .group_segment_fixed_size: 0
    .kernarg_segment_align: 8
    .kernarg_segment_size: 72
    .language:       OpenCL C
    .language_version:
      - 2
      - 0
    .max_flat_workgroup_size: 128
    .name:           _ZN9rocsparseL19gebsrmvn_2xn_kernelILj128ELj14ELj4EfEEvi20rocsparse_direction_NS_24const_host_device_scalarIT2_EEPKiS6_PKS3_S8_S4_PS3_21rocsparse_index_base_b
    .private_segment_fixed_size: 0
    .sgpr_count:     24
    .sgpr_spill_count: 0
    .symbol:         _ZN9rocsparseL19gebsrmvn_2xn_kernelILj128ELj14ELj4EfEEvi20rocsparse_direction_NS_24const_host_device_scalarIT2_EEPKiS6_PKS3_S8_S4_PS3_21rocsparse_index_base_b.kd
    .uniform_work_group_size: 1
    .uses_dynamic_stack: false
    .vgpr_count:     31
    .vgpr_spill_count: 0
    .wavefront_size: 64
  - .args:
      - .offset:         0
        .size:           4
        .value_kind:     by_value
      - .offset:         4
        .size:           4
        .value_kind:     by_value
      - .offset:         8
        .size:           8
        .value_kind:     by_value
      - .actual_access:  read_only
        .address_space:  global
        .offset:         16
        .size:           8
        .value_kind:     global_buffer
      - .actual_access:  read_only
        .address_space:  global
        .offset:         24
        .size:           8
        .value_kind:     global_buffer
      - .actual_access:  read_only
        .address_space:  global
        .offset:         32
        .size:           8
        .value_kind:     global_buffer
      - .actual_access:  read_only
        .address_space:  global
        .offset:         40
        .size:           8
        .value_kind:     global_buffer
      - .offset:         48
        .size:           8
        .value_kind:     by_value
      - .address_space:  global
        .offset:         56
        .size:           8
        .value_kind:     global_buffer
      - .offset:         64
        .size:           4
        .value_kind:     by_value
      - .offset:         68
        .size:           1
        .value_kind:     by_value
    .group_segment_fixed_size: 0
    .kernarg_segment_align: 8
    .kernarg_segment_size: 72
    .language:       OpenCL C
    .language_version:
      - 2
      - 0
    .max_flat_workgroup_size: 128
    .name:           _ZN9rocsparseL19gebsrmvn_2xn_kernelILj128ELj14ELj8EfEEvi20rocsparse_direction_NS_24const_host_device_scalarIT2_EEPKiS6_PKS3_S8_S4_PS3_21rocsparse_index_base_b
    .private_segment_fixed_size: 0
    .sgpr_count:     24
    .sgpr_spill_count: 0
    .symbol:         _ZN9rocsparseL19gebsrmvn_2xn_kernelILj128ELj14ELj8EfEEvi20rocsparse_direction_NS_24const_host_device_scalarIT2_EEPKiS6_PKS3_S8_S4_PS3_21rocsparse_index_base_b.kd
    .uniform_work_group_size: 1
    .uses_dynamic_stack: false
    .vgpr_count:     31
    .vgpr_spill_count: 0
    .wavefront_size: 64
  - .args:
      - .offset:         0
        .size:           4
        .value_kind:     by_value
      - .offset:         4
        .size:           4
        .value_kind:     by_value
      - .offset:         8
        .size:           8
        .value_kind:     by_value
      - .actual_access:  read_only
        .address_space:  global
        .offset:         16
        .size:           8
        .value_kind:     global_buffer
      - .actual_access:  read_only
        .address_space:  global
        .offset:         24
        .size:           8
        .value_kind:     global_buffer
      - .actual_access:  read_only
        .address_space:  global
        .offset:         32
        .size:           8
        .value_kind:     global_buffer
      - .actual_access:  read_only
        .address_space:  global
        .offset:         40
        .size:           8
        .value_kind:     global_buffer
      - .offset:         48
        .size:           8
        .value_kind:     by_value
      - .address_space:  global
        .offset:         56
        .size:           8
        .value_kind:     global_buffer
      - .offset:         64
        .size:           4
        .value_kind:     by_value
      - .offset:         68
        .size:           1
        .value_kind:     by_value
    .group_segment_fixed_size: 0
    .kernarg_segment_align: 8
    .kernarg_segment_size: 72
    .language:       OpenCL C
    .language_version:
      - 2
      - 0
    .max_flat_workgroup_size: 128
    .name:           _ZN9rocsparseL19gebsrmvn_2xn_kernelILj128ELj14ELj16EfEEvi20rocsparse_direction_NS_24const_host_device_scalarIT2_EEPKiS6_PKS3_S8_S4_PS3_21rocsparse_index_base_b
    .private_segment_fixed_size: 0
    .sgpr_count:     24
    .sgpr_spill_count: 0
    .symbol:         _ZN9rocsparseL19gebsrmvn_2xn_kernelILj128ELj14ELj16EfEEvi20rocsparse_direction_NS_24const_host_device_scalarIT2_EEPKiS6_PKS3_S8_S4_PS3_21rocsparse_index_base_b.kd
    .uniform_work_group_size: 1
    .uses_dynamic_stack: false
    .vgpr_count:     31
    .vgpr_spill_count: 0
    .wavefront_size: 64
  - .args:
      - .offset:         0
        .size:           4
        .value_kind:     by_value
      - .offset:         4
        .size:           4
        .value_kind:     by_value
      - .offset:         8
        .size:           8
        .value_kind:     by_value
      - .actual_access:  read_only
        .address_space:  global
        .offset:         16
        .size:           8
        .value_kind:     global_buffer
      - .actual_access:  read_only
        .address_space:  global
        .offset:         24
        .size:           8
        .value_kind:     global_buffer
      - .actual_access:  read_only
        .address_space:  global
        .offset:         32
        .size:           8
        .value_kind:     global_buffer
      - .actual_access:  read_only
        .address_space:  global
        .offset:         40
        .size:           8
        .value_kind:     global_buffer
      - .offset:         48
        .size:           8
        .value_kind:     by_value
      - .address_space:  global
        .offset:         56
        .size:           8
        .value_kind:     global_buffer
      - .offset:         64
        .size:           4
        .value_kind:     by_value
      - .offset:         68
        .size:           1
        .value_kind:     by_value
    .group_segment_fixed_size: 0
    .kernarg_segment_align: 8
    .kernarg_segment_size: 72
    .language:       OpenCL C
    .language_version:
      - 2
      - 0
    .max_flat_workgroup_size: 128
    .name:           _ZN9rocsparseL19gebsrmvn_2xn_kernelILj128ELj14ELj32EfEEvi20rocsparse_direction_NS_24const_host_device_scalarIT2_EEPKiS6_PKS3_S8_S4_PS3_21rocsparse_index_base_b
    .private_segment_fixed_size: 0
    .sgpr_count:     24
    .sgpr_spill_count: 0
    .symbol:         _ZN9rocsparseL19gebsrmvn_2xn_kernelILj128ELj14ELj32EfEEvi20rocsparse_direction_NS_24const_host_device_scalarIT2_EEPKiS6_PKS3_S8_S4_PS3_21rocsparse_index_base_b.kd
    .uniform_work_group_size: 1
    .uses_dynamic_stack: false
    .vgpr_count:     31
    .vgpr_spill_count: 0
    .wavefront_size: 64
  - .args:
      - .offset:         0
        .size:           4
        .value_kind:     by_value
      - .offset:         4
        .size:           4
        .value_kind:     by_value
      - .offset:         8
        .size:           8
        .value_kind:     by_value
      - .actual_access:  read_only
        .address_space:  global
        .offset:         16
        .size:           8
        .value_kind:     global_buffer
      - .actual_access:  read_only
        .address_space:  global
        .offset:         24
        .size:           8
        .value_kind:     global_buffer
      - .actual_access:  read_only
        .address_space:  global
        .offset:         32
        .size:           8
        .value_kind:     global_buffer
      - .actual_access:  read_only
        .address_space:  global
        .offset:         40
        .size:           8
        .value_kind:     global_buffer
      - .offset:         48
        .size:           8
        .value_kind:     by_value
      - .address_space:  global
        .offset:         56
        .size:           8
        .value_kind:     global_buffer
      - .offset:         64
        .size:           4
        .value_kind:     by_value
      - .offset:         68
        .size:           1
        .value_kind:     by_value
    .group_segment_fixed_size: 0
    .kernarg_segment_align: 8
    .kernarg_segment_size: 72
    .language:       OpenCL C
    .language_version:
      - 2
      - 0
    .max_flat_workgroup_size: 128
    .name:           _ZN9rocsparseL19gebsrmvn_2xn_kernelILj128ELj14ELj64EfEEvi20rocsparse_direction_NS_24const_host_device_scalarIT2_EEPKiS6_PKS3_S8_S4_PS3_21rocsparse_index_base_b
    .private_segment_fixed_size: 0
    .sgpr_count:     24
    .sgpr_spill_count: 0
    .symbol:         _ZN9rocsparseL19gebsrmvn_2xn_kernelILj128ELj14ELj64EfEEvi20rocsparse_direction_NS_24const_host_device_scalarIT2_EEPKiS6_PKS3_S8_S4_PS3_21rocsparse_index_base_b.kd
    .uniform_work_group_size: 1
    .uses_dynamic_stack: false
    .vgpr_count:     31
    .vgpr_spill_count: 0
    .wavefront_size: 64
  - .args:
      - .offset:         0
        .size:           4
        .value_kind:     by_value
      - .offset:         4
        .size:           4
        .value_kind:     by_value
      - .offset:         8
        .size:           8
        .value_kind:     by_value
      - .actual_access:  read_only
        .address_space:  global
        .offset:         16
        .size:           8
        .value_kind:     global_buffer
      - .actual_access:  read_only
        .address_space:  global
        .offset:         24
        .size:           8
        .value_kind:     global_buffer
      - .actual_access:  read_only
        .address_space:  global
        .offset:         32
        .size:           8
        .value_kind:     global_buffer
      - .actual_access:  read_only
        .address_space:  global
        .offset:         40
        .size:           8
        .value_kind:     global_buffer
      - .offset:         48
        .size:           8
        .value_kind:     by_value
      - .address_space:  global
        .offset:         56
        .size:           8
        .value_kind:     global_buffer
      - .offset:         64
        .size:           4
        .value_kind:     by_value
      - .offset:         68
        .size:           1
        .value_kind:     by_value
    .group_segment_fixed_size: 0
    .kernarg_segment_align: 8
    .kernarg_segment_size: 72
    .language:       OpenCL C
    .language_version:
      - 2
      - 0
    .max_flat_workgroup_size: 128
    .name:           _ZN9rocsparseL19gebsrmvn_2xn_kernelILj128ELj15ELj4EfEEvi20rocsparse_direction_NS_24const_host_device_scalarIT2_EEPKiS6_PKS3_S8_S4_PS3_21rocsparse_index_base_b
    .private_segment_fixed_size: 0
    .sgpr_count:     24
    .sgpr_spill_count: 0
    .symbol:         _ZN9rocsparseL19gebsrmvn_2xn_kernelILj128ELj15ELj4EfEEvi20rocsparse_direction_NS_24const_host_device_scalarIT2_EEPKiS6_PKS3_S8_S4_PS3_21rocsparse_index_base_b.kd
    .uniform_work_group_size: 1
    .uses_dynamic_stack: false
    .vgpr_count:     26
    .vgpr_spill_count: 0
    .wavefront_size: 64
  - .args:
      - .offset:         0
        .size:           4
        .value_kind:     by_value
      - .offset:         4
        .size:           4
        .value_kind:     by_value
      - .offset:         8
        .size:           8
        .value_kind:     by_value
      - .actual_access:  read_only
        .address_space:  global
        .offset:         16
        .size:           8
        .value_kind:     global_buffer
      - .actual_access:  read_only
        .address_space:  global
        .offset:         24
        .size:           8
        .value_kind:     global_buffer
      - .actual_access:  read_only
        .address_space:  global
        .offset:         32
        .size:           8
        .value_kind:     global_buffer
      - .actual_access:  read_only
        .address_space:  global
        .offset:         40
        .size:           8
        .value_kind:     global_buffer
      - .offset:         48
        .size:           8
        .value_kind:     by_value
      - .address_space:  global
        .offset:         56
        .size:           8
        .value_kind:     global_buffer
      - .offset:         64
        .size:           4
        .value_kind:     by_value
      - .offset:         68
        .size:           1
        .value_kind:     by_value
    .group_segment_fixed_size: 0
    .kernarg_segment_align: 8
    .kernarg_segment_size: 72
    .language:       OpenCL C
    .language_version:
      - 2
      - 0
    .max_flat_workgroup_size: 128
    .name:           _ZN9rocsparseL19gebsrmvn_2xn_kernelILj128ELj15ELj8EfEEvi20rocsparse_direction_NS_24const_host_device_scalarIT2_EEPKiS6_PKS3_S8_S4_PS3_21rocsparse_index_base_b
    .private_segment_fixed_size: 0
    .sgpr_count:     24
    .sgpr_spill_count: 0
    .symbol:         _ZN9rocsparseL19gebsrmvn_2xn_kernelILj128ELj15ELj8EfEEvi20rocsparse_direction_NS_24const_host_device_scalarIT2_EEPKiS6_PKS3_S8_S4_PS3_21rocsparse_index_base_b.kd
    .uniform_work_group_size: 1
    .uses_dynamic_stack: false
    .vgpr_count:     26
    .vgpr_spill_count: 0
    .wavefront_size: 64
  - .args:
      - .offset:         0
        .size:           4
        .value_kind:     by_value
      - .offset:         4
        .size:           4
        .value_kind:     by_value
      - .offset:         8
        .size:           8
        .value_kind:     by_value
      - .actual_access:  read_only
        .address_space:  global
        .offset:         16
        .size:           8
        .value_kind:     global_buffer
      - .actual_access:  read_only
        .address_space:  global
        .offset:         24
        .size:           8
        .value_kind:     global_buffer
      - .actual_access:  read_only
        .address_space:  global
        .offset:         32
        .size:           8
        .value_kind:     global_buffer
      - .actual_access:  read_only
        .address_space:  global
        .offset:         40
        .size:           8
        .value_kind:     global_buffer
      - .offset:         48
        .size:           8
        .value_kind:     by_value
      - .address_space:  global
        .offset:         56
        .size:           8
        .value_kind:     global_buffer
      - .offset:         64
        .size:           4
        .value_kind:     by_value
      - .offset:         68
        .size:           1
        .value_kind:     by_value
    .group_segment_fixed_size: 0
    .kernarg_segment_align: 8
    .kernarg_segment_size: 72
    .language:       OpenCL C
    .language_version:
      - 2
      - 0
    .max_flat_workgroup_size: 128
    .name:           _ZN9rocsparseL19gebsrmvn_2xn_kernelILj128ELj15ELj16EfEEvi20rocsparse_direction_NS_24const_host_device_scalarIT2_EEPKiS6_PKS3_S8_S4_PS3_21rocsparse_index_base_b
    .private_segment_fixed_size: 0
    .sgpr_count:     24
    .sgpr_spill_count: 0
    .symbol:         _ZN9rocsparseL19gebsrmvn_2xn_kernelILj128ELj15ELj16EfEEvi20rocsparse_direction_NS_24const_host_device_scalarIT2_EEPKiS6_PKS3_S8_S4_PS3_21rocsparse_index_base_b.kd
    .uniform_work_group_size: 1
    .uses_dynamic_stack: false
    .vgpr_count:     26
    .vgpr_spill_count: 0
    .wavefront_size: 64
  - .args:
      - .offset:         0
        .size:           4
        .value_kind:     by_value
      - .offset:         4
        .size:           4
        .value_kind:     by_value
      - .offset:         8
        .size:           8
        .value_kind:     by_value
      - .actual_access:  read_only
        .address_space:  global
        .offset:         16
        .size:           8
        .value_kind:     global_buffer
      - .actual_access:  read_only
        .address_space:  global
        .offset:         24
        .size:           8
        .value_kind:     global_buffer
      - .actual_access:  read_only
        .address_space:  global
        .offset:         32
        .size:           8
        .value_kind:     global_buffer
      - .actual_access:  read_only
        .address_space:  global
        .offset:         40
        .size:           8
        .value_kind:     global_buffer
      - .offset:         48
        .size:           8
        .value_kind:     by_value
      - .address_space:  global
        .offset:         56
        .size:           8
        .value_kind:     global_buffer
      - .offset:         64
        .size:           4
        .value_kind:     by_value
      - .offset:         68
        .size:           1
        .value_kind:     by_value
    .group_segment_fixed_size: 0
    .kernarg_segment_align: 8
    .kernarg_segment_size: 72
    .language:       OpenCL C
    .language_version:
      - 2
      - 0
    .max_flat_workgroup_size: 128
    .name:           _ZN9rocsparseL19gebsrmvn_2xn_kernelILj128ELj15ELj32EfEEvi20rocsparse_direction_NS_24const_host_device_scalarIT2_EEPKiS6_PKS3_S8_S4_PS3_21rocsparse_index_base_b
    .private_segment_fixed_size: 0
    .sgpr_count:     24
    .sgpr_spill_count: 0
    .symbol:         _ZN9rocsparseL19gebsrmvn_2xn_kernelILj128ELj15ELj32EfEEvi20rocsparse_direction_NS_24const_host_device_scalarIT2_EEPKiS6_PKS3_S8_S4_PS3_21rocsparse_index_base_b.kd
    .uniform_work_group_size: 1
    .uses_dynamic_stack: false
    .vgpr_count:     26
    .vgpr_spill_count: 0
    .wavefront_size: 64
  - .args:
      - .offset:         0
        .size:           4
        .value_kind:     by_value
      - .offset:         4
        .size:           4
        .value_kind:     by_value
      - .offset:         8
        .size:           8
        .value_kind:     by_value
      - .actual_access:  read_only
        .address_space:  global
        .offset:         16
        .size:           8
        .value_kind:     global_buffer
      - .actual_access:  read_only
        .address_space:  global
        .offset:         24
        .size:           8
        .value_kind:     global_buffer
      - .actual_access:  read_only
        .address_space:  global
        .offset:         32
        .size:           8
        .value_kind:     global_buffer
      - .actual_access:  read_only
        .address_space:  global
        .offset:         40
        .size:           8
        .value_kind:     global_buffer
      - .offset:         48
        .size:           8
        .value_kind:     by_value
      - .address_space:  global
        .offset:         56
        .size:           8
        .value_kind:     global_buffer
      - .offset:         64
        .size:           4
        .value_kind:     by_value
      - .offset:         68
        .size:           1
        .value_kind:     by_value
    .group_segment_fixed_size: 0
    .kernarg_segment_align: 8
    .kernarg_segment_size: 72
    .language:       OpenCL C
    .language_version:
      - 2
      - 0
    .max_flat_workgroup_size: 128
    .name:           _ZN9rocsparseL19gebsrmvn_2xn_kernelILj128ELj15ELj64EfEEvi20rocsparse_direction_NS_24const_host_device_scalarIT2_EEPKiS6_PKS3_S8_S4_PS3_21rocsparse_index_base_b
    .private_segment_fixed_size: 0
    .sgpr_count:     24
    .sgpr_spill_count: 0
    .symbol:         _ZN9rocsparseL19gebsrmvn_2xn_kernelILj128ELj15ELj64EfEEvi20rocsparse_direction_NS_24const_host_device_scalarIT2_EEPKiS6_PKS3_S8_S4_PS3_21rocsparse_index_base_b.kd
    .uniform_work_group_size: 1
    .uses_dynamic_stack: false
    .vgpr_count:     26
    .vgpr_spill_count: 0
    .wavefront_size: 64
  - .args:
      - .offset:         0
        .size:           4
        .value_kind:     by_value
      - .offset:         4
        .size:           4
        .value_kind:     by_value
      - .offset:         8
        .size:           8
        .value_kind:     by_value
      - .actual_access:  read_only
        .address_space:  global
        .offset:         16
        .size:           8
        .value_kind:     global_buffer
      - .actual_access:  read_only
        .address_space:  global
        .offset:         24
        .size:           8
        .value_kind:     global_buffer
      - .actual_access:  read_only
        .address_space:  global
        .offset:         32
        .size:           8
        .value_kind:     global_buffer
      - .actual_access:  read_only
        .address_space:  global
        .offset:         40
        .size:           8
        .value_kind:     global_buffer
      - .offset:         48
        .size:           8
        .value_kind:     by_value
      - .address_space:  global
        .offset:         56
        .size:           8
        .value_kind:     global_buffer
      - .offset:         64
        .size:           4
        .value_kind:     by_value
      - .offset:         68
        .size:           1
        .value_kind:     by_value
    .group_segment_fixed_size: 0
    .kernarg_segment_align: 8
    .kernarg_segment_size: 72
    .language:       OpenCL C
    .language_version:
      - 2
      - 0
    .max_flat_workgroup_size: 128
    .name:           _ZN9rocsparseL19gebsrmvn_2xn_kernelILj128ELj16ELj4EfEEvi20rocsparse_direction_NS_24const_host_device_scalarIT2_EEPKiS6_PKS3_S8_S4_PS3_21rocsparse_index_base_b
    .private_segment_fixed_size: 0
    .sgpr_count:     24
    .sgpr_spill_count: 0
    .symbol:         _ZN9rocsparseL19gebsrmvn_2xn_kernelILj128ELj16ELj4EfEEvi20rocsparse_direction_NS_24const_host_device_scalarIT2_EEPKiS6_PKS3_S8_S4_PS3_21rocsparse_index_base_b.kd
    .uniform_work_group_size: 1
    .uses_dynamic_stack: false
    .vgpr_count:     25
    .vgpr_spill_count: 0
    .wavefront_size: 64
  - .args:
      - .offset:         0
        .size:           4
        .value_kind:     by_value
      - .offset:         4
        .size:           4
        .value_kind:     by_value
      - .offset:         8
        .size:           8
        .value_kind:     by_value
      - .actual_access:  read_only
        .address_space:  global
        .offset:         16
        .size:           8
        .value_kind:     global_buffer
      - .actual_access:  read_only
        .address_space:  global
        .offset:         24
        .size:           8
        .value_kind:     global_buffer
      - .actual_access:  read_only
        .address_space:  global
        .offset:         32
        .size:           8
        .value_kind:     global_buffer
      - .actual_access:  read_only
        .address_space:  global
        .offset:         40
        .size:           8
        .value_kind:     global_buffer
      - .offset:         48
        .size:           8
        .value_kind:     by_value
      - .address_space:  global
        .offset:         56
        .size:           8
        .value_kind:     global_buffer
      - .offset:         64
        .size:           4
        .value_kind:     by_value
      - .offset:         68
        .size:           1
        .value_kind:     by_value
    .group_segment_fixed_size: 0
    .kernarg_segment_align: 8
    .kernarg_segment_size: 72
    .language:       OpenCL C
    .language_version:
      - 2
      - 0
    .max_flat_workgroup_size: 128
    .name:           _ZN9rocsparseL19gebsrmvn_2xn_kernelILj128ELj16ELj8EfEEvi20rocsparse_direction_NS_24const_host_device_scalarIT2_EEPKiS6_PKS3_S8_S4_PS3_21rocsparse_index_base_b
    .private_segment_fixed_size: 0
    .sgpr_count:     24
    .sgpr_spill_count: 0
    .symbol:         _ZN9rocsparseL19gebsrmvn_2xn_kernelILj128ELj16ELj8EfEEvi20rocsparse_direction_NS_24const_host_device_scalarIT2_EEPKiS6_PKS3_S8_S4_PS3_21rocsparse_index_base_b.kd
    .uniform_work_group_size: 1
    .uses_dynamic_stack: false
    .vgpr_count:     25
    .vgpr_spill_count: 0
    .wavefront_size: 64
  - .args:
      - .offset:         0
        .size:           4
        .value_kind:     by_value
      - .offset:         4
        .size:           4
        .value_kind:     by_value
      - .offset:         8
        .size:           8
        .value_kind:     by_value
      - .actual_access:  read_only
        .address_space:  global
        .offset:         16
        .size:           8
        .value_kind:     global_buffer
      - .actual_access:  read_only
        .address_space:  global
        .offset:         24
        .size:           8
        .value_kind:     global_buffer
      - .actual_access:  read_only
        .address_space:  global
        .offset:         32
        .size:           8
        .value_kind:     global_buffer
      - .actual_access:  read_only
        .address_space:  global
        .offset:         40
        .size:           8
        .value_kind:     global_buffer
      - .offset:         48
        .size:           8
        .value_kind:     by_value
      - .address_space:  global
        .offset:         56
        .size:           8
        .value_kind:     global_buffer
      - .offset:         64
        .size:           4
        .value_kind:     by_value
      - .offset:         68
        .size:           1
        .value_kind:     by_value
    .group_segment_fixed_size: 0
    .kernarg_segment_align: 8
    .kernarg_segment_size: 72
    .language:       OpenCL C
    .language_version:
      - 2
      - 0
    .max_flat_workgroup_size: 128
    .name:           _ZN9rocsparseL19gebsrmvn_2xn_kernelILj128ELj16ELj16EfEEvi20rocsparse_direction_NS_24const_host_device_scalarIT2_EEPKiS6_PKS3_S8_S4_PS3_21rocsparse_index_base_b
    .private_segment_fixed_size: 0
    .sgpr_count:     24
    .sgpr_spill_count: 0
    .symbol:         _ZN9rocsparseL19gebsrmvn_2xn_kernelILj128ELj16ELj16EfEEvi20rocsparse_direction_NS_24const_host_device_scalarIT2_EEPKiS6_PKS3_S8_S4_PS3_21rocsparse_index_base_b.kd
    .uniform_work_group_size: 1
    .uses_dynamic_stack: false
    .vgpr_count:     25
    .vgpr_spill_count: 0
    .wavefront_size: 64
  - .args:
      - .offset:         0
        .size:           4
        .value_kind:     by_value
      - .offset:         4
        .size:           4
        .value_kind:     by_value
      - .offset:         8
        .size:           8
        .value_kind:     by_value
      - .actual_access:  read_only
        .address_space:  global
        .offset:         16
        .size:           8
        .value_kind:     global_buffer
      - .actual_access:  read_only
        .address_space:  global
        .offset:         24
        .size:           8
        .value_kind:     global_buffer
      - .actual_access:  read_only
        .address_space:  global
        .offset:         32
        .size:           8
        .value_kind:     global_buffer
      - .actual_access:  read_only
        .address_space:  global
        .offset:         40
        .size:           8
        .value_kind:     global_buffer
      - .offset:         48
        .size:           8
        .value_kind:     by_value
      - .address_space:  global
        .offset:         56
        .size:           8
        .value_kind:     global_buffer
      - .offset:         64
        .size:           4
        .value_kind:     by_value
      - .offset:         68
        .size:           1
        .value_kind:     by_value
    .group_segment_fixed_size: 0
    .kernarg_segment_align: 8
    .kernarg_segment_size: 72
    .language:       OpenCL C
    .language_version:
      - 2
      - 0
    .max_flat_workgroup_size: 128
    .name:           _ZN9rocsparseL19gebsrmvn_2xn_kernelILj128ELj16ELj32EfEEvi20rocsparse_direction_NS_24const_host_device_scalarIT2_EEPKiS6_PKS3_S8_S4_PS3_21rocsparse_index_base_b
    .private_segment_fixed_size: 0
    .sgpr_count:     24
    .sgpr_spill_count: 0
    .symbol:         _ZN9rocsparseL19gebsrmvn_2xn_kernelILj128ELj16ELj32EfEEvi20rocsparse_direction_NS_24const_host_device_scalarIT2_EEPKiS6_PKS3_S8_S4_PS3_21rocsparse_index_base_b.kd
    .uniform_work_group_size: 1
    .uses_dynamic_stack: false
    .vgpr_count:     25
    .vgpr_spill_count: 0
    .wavefront_size: 64
  - .args:
      - .offset:         0
        .size:           4
        .value_kind:     by_value
      - .offset:         4
        .size:           4
        .value_kind:     by_value
      - .offset:         8
        .size:           8
        .value_kind:     by_value
      - .actual_access:  read_only
        .address_space:  global
        .offset:         16
        .size:           8
        .value_kind:     global_buffer
      - .actual_access:  read_only
        .address_space:  global
        .offset:         24
        .size:           8
        .value_kind:     global_buffer
      - .actual_access:  read_only
        .address_space:  global
        .offset:         32
        .size:           8
        .value_kind:     global_buffer
      - .actual_access:  read_only
        .address_space:  global
        .offset:         40
        .size:           8
        .value_kind:     global_buffer
      - .offset:         48
        .size:           8
        .value_kind:     by_value
      - .address_space:  global
        .offset:         56
        .size:           8
        .value_kind:     global_buffer
      - .offset:         64
        .size:           4
        .value_kind:     by_value
      - .offset:         68
        .size:           1
        .value_kind:     by_value
    .group_segment_fixed_size: 0
    .kernarg_segment_align: 8
    .kernarg_segment_size: 72
    .language:       OpenCL C
    .language_version:
      - 2
      - 0
    .max_flat_workgroup_size: 128
    .name:           _ZN9rocsparseL19gebsrmvn_2xn_kernelILj128ELj16ELj64EfEEvi20rocsparse_direction_NS_24const_host_device_scalarIT2_EEPKiS6_PKS3_S8_S4_PS3_21rocsparse_index_base_b
    .private_segment_fixed_size: 0
    .sgpr_count:     24
    .sgpr_spill_count: 0
    .symbol:         _ZN9rocsparseL19gebsrmvn_2xn_kernelILj128ELj16ELj64EfEEvi20rocsparse_direction_NS_24const_host_device_scalarIT2_EEPKiS6_PKS3_S8_S4_PS3_21rocsparse_index_base_b.kd
    .uniform_work_group_size: 1
    .uses_dynamic_stack: false
    .vgpr_count:     25
    .vgpr_spill_count: 0
    .wavefront_size: 64
  - .args:
      - .offset:         0
        .size:           4
        .value_kind:     by_value
      - .offset:         4
        .size:           4
        .value_kind:     by_value
      - .offset:         8
        .size:           8
        .value_kind:     by_value
      - .actual_access:  read_only
        .address_space:  global
        .offset:         16
        .size:           8
        .value_kind:     global_buffer
      - .actual_access:  read_only
        .address_space:  global
        .offset:         24
        .size:           8
        .value_kind:     global_buffer
      - .actual_access:  read_only
        .address_space:  global
        .offset:         32
        .size:           8
        .value_kind:     global_buffer
      - .offset:         40
        .size:           4
        .value_kind:     by_value
      - .offset:         44
        .size:           4
        .value_kind:     by_value
      - .actual_access:  read_only
        .address_space:  global
        .offset:         48
        .size:           8
        .value_kind:     global_buffer
      - .offset:         56
        .size:           8
        .value_kind:     by_value
      - .address_space:  global
        .offset:         64
        .size:           8
        .value_kind:     global_buffer
      - .offset:         72
        .size:           4
        .value_kind:     by_value
      - .offset:         76
        .size:           1
        .value_kind:     by_value
    .group_segment_fixed_size: 0
    .kernarg_segment_align: 8
    .kernarg_segment_size: 80
    .language:       OpenCL C
    .language_version:
      - 2
      - 0
    .max_flat_workgroup_size: 32
    .name:           _ZN9rocsparseL23gebsrmvn_general_kernelILj32ELj32EfEEvi20rocsparse_direction_NS_24const_host_device_scalarIT1_EEPKiS6_PKS3_iiS8_S4_PS3_21rocsparse_index_base_b
    .private_segment_fixed_size: 0
    .sgpr_count:     43
    .sgpr_spill_count: 0
    .symbol:         _ZN9rocsparseL23gebsrmvn_general_kernelILj32ELj32EfEEvi20rocsparse_direction_NS_24const_host_device_scalarIT1_EEPKiS6_PKS3_iiS8_S4_PS3_21rocsparse_index_base_b.kd
    .uniform_work_group_size: 1
    .uses_dynamic_stack: false
    .vgpr_count:     10
    .vgpr_spill_count: 0
    .wavefront_size: 64
  - .args:
      - .offset:         0
        .size:           4
        .value_kind:     by_value
      - .offset:         4
        .size:           4
        .value_kind:     by_value
      - .offset:         8
        .size:           8
        .value_kind:     by_value
      - .actual_access:  read_only
        .address_space:  global
        .offset:         16
        .size:           8
        .value_kind:     global_buffer
      - .actual_access:  read_only
        .address_space:  global
        .offset:         24
        .size:           8
        .value_kind:     global_buffer
      - .actual_access:  read_only
        .address_space:  global
        .offset:         32
        .size:           8
        .value_kind:     global_buffer
      - .actual_access:  read_only
        .address_space:  global
        .offset:         40
        .size:           8
        .value_kind:     global_buffer
      - .offset:         48
        .size:           8
        .value_kind:     by_value
      - .address_space:  global
        .offset:         56
        .size:           8
        .value_kind:     global_buffer
      - .offset:         64
        .size:           4
        .value_kind:     by_value
      - .offset:         68
        .size:           1
        .value_kind:     by_value
    .group_segment_fixed_size: 0
    .kernarg_segment_align: 8
    .kernarg_segment_size: 72
    .language:       OpenCL C
    .language_version:
      - 2
      - 0
    .max_flat_workgroup_size: 128
    .name:           _ZN9rocsparseL19gebsrmvn_2xn_kernelILj128ELj1ELj4EdEEvi20rocsparse_direction_NS_24const_host_device_scalarIT2_EEPKiS6_PKS3_S8_S4_PS3_21rocsparse_index_base_b
    .private_segment_fixed_size: 0
    .sgpr_count:     20
    .sgpr_spill_count: 0
    .symbol:         _ZN9rocsparseL19gebsrmvn_2xn_kernelILj128ELj1ELj4EdEEvi20rocsparse_direction_NS_24const_host_device_scalarIT2_EEPKiS6_PKS3_S8_S4_PS3_21rocsparse_index_base_b.kd
    .uniform_work_group_size: 1
    .uses_dynamic_stack: false
    .vgpr_count:     25
    .vgpr_spill_count: 0
    .wavefront_size: 64
  - .args:
      - .offset:         0
        .size:           4
        .value_kind:     by_value
      - .offset:         4
        .size:           4
        .value_kind:     by_value
      - .offset:         8
        .size:           8
        .value_kind:     by_value
      - .actual_access:  read_only
        .address_space:  global
        .offset:         16
        .size:           8
        .value_kind:     global_buffer
      - .actual_access:  read_only
        .address_space:  global
        .offset:         24
        .size:           8
        .value_kind:     global_buffer
      - .actual_access:  read_only
        .address_space:  global
        .offset:         32
        .size:           8
        .value_kind:     global_buffer
      - .actual_access:  read_only
        .address_space:  global
        .offset:         40
        .size:           8
        .value_kind:     global_buffer
      - .offset:         48
        .size:           8
        .value_kind:     by_value
      - .address_space:  global
        .offset:         56
        .size:           8
        .value_kind:     global_buffer
      - .offset:         64
        .size:           4
        .value_kind:     by_value
      - .offset:         68
        .size:           1
        .value_kind:     by_value
    .group_segment_fixed_size: 0
    .kernarg_segment_align: 8
    .kernarg_segment_size: 72
    .language:       OpenCL C
    .language_version:
      - 2
      - 0
    .max_flat_workgroup_size: 128
    .name:           _ZN9rocsparseL19gebsrmvn_2xn_kernelILj128ELj1ELj8EdEEvi20rocsparse_direction_NS_24const_host_device_scalarIT2_EEPKiS6_PKS3_S8_S4_PS3_21rocsparse_index_base_b
    .private_segment_fixed_size: 0
    .sgpr_count:     20
    .sgpr_spill_count: 0
    .symbol:         _ZN9rocsparseL19gebsrmvn_2xn_kernelILj128ELj1ELj8EdEEvi20rocsparse_direction_NS_24const_host_device_scalarIT2_EEPKiS6_PKS3_S8_S4_PS3_21rocsparse_index_base_b.kd
    .uniform_work_group_size: 1
    .uses_dynamic_stack: false
    .vgpr_count:     25
    .vgpr_spill_count: 0
    .wavefront_size: 64
  - .args:
      - .offset:         0
        .size:           4
        .value_kind:     by_value
      - .offset:         4
        .size:           4
        .value_kind:     by_value
      - .offset:         8
        .size:           8
        .value_kind:     by_value
      - .actual_access:  read_only
        .address_space:  global
        .offset:         16
        .size:           8
        .value_kind:     global_buffer
      - .actual_access:  read_only
        .address_space:  global
        .offset:         24
        .size:           8
        .value_kind:     global_buffer
      - .actual_access:  read_only
        .address_space:  global
        .offset:         32
        .size:           8
        .value_kind:     global_buffer
      - .actual_access:  read_only
        .address_space:  global
        .offset:         40
        .size:           8
        .value_kind:     global_buffer
      - .offset:         48
        .size:           8
        .value_kind:     by_value
      - .address_space:  global
        .offset:         56
        .size:           8
        .value_kind:     global_buffer
      - .offset:         64
        .size:           4
        .value_kind:     by_value
      - .offset:         68
        .size:           1
        .value_kind:     by_value
    .group_segment_fixed_size: 0
    .kernarg_segment_align: 8
    .kernarg_segment_size: 72
    .language:       OpenCL C
    .language_version:
      - 2
      - 0
    .max_flat_workgroup_size: 128
    .name:           _ZN9rocsparseL19gebsrmvn_2xn_kernelILj128ELj1ELj16EdEEvi20rocsparse_direction_NS_24const_host_device_scalarIT2_EEPKiS6_PKS3_S8_S4_PS3_21rocsparse_index_base_b
    .private_segment_fixed_size: 0
    .sgpr_count:     20
    .sgpr_spill_count: 0
    .symbol:         _ZN9rocsparseL19gebsrmvn_2xn_kernelILj128ELj1ELj16EdEEvi20rocsparse_direction_NS_24const_host_device_scalarIT2_EEPKiS6_PKS3_S8_S4_PS3_21rocsparse_index_base_b.kd
    .uniform_work_group_size: 1
    .uses_dynamic_stack: false
    .vgpr_count:     25
    .vgpr_spill_count: 0
    .wavefront_size: 64
  - .args:
      - .offset:         0
        .size:           4
        .value_kind:     by_value
      - .offset:         4
        .size:           4
        .value_kind:     by_value
      - .offset:         8
        .size:           8
        .value_kind:     by_value
      - .actual_access:  read_only
        .address_space:  global
        .offset:         16
        .size:           8
        .value_kind:     global_buffer
      - .actual_access:  read_only
        .address_space:  global
        .offset:         24
        .size:           8
        .value_kind:     global_buffer
      - .actual_access:  read_only
        .address_space:  global
        .offset:         32
        .size:           8
        .value_kind:     global_buffer
      - .actual_access:  read_only
        .address_space:  global
        .offset:         40
        .size:           8
        .value_kind:     global_buffer
      - .offset:         48
        .size:           8
        .value_kind:     by_value
      - .address_space:  global
        .offset:         56
        .size:           8
        .value_kind:     global_buffer
      - .offset:         64
        .size:           4
        .value_kind:     by_value
      - .offset:         68
        .size:           1
        .value_kind:     by_value
    .group_segment_fixed_size: 0
    .kernarg_segment_align: 8
    .kernarg_segment_size: 72
    .language:       OpenCL C
    .language_version:
      - 2
      - 0
    .max_flat_workgroup_size: 128
    .name:           _ZN9rocsparseL19gebsrmvn_2xn_kernelILj128ELj1ELj32EdEEvi20rocsparse_direction_NS_24const_host_device_scalarIT2_EEPKiS6_PKS3_S8_S4_PS3_21rocsparse_index_base_b
    .private_segment_fixed_size: 0
    .sgpr_count:     20
    .sgpr_spill_count: 0
    .symbol:         _ZN9rocsparseL19gebsrmvn_2xn_kernelILj128ELj1ELj32EdEEvi20rocsparse_direction_NS_24const_host_device_scalarIT2_EEPKiS6_PKS3_S8_S4_PS3_21rocsparse_index_base_b.kd
    .uniform_work_group_size: 1
    .uses_dynamic_stack: false
    .vgpr_count:     25
    .vgpr_spill_count: 0
    .wavefront_size: 64
  - .args:
      - .offset:         0
        .size:           4
        .value_kind:     by_value
      - .offset:         4
        .size:           4
        .value_kind:     by_value
      - .offset:         8
        .size:           8
        .value_kind:     by_value
      - .actual_access:  read_only
        .address_space:  global
        .offset:         16
        .size:           8
        .value_kind:     global_buffer
      - .actual_access:  read_only
        .address_space:  global
        .offset:         24
        .size:           8
        .value_kind:     global_buffer
      - .actual_access:  read_only
        .address_space:  global
        .offset:         32
        .size:           8
        .value_kind:     global_buffer
      - .actual_access:  read_only
        .address_space:  global
        .offset:         40
        .size:           8
        .value_kind:     global_buffer
      - .offset:         48
        .size:           8
        .value_kind:     by_value
      - .address_space:  global
        .offset:         56
        .size:           8
        .value_kind:     global_buffer
      - .offset:         64
        .size:           4
        .value_kind:     by_value
      - .offset:         68
        .size:           1
        .value_kind:     by_value
    .group_segment_fixed_size: 0
    .kernarg_segment_align: 8
    .kernarg_segment_size: 72
    .language:       OpenCL C
    .language_version:
      - 2
      - 0
    .max_flat_workgroup_size: 128
    .name:           _ZN9rocsparseL19gebsrmvn_2xn_kernelILj128ELj1ELj64EdEEvi20rocsparse_direction_NS_24const_host_device_scalarIT2_EEPKiS6_PKS3_S8_S4_PS3_21rocsparse_index_base_b
    .private_segment_fixed_size: 0
    .sgpr_count:     20
    .sgpr_spill_count: 0
    .symbol:         _ZN9rocsparseL19gebsrmvn_2xn_kernelILj128ELj1ELj64EdEEvi20rocsparse_direction_NS_24const_host_device_scalarIT2_EEPKiS6_PKS3_S8_S4_PS3_21rocsparse_index_base_b.kd
    .uniform_work_group_size: 1
    .uses_dynamic_stack: false
    .vgpr_count:     25
    .vgpr_spill_count: 0
    .wavefront_size: 64
  - .args:
      - .offset:         0
        .size:           4
        .value_kind:     by_value
      - .offset:         4
        .size:           4
        .value_kind:     by_value
      - .offset:         8
        .size:           8
        .value_kind:     by_value
      - .actual_access:  read_only
        .address_space:  global
        .offset:         16
        .size:           8
        .value_kind:     global_buffer
      - .actual_access:  read_only
        .address_space:  global
        .offset:         24
        .size:           8
        .value_kind:     global_buffer
      - .actual_access:  read_only
        .address_space:  global
        .offset:         32
        .size:           8
        .value_kind:     global_buffer
      - .actual_access:  read_only
        .address_space:  global
        .offset:         40
        .size:           8
        .value_kind:     global_buffer
      - .offset:         48
        .size:           8
        .value_kind:     by_value
      - .address_space:  global
        .offset:         56
        .size:           8
        .value_kind:     global_buffer
      - .offset:         64
        .size:           4
        .value_kind:     by_value
      - .offset:         68
        .size:           1
        .value_kind:     by_value
    .group_segment_fixed_size: 0
    .kernarg_segment_align: 8
    .kernarg_segment_size: 72
    .language:       OpenCL C
    .language_version:
      - 2
      - 0
    .max_flat_workgroup_size: 128
    .name:           _ZN9rocsparseL19gebsrmvn_2xn_kernelILj128ELj3ELj4EdEEvi20rocsparse_direction_NS_24const_host_device_scalarIT2_EEPKiS6_PKS3_S8_S4_PS3_21rocsparse_index_base_b
    .private_segment_fixed_size: 0
    .sgpr_count:     20
    .sgpr_spill_count: 0
    .symbol:         _ZN9rocsparseL19gebsrmvn_2xn_kernelILj128ELj3ELj4EdEEvi20rocsparse_direction_NS_24const_host_device_scalarIT2_EEPKiS6_PKS3_S8_S4_PS3_21rocsparse_index_base_b.kd
    .uniform_work_group_size: 1
    .uses_dynamic_stack: false
    .vgpr_count:     37
    .vgpr_spill_count: 0
    .wavefront_size: 64
  - .args:
      - .offset:         0
        .size:           4
        .value_kind:     by_value
      - .offset:         4
        .size:           4
        .value_kind:     by_value
      - .offset:         8
        .size:           8
        .value_kind:     by_value
      - .actual_access:  read_only
        .address_space:  global
        .offset:         16
        .size:           8
        .value_kind:     global_buffer
      - .actual_access:  read_only
        .address_space:  global
        .offset:         24
        .size:           8
        .value_kind:     global_buffer
      - .actual_access:  read_only
        .address_space:  global
        .offset:         32
        .size:           8
        .value_kind:     global_buffer
      - .actual_access:  read_only
        .address_space:  global
        .offset:         40
        .size:           8
        .value_kind:     global_buffer
      - .offset:         48
        .size:           8
        .value_kind:     by_value
      - .address_space:  global
        .offset:         56
        .size:           8
        .value_kind:     global_buffer
      - .offset:         64
        .size:           4
        .value_kind:     by_value
      - .offset:         68
        .size:           1
        .value_kind:     by_value
    .group_segment_fixed_size: 0
    .kernarg_segment_align: 8
    .kernarg_segment_size: 72
    .language:       OpenCL C
    .language_version:
      - 2
      - 0
    .max_flat_workgroup_size: 128
    .name:           _ZN9rocsparseL19gebsrmvn_2xn_kernelILj128ELj3ELj8EdEEvi20rocsparse_direction_NS_24const_host_device_scalarIT2_EEPKiS6_PKS3_S8_S4_PS3_21rocsparse_index_base_b
    .private_segment_fixed_size: 0
    .sgpr_count:     20
    .sgpr_spill_count: 0
    .symbol:         _ZN9rocsparseL19gebsrmvn_2xn_kernelILj128ELj3ELj8EdEEvi20rocsparse_direction_NS_24const_host_device_scalarIT2_EEPKiS6_PKS3_S8_S4_PS3_21rocsparse_index_base_b.kd
    .uniform_work_group_size: 1
    .uses_dynamic_stack: false
    .vgpr_count:     37
    .vgpr_spill_count: 0
    .wavefront_size: 64
  - .args:
      - .offset:         0
        .size:           4
        .value_kind:     by_value
      - .offset:         4
        .size:           4
        .value_kind:     by_value
      - .offset:         8
        .size:           8
        .value_kind:     by_value
      - .actual_access:  read_only
        .address_space:  global
        .offset:         16
        .size:           8
        .value_kind:     global_buffer
      - .actual_access:  read_only
        .address_space:  global
        .offset:         24
        .size:           8
        .value_kind:     global_buffer
      - .actual_access:  read_only
        .address_space:  global
        .offset:         32
        .size:           8
        .value_kind:     global_buffer
      - .actual_access:  read_only
        .address_space:  global
        .offset:         40
        .size:           8
        .value_kind:     global_buffer
      - .offset:         48
        .size:           8
        .value_kind:     by_value
      - .address_space:  global
        .offset:         56
        .size:           8
        .value_kind:     global_buffer
      - .offset:         64
        .size:           4
        .value_kind:     by_value
      - .offset:         68
        .size:           1
        .value_kind:     by_value
    .group_segment_fixed_size: 0
    .kernarg_segment_align: 8
    .kernarg_segment_size: 72
    .language:       OpenCL C
    .language_version:
      - 2
      - 0
    .max_flat_workgroup_size: 128
    .name:           _ZN9rocsparseL19gebsrmvn_2xn_kernelILj128ELj3ELj16EdEEvi20rocsparse_direction_NS_24const_host_device_scalarIT2_EEPKiS6_PKS3_S8_S4_PS3_21rocsparse_index_base_b
    .private_segment_fixed_size: 0
    .sgpr_count:     20
    .sgpr_spill_count: 0
    .symbol:         _ZN9rocsparseL19gebsrmvn_2xn_kernelILj128ELj3ELj16EdEEvi20rocsparse_direction_NS_24const_host_device_scalarIT2_EEPKiS6_PKS3_S8_S4_PS3_21rocsparse_index_base_b.kd
    .uniform_work_group_size: 1
    .uses_dynamic_stack: false
    .vgpr_count:     37
    .vgpr_spill_count: 0
    .wavefront_size: 64
  - .args:
      - .offset:         0
        .size:           4
        .value_kind:     by_value
      - .offset:         4
        .size:           4
        .value_kind:     by_value
      - .offset:         8
        .size:           8
        .value_kind:     by_value
      - .actual_access:  read_only
        .address_space:  global
        .offset:         16
        .size:           8
        .value_kind:     global_buffer
      - .actual_access:  read_only
        .address_space:  global
        .offset:         24
        .size:           8
        .value_kind:     global_buffer
      - .actual_access:  read_only
        .address_space:  global
        .offset:         32
        .size:           8
        .value_kind:     global_buffer
      - .actual_access:  read_only
        .address_space:  global
        .offset:         40
        .size:           8
        .value_kind:     global_buffer
      - .offset:         48
        .size:           8
        .value_kind:     by_value
      - .address_space:  global
        .offset:         56
        .size:           8
        .value_kind:     global_buffer
      - .offset:         64
        .size:           4
        .value_kind:     by_value
      - .offset:         68
        .size:           1
        .value_kind:     by_value
    .group_segment_fixed_size: 0
    .kernarg_segment_align: 8
    .kernarg_segment_size: 72
    .language:       OpenCL C
    .language_version:
      - 2
      - 0
    .max_flat_workgroup_size: 128
    .name:           _ZN9rocsparseL19gebsrmvn_2xn_kernelILj128ELj3ELj32EdEEvi20rocsparse_direction_NS_24const_host_device_scalarIT2_EEPKiS6_PKS3_S8_S4_PS3_21rocsparse_index_base_b
    .private_segment_fixed_size: 0
    .sgpr_count:     20
    .sgpr_spill_count: 0
    .symbol:         _ZN9rocsparseL19gebsrmvn_2xn_kernelILj128ELj3ELj32EdEEvi20rocsparse_direction_NS_24const_host_device_scalarIT2_EEPKiS6_PKS3_S8_S4_PS3_21rocsparse_index_base_b.kd
    .uniform_work_group_size: 1
    .uses_dynamic_stack: false
    .vgpr_count:     37
    .vgpr_spill_count: 0
    .wavefront_size: 64
  - .args:
      - .offset:         0
        .size:           4
        .value_kind:     by_value
      - .offset:         4
        .size:           4
        .value_kind:     by_value
      - .offset:         8
        .size:           8
        .value_kind:     by_value
      - .actual_access:  read_only
        .address_space:  global
        .offset:         16
        .size:           8
        .value_kind:     global_buffer
      - .actual_access:  read_only
        .address_space:  global
        .offset:         24
        .size:           8
        .value_kind:     global_buffer
      - .actual_access:  read_only
        .address_space:  global
        .offset:         32
        .size:           8
        .value_kind:     global_buffer
      - .actual_access:  read_only
        .address_space:  global
        .offset:         40
        .size:           8
        .value_kind:     global_buffer
      - .offset:         48
        .size:           8
        .value_kind:     by_value
      - .address_space:  global
        .offset:         56
        .size:           8
        .value_kind:     global_buffer
      - .offset:         64
        .size:           4
        .value_kind:     by_value
      - .offset:         68
        .size:           1
        .value_kind:     by_value
    .group_segment_fixed_size: 0
    .kernarg_segment_align: 8
    .kernarg_segment_size: 72
    .language:       OpenCL C
    .language_version:
      - 2
      - 0
    .max_flat_workgroup_size: 128
    .name:           _ZN9rocsparseL19gebsrmvn_2xn_kernelILj128ELj3ELj64EdEEvi20rocsparse_direction_NS_24const_host_device_scalarIT2_EEPKiS6_PKS3_S8_S4_PS3_21rocsparse_index_base_b
    .private_segment_fixed_size: 0
    .sgpr_count:     20
    .sgpr_spill_count: 0
    .symbol:         _ZN9rocsparseL19gebsrmvn_2xn_kernelILj128ELj3ELj64EdEEvi20rocsparse_direction_NS_24const_host_device_scalarIT2_EEPKiS6_PKS3_S8_S4_PS3_21rocsparse_index_base_b.kd
    .uniform_work_group_size: 1
    .uses_dynamic_stack: false
    .vgpr_count:     37
    .vgpr_spill_count: 0
    .wavefront_size: 64
  - .args:
      - .offset:         0
        .size:           4
        .value_kind:     by_value
      - .offset:         4
        .size:           4
        .value_kind:     by_value
      - .offset:         8
        .size:           8
        .value_kind:     by_value
      - .actual_access:  read_only
        .address_space:  global
        .offset:         16
        .size:           8
        .value_kind:     global_buffer
      - .actual_access:  read_only
        .address_space:  global
        .offset:         24
        .size:           8
        .value_kind:     global_buffer
      - .actual_access:  read_only
        .address_space:  global
        .offset:         32
        .size:           8
        .value_kind:     global_buffer
      - .actual_access:  read_only
        .address_space:  global
        .offset:         40
        .size:           8
        .value_kind:     global_buffer
      - .offset:         48
        .size:           8
        .value_kind:     by_value
      - .address_space:  global
        .offset:         56
        .size:           8
        .value_kind:     global_buffer
      - .offset:         64
        .size:           4
        .value_kind:     by_value
      - .offset:         68
        .size:           1
        .value_kind:     by_value
    .group_segment_fixed_size: 0
    .kernarg_segment_align: 8
    .kernarg_segment_size: 72
    .language:       OpenCL C
    .language_version:
      - 2
      - 0
    .max_flat_workgroup_size: 128
    .name:           _ZN9rocsparseL19gebsrmvn_2xn_kernelILj128ELj4ELj4EdEEvi20rocsparse_direction_NS_24const_host_device_scalarIT2_EEPKiS6_PKS3_S8_S4_PS3_21rocsparse_index_base_b
    .private_segment_fixed_size: 0
    .sgpr_count:     20
    .sgpr_spill_count: 0
    .symbol:         _ZN9rocsparseL19gebsrmvn_2xn_kernelILj128ELj4ELj4EdEEvi20rocsparse_direction_NS_24const_host_device_scalarIT2_EEPKiS6_PKS3_S8_S4_PS3_21rocsparse_index_base_b.kd
    .uniform_work_group_size: 1
    .uses_dynamic_stack: false
    .vgpr_count:     47
    .vgpr_spill_count: 0
    .wavefront_size: 64
  - .args:
      - .offset:         0
        .size:           4
        .value_kind:     by_value
      - .offset:         4
        .size:           4
        .value_kind:     by_value
      - .offset:         8
        .size:           8
        .value_kind:     by_value
      - .actual_access:  read_only
        .address_space:  global
        .offset:         16
        .size:           8
        .value_kind:     global_buffer
      - .actual_access:  read_only
        .address_space:  global
        .offset:         24
        .size:           8
        .value_kind:     global_buffer
      - .actual_access:  read_only
        .address_space:  global
        .offset:         32
        .size:           8
        .value_kind:     global_buffer
      - .actual_access:  read_only
        .address_space:  global
        .offset:         40
        .size:           8
        .value_kind:     global_buffer
      - .offset:         48
        .size:           8
        .value_kind:     by_value
      - .address_space:  global
        .offset:         56
        .size:           8
        .value_kind:     global_buffer
      - .offset:         64
        .size:           4
        .value_kind:     by_value
      - .offset:         68
        .size:           1
        .value_kind:     by_value
    .group_segment_fixed_size: 0
    .kernarg_segment_align: 8
    .kernarg_segment_size: 72
    .language:       OpenCL C
    .language_version:
      - 2
      - 0
    .max_flat_workgroup_size: 128
    .name:           _ZN9rocsparseL19gebsrmvn_2xn_kernelILj128ELj4ELj8EdEEvi20rocsparse_direction_NS_24const_host_device_scalarIT2_EEPKiS6_PKS3_S8_S4_PS3_21rocsparse_index_base_b
    .private_segment_fixed_size: 0
    .sgpr_count:     20
    .sgpr_spill_count: 0
    .symbol:         _ZN9rocsparseL19gebsrmvn_2xn_kernelILj128ELj4ELj8EdEEvi20rocsparse_direction_NS_24const_host_device_scalarIT2_EEPKiS6_PKS3_S8_S4_PS3_21rocsparse_index_base_b.kd
    .uniform_work_group_size: 1
    .uses_dynamic_stack: false
    .vgpr_count:     47
    .vgpr_spill_count: 0
    .wavefront_size: 64
  - .args:
      - .offset:         0
        .size:           4
        .value_kind:     by_value
      - .offset:         4
        .size:           4
        .value_kind:     by_value
      - .offset:         8
        .size:           8
        .value_kind:     by_value
      - .actual_access:  read_only
        .address_space:  global
        .offset:         16
        .size:           8
        .value_kind:     global_buffer
      - .actual_access:  read_only
        .address_space:  global
        .offset:         24
        .size:           8
        .value_kind:     global_buffer
      - .actual_access:  read_only
        .address_space:  global
        .offset:         32
        .size:           8
        .value_kind:     global_buffer
      - .actual_access:  read_only
        .address_space:  global
        .offset:         40
        .size:           8
        .value_kind:     global_buffer
      - .offset:         48
        .size:           8
        .value_kind:     by_value
      - .address_space:  global
        .offset:         56
        .size:           8
        .value_kind:     global_buffer
      - .offset:         64
        .size:           4
        .value_kind:     by_value
      - .offset:         68
        .size:           1
        .value_kind:     by_value
    .group_segment_fixed_size: 0
    .kernarg_segment_align: 8
    .kernarg_segment_size: 72
    .language:       OpenCL C
    .language_version:
      - 2
      - 0
    .max_flat_workgroup_size: 128
    .name:           _ZN9rocsparseL19gebsrmvn_2xn_kernelILj128ELj4ELj16EdEEvi20rocsparse_direction_NS_24const_host_device_scalarIT2_EEPKiS6_PKS3_S8_S4_PS3_21rocsparse_index_base_b
    .private_segment_fixed_size: 0
    .sgpr_count:     20
    .sgpr_spill_count: 0
    .symbol:         _ZN9rocsparseL19gebsrmvn_2xn_kernelILj128ELj4ELj16EdEEvi20rocsparse_direction_NS_24const_host_device_scalarIT2_EEPKiS6_PKS3_S8_S4_PS3_21rocsparse_index_base_b.kd
    .uniform_work_group_size: 1
    .uses_dynamic_stack: false
    .vgpr_count:     47
    .vgpr_spill_count: 0
    .wavefront_size: 64
  - .args:
      - .offset:         0
        .size:           4
        .value_kind:     by_value
      - .offset:         4
        .size:           4
        .value_kind:     by_value
      - .offset:         8
        .size:           8
        .value_kind:     by_value
      - .actual_access:  read_only
        .address_space:  global
        .offset:         16
        .size:           8
        .value_kind:     global_buffer
      - .actual_access:  read_only
        .address_space:  global
        .offset:         24
        .size:           8
        .value_kind:     global_buffer
      - .actual_access:  read_only
        .address_space:  global
        .offset:         32
        .size:           8
        .value_kind:     global_buffer
      - .actual_access:  read_only
        .address_space:  global
        .offset:         40
        .size:           8
        .value_kind:     global_buffer
      - .offset:         48
        .size:           8
        .value_kind:     by_value
      - .address_space:  global
        .offset:         56
        .size:           8
        .value_kind:     global_buffer
      - .offset:         64
        .size:           4
        .value_kind:     by_value
      - .offset:         68
        .size:           1
        .value_kind:     by_value
    .group_segment_fixed_size: 0
    .kernarg_segment_align: 8
    .kernarg_segment_size: 72
    .language:       OpenCL C
    .language_version:
      - 2
      - 0
    .max_flat_workgroup_size: 128
    .name:           _ZN9rocsparseL19gebsrmvn_2xn_kernelILj128ELj4ELj32EdEEvi20rocsparse_direction_NS_24const_host_device_scalarIT2_EEPKiS6_PKS3_S8_S4_PS3_21rocsparse_index_base_b
    .private_segment_fixed_size: 0
    .sgpr_count:     20
    .sgpr_spill_count: 0
    .symbol:         _ZN9rocsparseL19gebsrmvn_2xn_kernelILj128ELj4ELj32EdEEvi20rocsparse_direction_NS_24const_host_device_scalarIT2_EEPKiS6_PKS3_S8_S4_PS3_21rocsparse_index_base_b.kd
    .uniform_work_group_size: 1
    .uses_dynamic_stack: false
    .vgpr_count:     47
    .vgpr_spill_count: 0
    .wavefront_size: 64
  - .args:
      - .offset:         0
        .size:           4
        .value_kind:     by_value
      - .offset:         4
        .size:           4
        .value_kind:     by_value
      - .offset:         8
        .size:           8
        .value_kind:     by_value
      - .actual_access:  read_only
        .address_space:  global
        .offset:         16
        .size:           8
        .value_kind:     global_buffer
      - .actual_access:  read_only
        .address_space:  global
        .offset:         24
        .size:           8
        .value_kind:     global_buffer
      - .actual_access:  read_only
        .address_space:  global
        .offset:         32
        .size:           8
        .value_kind:     global_buffer
      - .actual_access:  read_only
        .address_space:  global
        .offset:         40
        .size:           8
        .value_kind:     global_buffer
      - .offset:         48
        .size:           8
        .value_kind:     by_value
      - .address_space:  global
        .offset:         56
        .size:           8
        .value_kind:     global_buffer
      - .offset:         64
        .size:           4
        .value_kind:     by_value
      - .offset:         68
        .size:           1
        .value_kind:     by_value
    .group_segment_fixed_size: 0
    .kernarg_segment_align: 8
    .kernarg_segment_size: 72
    .language:       OpenCL C
    .language_version:
      - 2
      - 0
    .max_flat_workgroup_size: 128
    .name:           _ZN9rocsparseL19gebsrmvn_2xn_kernelILj128ELj4ELj64EdEEvi20rocsparse_direction_NS_24const_host_device_scalarIT2_EEPKiS6_PKS3_S8_S4_PS3_21rocsparse_index_base_b
    .private_segment_fixed_size: 0
    .sgpr_count:     20
    .sgpr_spill_count: 0
    .symbol:         _ZN9rocsparseL19gebsrmvn_2xn_kernelILj128ELj4ELj64EdEEvi20rocsparse_direction_NS_24const_host_device_scalarIT2_EEPKiS6_PKS3_S8_S4_PS3_21rocsparse_index_base_b.kd
    .uniform_work_group_size: 1
    .uses_dynamic_stack: false
    .vgpr_count:     47
    .vgpr_spill_count: 0
    .wavefront_size: 64
  - .args:
      - .offset:         0
        .size:           4
        .value_kind:     by_value
      - .offset:         4
        .size:           4
        .value_kind:     by_value
      - .offset:         8
        .size:           8
        .value_kind:     by_value
      - .actual_access:  read_only
        .address_space:  global
        .offset:         16
        .size:           8
        .value_kind:     global_buffer
      - .actual_access:  read_only
        .address_space:  global
        .offset:         24
        .size:           8
        .value_kind:     global_buffer
      - .actual_access:  read_only
        .address_space:  global
        .offset:         32
        .size:           8
        .value_kind:     global_buffer
      - .actual_access:  read_only
        .address_space:  global
        .offset:         40
        .size:           8
        .value_kind:     global_buffer
      - .offset:         48
        .size:           8
        .value_kind:     by_value
      - .address_space:  global
        .offset:         56
        .size:           8
        .value_kind:     global_buffer
      - .offset:         64
        .size:           4
        .value_kind:     by_value
      - .offset:         68
        .size:           1
        .value_kind:     by_value
    .group_segment_fixed_size: 0
    .kernarg_segment_align: 8
    .kernarg_segment_size: 72
    .language:       OpenCL C
    .language_version:
      - 2
      - 0
    .max_flat_workgroup_size: 128
    .name:           _ZN9rocsparseL19gebsrmvn_2xn_kernelILj128ELj5ELj4EdEEvi20rocsparse_direction_NS_24const_host_device_scalarIT2_EEPKiS6_PKS3_S8_S4_PS3_21rocsparse_index_base_b
    .private_segment_fixed_size: 0
    .sgpr_count:     20
    .sgpr_spill_count: 0
    .symbol:         _ZN9rocsparseL19gebsrmvn_2xn_kernelILj128ELj5ELj4EdEEvi20rocsparse_direction_NS_24const_host_device_scalarIT2_EEPKiS6_PKS3_S8_S4_PS3_21rocsparse_index_base_b.kd
    .uniform_work_group_size: 1
    .uses_dynamic_stack: false
    .vgpr_count:     38
    .vgpr_spill_count: 0
    .wavefront_size: 64
  - .args:
      - .offset:         0
        .size:           4
        .value_kind:     by_value
      - .offset:         4
        .size:           4
        .value_kind:     by_value
      - .offset:         8
        .size:           8
        .value_kind:     by_value
      - .actual_access:  read_only
        .address_space:  global
        .offset:         16
        .size:           8
        .value_kind:     global_buffer
      - .actual_access:  read_only
        .address_space:  global
        .offset:         24
        .size:           8
        .value_kind:     global_buffer
      - .actual_access:  read_only
        .address_space:  global
        .offset:         32
        .size:           8
        .value_kind:     global_buffer
      - .actual_access:  read_only
        .address_space:  global
        .offset:         40
        .size:           8
        .value_kind:     global_buffer
      - .offset:         48
        .size:           8
        .value_kind:     by_value
      - .address_space:  global
        .offset:         56
        .size:           8
        .value_kind:     global_buffer
      - .offset:         64
        .size:           4
        .value_kind:     by_value
      - .offset:         68
        .size:           1
        .value_kind:     by_value
    .group_segment_fixed_size: 0
    .kernarg_segment_align: 8
    .kernarg_segment_size: 72
    .language:       OpenCL C
    .language_version:
      - 2
      - 0
    .max_flat_workgroup_size: 128
    .name:           _ZN9rocsparseL19gebsrmvn_2xn_kernelILj128ELj5ELj8EdEEvi20rocsparse_direction_NS_24const_host_device_scalarIT2_EEPKiS6_PKS3_S8_S4_PS3_21rocsparse_index_base_b
    .private_segment_fixed_size: 0
    .sgpr_count:     20
    .sgpr_spill_count: 0
    .symbol:         _ZN9rocsparseL19gebsrmvn_2xn_kernelILj128ELj5ELj8EdEEvi20rocsparse_direction_NS_24const_host_device_scalarIT2_EEPKiS6_PKS3_S8_S4_PS3_21rocsparse_index_base_b.kd
    .uniform_work_group_size: 1
    .uses_dynamic_stack: false
    .vgpr_count:     38
    .vgpr_spill_count: 0
    .wavefront_size: 64
  - .args:
      - .offset:         0
        .size:           4
        .value_kind:     by_value
      - .offset:         4
        .size:           4
        .value_kind:     by_value
      - .offset:         8
        .size:           8
        .value_kind:     by_value
      - .actual_access:  read_only
        .address_space:  global
        .offset:         16
        .size:           8
        .value_kind:     global_buffer
      - .actual_access:  read_only
        .address_space:  global
        .offset:         24
        .size:           8
        .value_kind:     global_buffer
      - .actual_access:  read_only
        .address_space:  global
        .offset:         32
        .size:           8
        .value_kind:     global_buffer
      - .actual_access:  read_only
        .address_space:  global
        .offset:         40
        .size:           8
        .value_kind:     global_buffer
      - .offset:         48
        .size:           8
        .value_kind:     by_value
      - .address_space:  global
        .offset:         56
        .size:           8
        .value_kind:     global_buffer
      - .offset:         64
        .size:           4
        .value_kind:     by_value
      - .offset:         68
        .size:           1
        .value_kind:     by_value
    .group_segment_fixed_size: 0
    .kernarg_segment_align: 8
    .kernarg_segment_size: 72
    .language:       OpenCL C
    .language_version:
      - 2
      - 0
    .max_flat_workgroup_size: 128
    .name:           _ZN9rocsparseL19gebsrmvn_2xn_kernelILj128ELj5ELj16EdEEvi20rocsparse_direction_NS_24const_host_device_scalarIT2_EEPKiS6_PKS3_S8_S4_PS3_21rocsparse_index_base_b
    .private_segment_fixed_size: 0
    .sgpr_count:     20
    .sgpr_spill_count: 0
    .symbol:         _ZN9rocsparseL19gebsrmvn_2xn_kernelILj128ELj5ELj16EdEEvi20rocsparse_direction_NS_24const_host_device_scalarIT2_EEPKiS6_PKS3_S8_S4_PS3_21rocsparse_index_base_b.kd
    .uniform_work_group_size: 1
    .uses_dynamic_stack: false
    .vgpr_count:     38
    .vgpr_spill_count: 0
    .wavefront_size: 64
  - .args:
      - .offset:         0
        .size:           4
        .value_kind:     by_value
      - .offset:         4
        .size:           4
        .value_kind:     by_value
      - .offset:         8
        .size:           8
        .value_kind:     by_value
      - .actual_access:  read_only
        .address_space:  global
        .offset:         16
        .size:           8
        .value_kind:     global_buffer
      - .actual_access:  read_only
        .address_space:  global
        .offset:         24
        .size:           8
        .value_kind:     global_buffer
      - .actual_access:  read_only
        .address_space:  global
        .offset:         32
        .size:           8
        .value_kind:     global_buffer
      - .actual_access:  read_only
        .address_space:  global
        .offset:         40
        .size:           8
        .value_kind:     global_buffer
      - .offset:         48
        .size:           8
        .value_kind:     by_value
      - .address_space:  global
        .offset:         56
        .size:           8
        .value_kind:     global_buffer
      - .offset:         64
        .size:           4
        .value_kind:     by_value
      - .offset:         68
        .size:           1
        .value_kind:     by_value
    .group_segment_fixed_size: 0
    .kernarg_segment_align: 8
    .kernarg_segment_size: 72
    .language:       OpenCL C
    .language_version:
      - 2
      - 0
    .max_flat_workgroup_size: 128
    .name:           _ZN9rocsparseL19gebsrmvn_2xn_kernelILj128ELj5ELj32EdEEvi20rocsparse_direction_NS_24const_host_device_scalarIT2_EEPKiS6_PKS3_S8_S4_PS3_21rocsparse_index_base_b
    .private_segment_fixed_size: 0
    .sgpr_count:     20
    .sgpr_spill_count: 0
    .symbol:         _ZN9rocsparseL19gebsrmvn_2xn_kernelILj128ELj5ELj32EdEEvi20rocsparse_direction_NS_24const_host_device_scalarIT2_EEPKiS6_PKS3_S8_S4_PS3_21rocsparse_index_base_b.kd
    .uniform_work_group_size: 1
    .uses_dynamic_stack: false
    .vgpr_count:     38
    .vgpr_spill_count: 0
    .wavefront_size: 64
  - .args:
      - .offset:         0
        .size:           4
        .value_kind:     by_value
      - .offset:         4
        .size:           4
        .value_kind:     by_value
      - .offset:         8
        .size:           8
        .value_kind:     by_value
      - .actual_access:  read_only
        .address_space:  global
        .offset:         16
        .size:           8
        .value_kind:     global_buffer
      - .actual_access:  read_only
        .address_space:  global
        .offset:         24
        .size:           8
        .value_kind:     global_buffer
      - .actual_access:  read_only
        .address_space:  global
        .offset:         32
        .size:           8
        .value_kind:     global_buffer
      - .actual_access:  read_only
        .address_space:  global
        .offset:         40
        .size:           8
        .value_kind:     global_buffer
      - .offset:         48
        .size:           8
        .value_kind:     by_value
      - .address_space:  global
        .offset:         56
        .size:           8
        .value_kind:     global_buffer
      - .offset:         64
        .size:           4
        .value_kind:     by_value
      - .offset:         68
        .size:           1
        .value_kind:     by_value
    .group_segment_fixed_size: 0
    .kernarg_segment_align: 8
    .kernarg_segment_size: 72
    .language:       OpenCL C
    .language_version:
      - 2
      - 0
    .max_flat_workgroup_size: 128
    .name:           _ZN9rocsparseL19gebsrmvn_2xn_kernelILj128ELj5ELj64EdEEvi20rocsparse_direction_NS_24const_host_device_scalarIT2_EEPKiS6_PKS3_S8_S4_PS3_21rocsparse_index_base_b
    .private_segment_fixed_size: 0
    .sgpr_count:     20
    .sgpr_spill_count: 0
    .symbol:         _ZN9rocsparseL19gebsrmvn_2xn_kernelILj128ELj5ELj64EdEEvi20rocsparse_direction_NS_24const_host_device_scalarIT2_EEPKiS6_PKS3_S8_S4_PS3_21rocsparse_index_base_b.kd
    .uniform_work_group_size: 1
    .uses_dynamic_stack: false
    .vgpr_count:     38
    .vgpr_spill_count: 0
    .wavefront_size: 64
  - .args:
      - .offset:         0
        .size:           4
        .value_kind:     by_value
      - .offset:         4
        .size:           4
        .value_kind:     by_value
      - .offset:         8
        .size:           8
        .value_kind:     by_value
      - .actual_access:  read_only
        .address_space:  global
        .offset:         16
        .size:           8
        .value_kind:     global_buffer
      - .actual_access:  read_only
        .address_space:  global
        .offset:         24
        .size:           8
        .value_kind:     global_buffer
      - .actual_access:  read_only
        .address_space:  global
        .offset:         32
        .size:           8
        .value_kind:     global_buffer
      - .actual_access:  read_only
        .address_space:  global
        .offset:         40
        .size:           8
        .value_kind:     global_buffer
      - .offset:         48
        .size:           8
        .value_kind:     by_value
      - .address_space:  global
        .offset:         56
        .size:           8
        .value_kind:     global_buffer
      - .offset:         64
        .size:           4
        .value_kind:     by_value
      - .offset:         68
        .size:           1
        .value_kind:     by_value
    .group_segment_fixed_size: 0
    .kernarg_segment_align: 8
    .kernarg_segment_size: 72
    .language:       OpenCL C
    .language_version:
      - 2
      - 0
    .max_flat_workgroup_size: 128
    .name:           _ZN9rocsparseL19gebsrmvn_2xn_kernelILj128ELj6ELj4EdEEvi20rocsparse_direction_NS_24const_host_device_scalarIT2_EEPKiS6_PKS3_S8_S4_PS3_21rocsparse_index_base_b
    .private_segment_fixed_size: 0
    .sgpr_count:     20
    .sgpr_spill_count: 0
    .symbol:         _ZN9rocsparseL19gebsrmvn_2xn_kernelILj128ELj6ELj4EdEEvi20rocsparse_direction_NS_24const_host_device_scalarIT2_EEPKiS6_PKS3_S8_S4_PS3_21rocsparse_index_base_b.kd
    .uniform_work_group_size: 1
    .uses_dynamic_stack: false
    .vgpr_count:     42
    .vgpr_spill_count: 0
    .wavefront_size: 64
  - .args:
      - .offset:         0
        .size:           4
        .value_kind:     by_value
      - .offset:         4
        .size:           4
        .value_kind:     by_value
      - .offset:         8
        .size:           8
        .value_kind:     by_value
      - .actual_access:  read_only
        .address_space:  global
        .offset:         16
        .size:           8
        .value_kind:     global_buffer
      - .actual_access:  read_only
        .address_space:  global
        .offset:         24
        .size:           8
        .value_kind:     global_buffer
      - .actual_access:  read_only
        .address_space:  global
        .offset:         32
        .size:           8
        .value_kind:     global_buffer
      - .actual_access:  read_only
        .address_space:  global
        .offset:         40
        .size:           8
        .value_kind:     global_buffer
      - .offset:         48
        .size:           8
        .value_kind:     by_value
      - .address_space:  global
        .offset:         56
        .size:           8
        .value_kind:     global_buffer
      - .offset:         64
        .size:           4
        .value_kind:     by_value
      - .offset:         68
        .size:           1
        .value_kind:     by_value
    .group_segment_fixed_size: 0
    .kernarg_segment_align: 8
    .kernarg_segment_size: 72
    .language:       OpenCL C
    .language_version:
      - 2
      - 0
    .max_flat_workgroup_size: 128
    .name:           _ZN9rocsparseL19gebsrmvn_2xn_kernelILj128ELj6ELj8EdEEvi20rocsparse_direction_NS_24const_host_device_scalarIT2_EEPKiS6_PKS3_S8_S4_PS3_21rocsparse_index_base_b
    .private_segment_fixed_size: 0
    .sgpr_count:     20
    .sgpr_spill_count: 0
    .symbol:         _ZN9rocsparseL19gebsrmvn_2xn_kernelILj128ELj6ELj8EdEEvi20rocsparse_direction_NS_24const_host_device_scalarIT2_EEPKiS6_PKS3_S8_S4_PS3_21rocsparse_index_base_b.kd
    .uniform_work_group_size: 1
    .uses_dynamic_stack: false
    .vgpr_count:     42
    .vgpr_spill_count: 0
    .wavefront_size: 64
  - .args:
      - .offset:         0
        .size:           4
        .value_kind:     by_value
      - .offset:         4
        .size:           4
        .value_kind:     by_value
      - .offset:         8
        .size:           8
        .value_kind:     by_value
      - .actual_access:  read_only
        .address_space:  global
        .offset:         16
        .size:           8
        .value_kind:     global_buffer
      - .actual_access:  read_only
        .address_space:  global
        .offset:         24
        .size:           8
        .value_kind:     global_buffer
      - .actual_access:  read_only
        .address_space:  global
        .offset:         32
        .size:           8
        .value_kind:     global_buffer
      - .actual_access:  read_only
        .address_space:  global
        .offset:         40
        .size:           8
        .value_kind:     global_buffer
      - .offset:         48
        .size:           8
        .value_kind:     by_value
      - .address_space:  global
        .offset:         56
        .size:           8
        .value_kind:     global_buffer
      - .offset:         64
        .size:           4
        .value_kind:     by_value
      - .offset:         68
        .size:           1
        .value_kind:     by_value
    .group_segment_fixed_size: 0
    .kernarg_segment_align: 8
    .kernarg_segment_size: 72
    .language:       OpenCL C
    .language_version:
      - 2
      - 0
    .max_flat_workgroup_size: 128
    .name:           _ZN9rocsparseL19gebsrmvn_2xn_kernelILj128ELj6ELj16EdEEvi20rocsparse_direction_NS_24const_host_device_scalarIT2_EEPKiS6_PKS3_S8_S4_PS3_21rocsparse_index_base_b
    .private_segment_fixed_size: 0
    .sgpr_count:     20
    .sgpr_spill_count: 0
    .symbol:         _ZN9rocsparseL19gebsrmvn_2xn_kernelILj128ELj6ELj16EdEEvi20rocsparse_direction_NS_24const_host_device_scalarIT2_EEPKiS6_PKS3_S8_S4_PS3_21rocsparse_index_base_b.kd
    .uniform_work_group_size: 1
    .uses_dynamic_stack: false
    .vgpr_count:     42
    .vgpr_spill_count: 0
    .wavefront_size: 64
  - .args:
      - .offset:         0
        .size:           4
        .value_kind:     by_value
      - .offset:         4
        .size:           4
        .value_kind:     by_value
      - .offset:         8
        .size:           8
        .value_kind:     by_value
      - .actual_access:  read_only
        .address_space:  global
        .offset:         16
        .size:           8
        .value_kind:     global_buffer
      - .actual_access:  read_only
        .address_space:  global
        .offset:         24
        .size:           8
        .value_kind:     global_buffer
      - .actual_access:  read_only
        .address_space:  global
        .offset:         32
        .size:           8
        .value_kind:     global_buffer
      - .actual_access:  read_only
        .address_space:  global
        .offset:         40
        .size:           8
        .value_kind:     global_buffer
      - .offset:         48
        .size:           8
        .value_kind:     by_value
      - .address_space:  global
        .offset:         56
        .size:           8
        .value_kind:     global_buffer
      - .offset:         64
        .size:           4
        .value_kind:     by_value
      - .offset:         68
        .size:           1
        .value_kind:     by_value
    .group_segment_fixed_size: 0
    .kernarg_segment_align: 8
    .kernarg_segment_size: 72
    .language:       OpenCL C
    .language_version:
      - 2
      - 0
    .max_flat_workgroup_size: 128
    .name:           _ZN9rocsparseL19gebsrmvn_2xn_kernelILj128ELj6ELj32EdEEvi20rocsparse_direction_NS_24const_host_device_scalarIT2_EEPKiS6_PKS3_S8_S4_PS3_21rocsparse_index_base_b
    .private_segment_fixed_size: 0
    .sgpr_count:     20
    .sgpr_spill_count: 0
    .symbol:         _ZN9rocsparseL19gebsrmvn_2xn_kernelILj128ELj6ELj32EdEEvi20rocsparse_direction_NS_24const_host_device_scalarIT2_EEPKiS6_PKS3_S8_S4_PS3_21rocsparse_index_base_b.kd
    .uniform_work_group_size: 1
    .uses_dynamic_stack: false
    .vgpr_count:     42
    .vgpr_spill_count: 0
    .wavefront_size: 64
  - .args:
      - .offset:         0
        .size:           4
        .value_kind:     by_value
      - .offset:         4
        .size:           4
        .value_kind:     by_value
      - .offset:         8
        .size:           8
        .value_kind:     by_value
      - .actual_access:  read_only
        .address_space:  global
        .offset:         16
        .size:           8
        .value_kind:     global_buffer
      - .actual_access:  read_only
        .address_space:  global
        .offset:         24
        .size:           8
        .value_kind:     global_buffer
      - .actual_access:  read_only
        .address_space:  global
        .offset:         32
        .size:           8
        .value_kind:     global_buffer
      - .actual_access:  read_only
        .address_space:  global
        .offset:         40
        .size:           8
        .value_kind:     global_buffer
      - .offset:         48
        .size:           8
        .value_kind:     by_value
      - .address_space:  global
        .offset:         56
        .size:           8
        .value_kind:     global_buffer
      - .offset:         64
        .size:           4
        .value_kind:     by_value
      - .offset:         68
        .size:           1
        .value_kind:     by_value
    .group_segment_fixed_size: 0
    .kernarg_segment_align: 8
    .kernarg_segment_size: 72
    .language:       OpenCL C
    .language_version:
      - 2
      - 0
    .max_flat_workgroup_size: 128
    .name:           _ZN9rocsparseL19gebsrmvn_2xn_kernelILj128ELj6ELj64EdEEvi20rocsparse_direction_NS_24const_host_device_scalarIT2_EEPKiS6_PKS3_S8_S4_PS3_21rocsparse_index_base_b
    .private_segment_fixed_size: 0
    .sgpr_count:     20
    .sgpr_spill_count: 0
    .symbol:         _ZN9rocsparseL19gebsrmvn_2xn_kernelILj128ELj6ELj64EdEEvi20rocsparse_direction_NS_24const_host_device_scalarIT2_EEPKiS6_PKS3_S8_S4_PS3_21rocsparse_index_base_b.kd
    .uniform_work_group_size: 1
    .uses_dynamic_stack: false
    .vgpr_count:     42
    .vgpr_spill_count: 0
    .wavefront_size: 64
  - .args:
      - .offset:         0
        .size:           4
        .value_kind:     by_value
      - .offset:         4
        .size:           4
        .value_kind:     by_value
      - .offset:         8
        .size:           8
        .value_kind:     by_value
      - .actual_access:  read_only
        .address_space:  global
        .offset:         16
        .size:           8
        .value_kind:     global_buffer
      - .actual_access:  read_only
        .address_space:  global
        .offset:         24
        .size:           8
        .value_kind:     global_buffer
      - .actual_access:  read_only
        .address_space:  global
        .offset:         32
        .size:           8
        .value_kind:     global_buffer
      - .actual_access:  read_only
        .address_space:  global
        .offset:         40
        .size:           8
        .value_kind:     global_buffer
      - .offset:         48
        .size:           8
        .value_kind:     by_value
      - .address_space:  global
        .offset:         56
        .size:           8
        .value_kind:     global_buffer
      - .offset:         64
        .size:           4
        .value_kind:     by_value
      - .offset:         68
        .size:           1
        .value_kind:     by_value
    .group_segment_fixed_size: 0
    .kernarg_segment_align: 8
    .kernarg_segment_size: 72
    .language:       OpenCL C
    .language_version:
      - 2
      - 0
    .max_flat_workgroup_size: 128
    .name:           _ZN9rocsparseL19gebsrmvn_2xn_kernelILj128ELj7ELj4EdEEvi20rocsparse_direction_NS_24const_host_device_scalarIT2_EEPKiS6_PKS3_S8_S4_PS3_21rocsparse_index_base_b
    .private_segment_fixed_size: 0
    .sgpr_count:     20
    .sgpr_spill_count: 0
    .symbol:         _ZN9rocsparseL19gebsrmvn_2xn_kernelILj128ELj7ELj4EdEEvi20rocsparse_direction_NS_24const_host_device_scalarIT2_EEPKiS6_PKS3_S8_S4_PS3_21rocsparse_index_base_b.kd
    .uniform_work_group_size: 1
    .uses_dynamic_stack: false
    .vgpr_count:     38
    .vgpr_spill_count: 0
    .wavefront_size: 64
  - .args:
      - .offset:         0
        .size:           4
        .value_kind:     by_value
      - .offset:         4
        .size:           4
        .value_kind:     by_value
      - .offset:         8
        .size:           8
        .value_kind:     by_value
      - .actual_access:  read_only
        .address_space:  global
        .offset:         16
        .size:           8
        .value_kind:     global_buffer
      - .actual_access:  read_only
        .address_space:  global
        .offset:         24
        .size:           8
        .value_kind:     global_buffer
      - .actual_access:  read_only
        .address_space:  global
        .offset:         32
        .size:           8
        .value_kind:     global_buffer
      - .actual_access:  read_only
        .address_space:  global
        .offset:         40
        .size:           8
        .value_kind:     global_buffer
      - .offset:         48
        .size:           8
        .value_kind:     by_value
      - .address_space:  global
        .offset:         56
        .size:           8
        .value_kind:     global_buffer
      - .offset:         64
        .size:           4
        .value_kind:     by_value
      - .offset:         68
        .size:           1
        .value_kind:     by_value
    .group_segment_fixed_size: 0
    .kernarg_segment_align: 8
    .kernarg_segment_size: 72
    .language:       OpenCL C
    .language_version:
      - 2
      - 0
    .max_flat_workgroup_size: 128
    .name:           _ZN9rocsparseL19gebsrmvn_2xn_kernelILj128ELj7ELj8EdEEvi20rocsparse_direction_NS_24const_host_device_scalarIT2_EEPKiS6_PKS3_S8_S4_PS3_21rocsparse_index_base_b
    .private_segment_fixed_size: 0
    .sgpr_count:     20
    .sgpr_spill_count: 0
    .symbol:         _ZN9rocsparseL19gebsrmvn_2xn_kernelILj128ELj7ELj8EdEEvi20rocsparse_direction_NS_24const_host_device_scalarIT2_EEPKiS6_PKS3_S8_S4_PS3_21rocsparse_index_base_b.kd
    .uniform_work_group_size: 1
    .uses_dynamic_stack: false
    .vgpr_count:     38
    .vgpr_spill_count: 0
    .wavefront_size: 64
  - .args:
      - .offset:         0
        .size:           4
        .value_kind:     by_value
      - .offset:         4
        .size:           4
        .value_kind:     by_value
      - .offset:         8
        .size:           8
        .value_kind:     by_value
      - .actual_access:  read_only
        .address_space:  global
        .offset:         16
        .size:           8
        .value_kind:     global_buffer
      - .actual_access:  read_only
        .address_space:  global
        .offset:         24
        .size:           8
        .value_kind:     global_buffer
      - .actual_access:  read_only
        .address_space:  global
        .offset:         32
        .size:           8
        .value_kind:     global_buffer
      - .actual_access:  read_only
        .address_space:  global
        .offset:         40
        .size:           8
        .value_kind:     global_buffer
      - .offset:         48
        .size:           8
        .value_kind:     by_value
      - .address_space:  global
        .offset:         56
        .size:           8
        .value_kind:     global_buffer
      - .offset:         64
        .size:           4
        .value_kind:     by_value
      - .offset:         68
        .size:           1
        .value_kind:     by_value
    .group_segment_fixed_size: 0
    .kernarg_segment_align: 8
    .kernarg_segment_size: 72
    .language:       OpenCL C
    .language_version:
      - 2
      - 0
    .max_flat_workgroup_size: 128
    .name:           _ZN9rocsparseL19gebsrmvn_2xn_kernelILj128ELj7ELj16EdEEvi20rocsparse_direction_NS_24const_host_device_scalarIT2_EEPKiS6_PKS3_S8_S4_PS3_21rocsparse_index_base_b
    .private_segment_fixed_size: 0
    .sgpr_count:     20
    .sgpr_spill_count: 0
    .symbol:         _ZN9rocsparseL19gebsrmvn_2xn_kernelILj128ELj7ELj16EdEEvi20rocsparse_direction_NS_24const_host_device_scalarIT2_EEPKiS6_PKS3_S8_S4_PS3_21rocsparse_index_base_b.kd
    .uniform_work_group_size: 1
    .uses_dynamic_stack: false
    .vgpr_count:     38
    .vgpr_spill_count: 0
    .wavefront_size: 64
  - .args:
      - .offset:         0
        .size:           4
        .value_kind:     by_value
      - .offset:         4
        .size:           4
        .value_kind:     by_value
      - .offset:         8
        .size:           8
        .value_kind:     by_value
      - .actual_access:  read_only
        .address_space:  global
        .offset:         16
        .size:           8
        .value_kind:     global_buffer
      - .actual_access:  read_only
        .address_space:  global
        .offset:         24
        .size:           8
        .value_kind:     global_buffer
      - .actual_access:  read_only
        .address_space:  global
        .offset:         32
        .size:           8
        .value_kind:     global_buffer
      - .actual_access:  read_only
        .address_space:  global
        .offset:         40
        .size:           8
        .value_kind:     global_buffer
      - .offset:         48
        .size:           8
        .value_kind:     by_value
      - .address_space:  global
        .offset:         56
        .size:           8
        .value_kind:     global_buffer
      - .offset:         64
        .size:           4
        .value_kind:     by_value
      - .offset:         68
        .size:           1
        .value_kind:     by_value
    .group_segment_fixed_size: 0
    .kernarg_segment_align: 8
    .kernarg_segment_size: 72
    .language:       OpenCL C
    .language_version:
      - 2
      - 0
    .max_flat_workgroup_size: 128
    .name:           _ZN9rocsparseL19gebsrmvn_2xn_kernelILj128ELj7ELj32EdEEvi20rocsparse_direction_NS_24const_host_device_scalarIT2_EEPKiS6_PKS3_S8_S4_PS3_21rocsparse_index_base_b
    .private_segment_fixed_size: 0
    .sgpr_count:     20
    .sgpr_spill_count: 0
    .symbol:         _ZN9rocsparseL19gebsrmvn_2xn_kernelILj128ELj7ELj32EdEEvi20rocsparse_direction_NS_24const_host_device_scalarIT2_EEPKiS6_PKS3_S8_S4_PS3_21rocsparse_index_base_b.kd
    .uniform_work_group_size: 1
    .uses_dynamic_stack: false
    .vgpr_count:     38
    .vgpr_spill_count: 0
    .wavefront_size: 64
  - .args:
      - .offset:         0
        .size:           4
        .value_kind:     by_value
      - .offset:         4
        .size:           4
        .value_kind:     by_value
      - .offset:         8
        .size:           8
        .value_kind:     by_value
      - .actual_access:  read_only
        .address_space:  global
        .offset:         16
        .size:           8
        .value_kind:     global_buffer
      - .actual_access:  read_only
        .address_space:  global
        .offset:         24
        .size:           8
        .value_kind:     global_buffer
      - .actual_access:  read_only
        .address_space:  global
        .offset:         32
        .size:           8
        .value_kind:     global_buffer
      - .actual_access:  read_only
        .address_space:  global
        .offset:         40
        .size:           8
        .value_kind:     global_buffer
      - .offset:         48
        .size:           8
        .value_kind:     by_value
      - .address_space:  global
        .offset:         56
        .size:           8
        .value_kind:     global_buffer
      - .offset:         64
        .size:           4
        .value_kind:     by_value
      - .offset:         68
        .size:           1
        .value_kind:     by_value
    .group_segment_fixed_size: 0
    .kernarg_segment_align: 8
    .kernarg_segment_size: 72
    .language:       OpenCL C
    .language_version:
      - 2
      - 0
    .max_flat_workgroup_size: 128
    .name:           _ZN9rocsparseL19gebsrmvn_2xn_kernelILj128ELj7ELj64EdEEvi20rocsparse_direction_NS_24const_host_device_scalarIT2_EEPKiS6_PKS3_S8_S4_PS3_21rocsparse_index_base_b
    .private_segment_fixed_size: 0
    .sgpr_count:     20
    .sgpr_spill_count: 0
    .symbol:         _ZN9rocsparseL19gebsrmvn_2xn_kernelILj128ELj7ELj64EdEEvi20rocsparse_direction_NS_24const_host_device_scalarIT2_EEPKiS6_PKS3_S8_S4_PS3_21rocsparse_index_base_b.kd
    .uniform_work_group_size: 1
    .uses_dynamic_stack: false
    .vgpr_count:     38
    .vgpr_spill_count: 0
    .wavefront_size: 64
  - .args:
      - .offset:         0
        .size:           4
        .value_kind:     by_value
      - .offset:         4
        .size:           4
        .value_kind:     by_value
      - .offset:         8
        .size:           8
        .value_kind:     by_value
      - .actual_access:  read_only
        .address_space:  global
        .offset:         16
        .size:           8
        .value_kind:     global_buffer
      - .actual_access:  read_only
        .address_space:  global
        .offset:         24
        .size:           8
        .value_kind:     global_buffer
      - .actual_access:  read_only
        .address_space:  global
        .offset:         32
        .size:           8
        .value_kind:     global_buffer
      - .actual_access:  read_only
        .address_space:  global
        .offset:         40
        .size:           8
        .value_kind:     global_buffer
      - .offset:         48
        .size:           8
        .value_kind:     by_value
      - .address_space:  global
        .offset:         56
        .size:           8
        .value_kind:     global_buffer
      - .offset:         64
        .size:           4
        .value_kind:     by_value
      - .offset:         68
        .size:           1
        .value_kind:     by_value
    .group_segment_fixed_size: 0
    .kernarg_segment_align: 8
    .kernarg_segment_size: 72
    .language:       OpenCL C
    .language_version:
      - 2
      - 0
    .max_flat_workgroup_size: 128
    .name:           _ZN9rocsparseL19gebsrmvn_2xn_kernelILj128ELj8ELj4EdEEvi20rocsparse_direction_NS_24const_host_device_scalarIT2_EEPKiS6_PKS3_S8_S4_PS3_21rocsparse_index_base_b
    .private_segment_fixed_size: 0
    .sgpr_count:     20
    .sgpr_spill_count: 0
    .symbol:         _ZN9rocsparseL19gebsrmvn_2xn_kernelILj128ELj8ELj4EdEEvi20rocsparse_direction_NS_24const_host_device_scalarIT2_EEPKiS6_PKS3_S8_S4_PS3_21rocsparse_index_base_b.kd
    .uniform_work_group_size: 1
    .uses_dynamic_stack: false
    .vgpr_count:     53
    .vgpr_spill_count: 0
    .wavefront_size: 64
  - .args:
      - .offset:         0
        .size:           4
        .value_kind:     by_value
      - .offset:         4
        .size:           4
        .value_kind:     by_value
      - .offset:         8
        .size:           8
        .value_kind:     by_value
      - .actual_access:  read_only
        .address_space:  global
        .offset:         16
        .size:           8
        .value_kind:     global_buffer
      - .actual_access:  read_only
        .address_space:  global
        .offset:         24
        .size:           8
        .value_kind:     global_buffer
      - .actual_access:  read_only
        .address_space:  global
        .offset:         32
        .size:           8
        .value_kind:     global_buffer
      - .actual_access:  read_only
        .address_space:  global
        .offset:         40
        .size:           8
        .value_kind:     global_buffer
      - .offset:         48
        .size:           8
        .value_kind:     by_value
      - .address_space:  global
        .offset:         56
        .size:           8
        .value_kind:     global_buffer
      - .offset:         64
        .size:           4
        .value_kind:     by_value
      - .offset:         68
        .size:           1
        .value_kind:     by_value
    .group_segment_fixed_size: 0
    .kernarg_segment_align: 8
    .kernarg_segment_size: 72
    .language:       OpenCL C
    .language_version:
      - 2
      - 0
    .max_flat_workgroup_size: 128
    .name:           _ZN9rocsparseL19gebsrmvn_2xn_kernelILj128ELj8ELj8EdEEvi20rocsparse_direction_NS_24const_host_device_scalarIT2_EEPKiS6_PKS3_S8_S4_PS3_21rocsparse_index_base_b
    .private_segment_fixed_size: 0
    .sgpr_count:     20
    .sgpr_spill_count: 0
    .symbol:         _ZN9rocsparseL19gebsrmvn_2xn_kernelILj128ELj8ELj8EdEEvi20rocsparse_direction_NS_24const_host_device_scalarIT2_EEPKiS6_PKS3_S8_S4_PS3_21rocsparse_index_base_b.kd
    .uniform_work_group_size: 1
    .uses_dynamic_stack: false
    .vgpr_count:     53
    .vgpr_spill_count: 0
    .wavefront_size: 64
  - .args:
      - .offset:         0
        .size:           4
        .value_kind:     by_value
      - .offset:         4
        .size:           4
        .value_kind:     by_value
      - .offset:         8
        .size:           8
        .value_kind:     by_value
      - .actual_access:  read_only
        .address_space:  global
        .offset:         16
        .size:           8
        .value_kind:     global_buffer
      - .actual_access:  read_only
        .address_space:  global
        .offset:         24
        .size:           8
        .value_kind:     global_buffer
      - .actual_access:  read_only
        .address_space:  global
        .offset:         32
        .size:           8
        .value_kind:     global_buffer
      - .actual_access:  read_only
        .address_space:  global
        .offset:         40
        .size:           8
        .value_kind:     global_buffer
      - .offset:         48
        .size:           8
        .value_kind:     by_value
      - .address_space:  global
        .offset:         56
        .size:           8
        .value_kind:     global_buffer
      - .offset:         64
        .size:           4
        .value_kind:     by_value
      - .offset:         68
        .size:           1
        .value_kind:     by_value
    .group_segment_fixed_size: 0
    .kernarg_segment_align: 8
    .kernarg_segment_size: 72
    .language:       OpenCL C
    .language_version:
      - 2
      - 0
    .max_flat_workgroup_size: 128
    .name:           _ZN9rocsparseL19gebsrmvn_2xn_kernelILj128ELj8ELj16EdEEvi20rocsparse_direction_NS_24const_host_device_scalarIT2_EEPKiS6_PKS3_S8_S4_PS3_21rocsparse_index_base_b
    .private_segment_fixed_size: 0
    .sgpr_count:     20
    .sgpr_spill_count: 0
    .symbol:         _ZN9rocsparseL19gebsrmvn_2xn_kernelILj128ELj8ELj16EdEEvi20rocsparse_direction_NS_24const_host_device_scalarIT2_EEPKiS6_PKS3_S8_S4_PS3_21rocsparse_index_base_b.kd
    .uniform_work_group_size: 1
    .uses_dynamic_stack: false
    .vgpr_count:     53
    .vgpr_spill_count: 0
    .wavefront_size: 64
  - .args:
      - .offset:         0
        .size:           4
        .value_kind:     by_value
      - .offset:         4
        .size:           4
        .value_kind:     by_value
      - .offset:         8
        .size:           8
        .value_kind:     by_value
      - .actual_access:  read_only
        .address_space:  global
        .offset:         16
        .size:           8
        .value_kind:     global_buffer
      - .actual_access:  read_only
        .address_space:  global
        .offset:         24
        .size:           8
        .value_kind:     global_buffer
      - .actual_access:  read_only
        .address_space:  global
        .offset:         32
        .size:           8
        .value_kind:     global_buffer
      - .actual_access:  read_only
        .address_space:  global
        .offset:         40
        .size:           8
        .value_kind:     global_buffer
      - .offset:         48
        .size:           8
        .value_kind:     by_value
      - .address_space:  global
        .offset:         56
        .size:           8
        .value_kind:     global_buffer
      - .offset:         64
        .size:           4
        .value_kind:     by_value
      - .offset:         68
        .size:           1
        .value_kind:     by_value
    .group_segment_fixed_size: 0
    .kernarg_segment_align: 8
    .kernarg_segment_size: 72
    .language:       OpenCL C
    .language_version:
      - 2
      - 0
    .max_flat_workgroup_size: 128
    .name:           _ZN9rocsparseL19gebsrmvn_2xn_kernelILj128ELj8ELj32EdEEvi20rocsparse_direction_NS_24const_host_device_scalarIT2_EEPKiS6_PKS3_S8_S4_PS3_21rocsparse_index_base_b
    .private_segment_fixed_size: 0
    .sgpr_count:     20
    .sgpr_spill_count: 0
    .symbol:         _ZN9rocsparseL19gebsrmvn_2xn_kernelILj128ELj8ELj32EdEEvi20rocsparse_direction_NS_24const_host_device_scalarIT2_EEPKiS6_PKS3_S8_S4_PS3_21rocsparse_index_base_b.kd
    .uniform_work_group_size: 1
    .uses_dynamic_stack: false
    .vgpr_count:     53
    .vgpr_spill_count: 0
    .wavefront_size: 64
  - .args:
      - .offset:         0
        .size:           4
        .value_kind:     by_value
      - .offset:         4
        .size:           4
        .value_kind:     by_value
      - .offset:         8
        .size:           8
        .value_kind:     by_value
      - .actual_access:  read_only
        .address_space:  global
        .offset:         16
        .size:           8
        .value_kind:     global_buffer
      - .actual_access:  read_only
        .address_space:  global
        .offset:         24
        .size:           8
        .value_kind:     global_buffer
      - .actual_access:  read_only
        .address_space:  global
        .offset:         32
        .size:           8
        .value_kind:     global_buffer
      - .actual_access:  read_only
        .address_space:  global
        .offset:         40
        .size:           8
        .value_kind:     global_buffer
      - .offset:         48
        .size:           8
        .value_kind:     by_value
      - .address_space:  global
        .offset:         56
        .size:           8
        .value_kind:     global_buffer
      - .offset:         64
        .size:           4
        .value_kind:     by_value
      - .offset:         68
        .size:           1
        .value_kind:     by_value
    .group_segment_fixed_size: 0
    .kernarg_segment_align: 8
    .kernarg_segment_size: 72
    .language:       OpenCL C
    .language_version:
      - 2
      - 0
    .max_flat_workgroup_size: 128
    .name:           _ZN9rocsparseL19gebsrmvn_2xn_kernelILj128ELj8ELj64EdEEvi20rocsparse_direction_NS_24const_host_device_scalarIT2_EEPKiS6_PKS3_S8_S4_PS3_21rocsparse_index_base_b
    .private_segment_fixed_size: 0
    .sgpr_count:     20
    .sgpr_spill_count: 0
    .symbol:         _ZN9rocsparseL19gebsrmvn_2xn_kernelILj128ELj8ELj64EdEEvi20rocsparse_direction_NS_24const_host_device_scalarIT2_EEPKiS6_PKS3_S8_S4_PS3_21rocsparse_index_base_b.kd
    .uniform_work_group_size: 1
    .uses_dynamic_stack: false
    .vgpr_count:     53
    .vgpr_spill_count: 0
    .wavefront_size: 64
  - .args:
      - .offset:         0
        .size:           4
        .value_kind:     by_value
      - .offset:         4
        .size:           4
        .value_kind:     by_value
      - .offset:         8
        .size:           8
        .value_kind:     by_value
      - .actual_access:  read_only
        .address_space:  global
        .offset:         16
        .size:           8
        .value_kind:     global_buffer
      - .actual_access:  read_only
        .address_space:  global
        .offset:         24
        .size:           8
        .value_kind:     global_buffer
      - .actual_access:  read_only
        .address_space:  global
        .offset:         32
        .size:           8
        .value_kind:     global_buffer
      - .actual_access:  read_only
        .address_space:  global
        .offset:         40
        .size:           8
        .value_kind:     global_buffer
      - .offset:         48
        .size:           8
        .value_kind:     by_value
      - .address_space:  global
        .offset:         56
        .size:           8
        .value_kind:     global_buffer
      - .offset:         64
        .size:           4
        .value_kind:     by_value
      - .offset:         68
        .size:           1
        .value_kind:     by_value
    .group_segment_fixed_size: 0
    .kernarg_segment_align: 8
    .kernarg_segment_size: 72
    .language:       OpenCL C
    .language_version:
      - 2
      - 0
    .max_flat_workgroup_size: 128
    .name:           _ZN9rocsparseL19gebsrmvn_2xn_kernelILj128ELj9ELj4EdEEvi20rocsparse_direction_NS_24const_host_device_scalarIT2_EEPKiS6_PKS3_S8_S4_PS3_21rocsparse_index_base_b
    .private_segment_fixed_size: 0
    .sgpr_count:     20
    .sgpr_spill_count: 0
    .symbol:         _ZN9rocsparseL19gebsrmvn_2xn_kernelILj128ELj9ELj4EdEEvi20rocsparse_direction_NS_24const_host_device_scalarIT2_EEPKiS6_PKS3_S8_S4_PS3_21rocsparse_index_base_b.kd
    .uniform_work_group_size: 1
    .uses_dynamic_stack: false
    .vgpr_count:     38
    .vgpr_spill_count: 0
    .wavefront_size: 64
  - .args:
      - .offset:         0
        .size:           4
        .value_kind:     by_value
      - .offset:         4
        .size:           4
        .value_kind:     by_value
      - .offset:         8
        .size:           8
        .value_kind:     by_value
      - .actual_access:  read_only
        .address_space:  global
        .offset:         16
        .size:           8
        .value_kind:     global_buffer
      - .actual_access:  read_only
        .address_space:  global
        .offset:         24
        .size:           8
        .value_kind:     global_buffer
      - .actual_access:  read_only
        .address_space:  global
        .offset:         32
        .size:           8
        .value_kind:     global_buffer
      - .actual_access:  read_only
        .address_space:  global
        .offset:         40
        .size:           8
        .value_kind:     global_buffer
      - .offset:         48
        .size:           8
        .value_kind:     by_value
      - .address_space:  global
        .offset:         56
        .size:           8
        .value_kind:     global_buffer
      - .offset:         64
        .size:           4
        .value_kind:     by_value
      - .offset:         68
        .size:           1
        .value_kind:     by_value
    .group_segment_fixed_size: 0
    .kernarg_segment_align: 8
    .kernarg_segment_size: 72
    .language:       OpenCL C
    .language_version:
      - 2
      - 0
    .max_flat_workgroup_size: 128
    .name:           _ZN9rocsparseL19gebsrmvn_2xn_kernelILj128ELj9ELj8EdEEvi20rocsparse_direction_NS_24const_host_device_scalarIT2_EEPKiS6_PKS3_S8_S4_PS3_21rocsparse_index_base_b
    .private_segment_fixed_size: 0
    .sgpr_count:     20
    .sgpr_spill_count: 0
    .symbol:         _ZN9rocsparseL19gebsrmvn_2xn_kernelILj128ELj9ELj8EdEEvi20rocsparse_direction_NS_24const_host_device_scalarIT2_EEPKiS6_PKS3_S8_S4_PS3_21rocsparse_index_base_b.kd
    .uniform_work_group_size: 1
    .uses_dynamic_stack: false
    .vgpr_count:     38
    .vgpr_spill_count: 0
    .wavefront_size: 64
  - .args:
      - .offset:         0
        .size:           4
        .value_kind:     by_value
      - .offset:         4
        .size:           4
        .value_kind:     by_value
      - .offset:         8
        .size:           8
        .value_kind:     by_value
      - .actual_access:  read_only
        .address_space:  global
        .offset:         16
        .size:           8
        .value_kind:     global_buffer
      - .actual_access:  read_only
        .address_space:  global
        .offset:         24
        .size:           8
        .value_kind:     global_buffer
      - .actual_access:  read_only
        .address_space:  global
        .offset:         32
        .size:           8
        .value_kind:     global_buffer
      - .actual_access:  read_only
        .address_space:  global
        .offset:         40
        .size:           8
        .value_kind:     global_buffer
      - .offset:         48
        .size:           8
        .value_kind:     by_value
      - .address_space:  global
        .offset:         56
        .size:           8
        .value_kind:     global_buffer
      - .offset:         64
        .size:           4
        .value_kind:     by_value
      - .offset:         68
        .size:           1
        .value_kind:     by_value
    .group_segment_fixed_size: 0
    .kernarg_segment_align: 8
    .kernarg_segment_size: 72
    .language:       OpenCL C
    .language_version:
      - 2
      - 0
    .max_flat_workgroup_size: 128
    .name:           _ZN9rocsparseL19gebsrmvn_2xn_kernelILj128ELj9ELj16EdEEvi20rocsparse_direction_NS_24const_host_device_scalarIT2_EEPKiS6_PKS3_S8_S4_PS3_21rocsparse_index_base_b
    .private_segment_fixed_size: 0
    .sgpr_count:     20
    .sgpr_spill_count: 0
    .symbol:         _ZN9rocsparseL19gebsrmvn_2xn_kernelILj128ELj9ELj16EdEEvi20rocsparse_direction_NS_24const_host_device_scalarIT2_EEPKiS6_PKS3_S8_S4_PS3_21rocsparse_index_base_b.kd
    .uniform_work_group_size: 1
    .uses_dynamic_stack: false
    .vgpr_count:     38
    .vgpr_spill_count: 0
    .wavefront_size: 64
  - .args:
      - .offset:         0
        .size:           4
        .value_kind:     by_value
      - .offset:         4
        .size:           4
        .value_kind:     by_value
      - .offset:         8
        .size:           8
        .value_kind:     by_value
      - .actual_access:  read_only
        .address_space:  global
        .offset:         16
        .size:           8
        .value_kind:     global_buffer
      - .actual_access:  read_only
        .address_space:  global
        .offset:         24
        .size:           8
        .value_kind:     global_buffer
      - .actual_access:  read_only
        .address_space:  global
        .offset:         32
        .size:           8
        .value_kind:     global_buffer
      - .actual_access:  read_only
        .address_space:  global
        .offset:         40
        .size:           8
        .value_kind:     global_buffer
      - .offset:         48
        .size:           8
        .value_kind:     by_value
      - .address_space:  global
        .offset:         56
        .size:           8
        .value_kind:     global_buffer
      - .offset:         64
        .size:           4
        .value_kind:     by_value
      - .offset:         68
        .size:           1
        .value_kind:     by_value
    .group_segment_fixed_size: 0
    .kernarg_segment_align: 8
    .kernarg_segment_size: 72
    .language:       OpenCL C
    .language_version:
      - 2
      - 0
    .max_flat_workgroup_size: 128
    .name:           _ZN9rocsparseL19gebsrmvn_2xn_kernelILj128ELj9ELj32EdEEvi20rocsparse_direction_NS_24const_host_device_scalarIT2_EEPKiS6_PKS3_S8_S4_PS3_21rocsparse_index_base_b
    .private_segment_fixed_size: 0
    .sgpr_count:     20
    .sgpr_spill_count: 0
    .symbol:         _ZN9rocsparseL19gebsrmvn_2xn_kernelILj128ELj9ELj32EdEEvi20rocsparse_direction_NS_24const_host_device_scalarIT2_EEPKiS6_PKS3_S8_S4_PS3_21rocsparse_index_base_b.kd
    .uniform_work_group_size: 1
    .uses_dynamic_stack: false
    .vgpr_count:     38
    .vgpr_spill_count: 0
    .wavefront_size: 64
  - .args:
      - .offset:         0
        .size:           4
        .value_kind:     by_value
      - .offset:         4
        .size:           4
        .value_kind:     by_value
      - .offset:         8
        .size:           8
        .value_kind:     by_value
      - .actual_access:  read_only
        .address_space:  global
        .offset:         16
        .size:           8
        .value_kind:     global_buffer
      - .actual_access:  read_only
        .address_space:  global
        .offset:         24
        .size:           8
        .value_kind:     global_buffer
      - .actual_access:  read_only
        .address_space:  global
        .offset:         32
        .size:           8
        .value_kind:     global_buffer
      - .actual_access:  read_only
        .address_space:  global
        .offset:         40
        .size:           8
        .value_kind:     global_buffer
      - .offset:         48
        .size:           8
        .value_kind:     by_value
      - .address_space:  global
        .offset:         56
        .size:           8
        .value_kind:     global_buffer
      - .offset:         64
        .size:           4
        .value_kind:     by_value
      - .offset:         68
        .size:           1
        .value_kind:     by_value
    .group_segment_fixed_size: 0
    .kernarg_segment_align: 8
    .kernarg_segment_size: 72
    .language:       OpenCL C
    .language_version:
      - 2
      - 0
    .max_flat_workgroup_size: 128
    .name:           _ZN9rocsparseL19gebsrmvn_2xn_kernelILj128ELj9ELj64EdEEvi20rocsparse_direction_NS_24const_host_device_scalarIT2_EEPKiS6_PKS3_S8_S4_PS3_21rocsparse_index_base_b
    .private_segment_fixed_size: 0
    .sgpr_count:     20
    .sgpr_spill_count: 0
    .symbol:         _ZN9rocsparseL19gebsrmvn_2xn_kernelILj128ELj9ELj64EdEEvi20rocsparse_direction_NS_24const_host_device_scalarIT2_EEPKiS6_PKS3_S8_S4_PS3_21rocsparse_index_base_b.kd
    .uniform_work_group_size: 1
    .uses_dynamic_stack: false
    .vgpr_count:     38
    .vgpr_spill_count: 0
    .wavefront_size: 64
  - .args:
      - .offset:         0
        .size:           4
        .value_kind:     by_value
      - .offset:         4
        .size:           4
        .value_kind:     by_value
      - .offset:         8
        .size:           8
        .value_kind:     by_value
      - .actual_access:  read_only
        .address_space:  global
        .offset:         16
        .size:           8
        .value_kind:     global_buffer
      - .actual_access:  read_only
        .address_space:  global
        .offset:         24
        .size:           8
        .value_kind:     global_buffer
      - .actual_access:  read_only
        .address_space:  global
        .offset:         32
        .size:           8
        .value_kind:     global_buffer
      - .actual_access:  read_only
        .address_space:  global
        .offset:         40
        .size:           8
        .value_kind:     global_buffer
      - .offset:         48
        .size:           8
        .value_kind:     by_value
      - .address_space:  global
        .offset:         56
        .size:           8
        .value_kind:     global_buffer
      - .offset:         64
        .size:           4
        .value_kind:     by_value
      - .offset:         68
        .size:           1
        .value_kind:     by_value
    .group_segment_fixed_size: 0
    .kernarg_segment_align: 8
    .kernarg_segment_size: 72
    .language:       OpenCL C
    .language_version:
      - 2
      - 0
    .max_flat_workgroup_size: 128
    .name:           _ZN9rocsparseL19gebsrmvn_2xn_kernelILj128ELj10ELj4EdEEvi20rocsparse_direction_NS_24const_host_device_scalarIT2_EEPKiS6_PKS3_S8_S4_PS3_21rocsparse_index_base_b
    .private_segment_fixed_size: 0
    .sgpr_count:     20
    .sgpr_spill_count: 0
    .symbol:         _ZN9rocsparseL19gebsrmvn_2xn_kernelILj128ELj10ELj4EdEEvi20rocsparse_direction_NS_24const_host_device_scalarIT2_EEPKiS6_PKS3_S8_S4_PS3_21rocsparse_index_base_b.kd
    .uniform_work_group_size: 1
    .uses_dynamic_stack: false
    .vgpr_count:     53
    .vgpr_spill_count: 0
    .wavefront_size: 64
  - .args:
      - .offset:         0
        .size:           4
        .value_kind:     by_value
      - .offset:         4
        .size:           4
        .value_kind:     by_value
      - .offset:         8
        .size:           8
        .value_kind:     by_value
      - .actual_access:  read_only
        .address_space:  global
        .offset:         16
        .size:           8
        .value_kind:     global_buffer
      - .actual_access:  read_only
        .address_space:  global
        .offset:         24
        .size:           8
        .value_kind:     global_buffer
      - .actual_access:  read_only
        .address_space:  global
        .offset:         32
        .size:           8
        .value_kind:     global_buffer
      - .actual_access:  read_only
        .address_space:  global
        .offset:         40
        .size:           8
        .value_kind:     global_buffer
      - .offset:         48
        .size:           8
        .value_kind:     by_value
      - .address_space:  global
        .offset:         56
        .size:           8
        .value_kind:     global_buffer
      - .offset:         64
        .size:           4
        .value_kind:     by_value
      - .offset:         68
        .size:           1
        .value_kind:     by_value
    .group_segment_fixed_size: 0
    .kernarg_segment_align: 8
    .kernarg_segment_size: 72
    .language:       OpenCL C
    .language_version:
      - 2
      - 0
    .max_flat_workgroup_size: 128
    .name:           _ZN9rocsparseL19gebsrmvn_2xn_kernelILj128ELj10ELj8EdEEvi20rocsparse_direction_NS_24const_host_device_scalarIT2_EEPKiS6_PKS3_S8_S4_PS3_21rocsparse_index_base_b
    .private_segment_fixed_size: 0
    .sgpr_count:     20
    .sgpr_spill_count: 0
    .symbol:         _ZN9rocsparseL19gebsrmvn_2xn_kernelILj128ELj10ELj8EdEEvi20rocsparse_direction_NS_24const_host_device_scalarIT2_EEPKiS6_PKS3_S8_S4_PS3_21rocsparse_index_base_b.kd
    .uniform_work_group_size: 1
    .uses_dynamic_stack: false
    .vgpr_count:     53
    .vgpr_spill_count: 0
    .wavefront_size: 64
  - .args:
      - .offset:         0
        .size:           4
        .value_kind:     by_value
      - .offset:         4
        .size:           4
        .value_kind:     by_value
      - .offset:         8
        .size:           8
        .value_kind:     by_value
      - .actual_access:  read_only
        .address_space:  global
        .offset:         16
        .size:           8
        .value_kind:     global_buffer
      - .actual_access:  read_only
        .address_space:  global
        .offset:         24
        .size:           8
        .value_kind:     global_buffer
      - .actual_access:  read_only
        .address_space:  global
        .offset:         32
        .size:           8
        .value_kind:     global_buffer
      - .actual_access:  read_only
        .address_space:  global
        .offset:         40
        .size:           8
        .value_kind:     global_buffer
      - .offset:         48
        .size:           8
        .value_kind:     by_value
      - .address_space:  global
        .offset:         56
        .size:           8
        .value_kind:     global_buffer
      - .offset:         64
        .size:           4
        .value_kind:     by_value
      - .offset:         68
        .size:           1
        .value_kind:     by_value
    .group_segment_fixed_size: 0
    .kernarg_segment_align: 8
    .kernarg_segment_size: 72
    .language:       OpenCL C
    .language_version:
      - 2
      - 0
    .max_flat_workgroup_size: 128
    .name:           _ZN9rocsparseL19gebsrmvn_2xn_kernelILj128ELj10ELj16EdEEvi20rocsparse_direction_NS_24const_host_device_scalarIT2_EEPKiS6_PKS3_S8_S4_PS3_21rocsparse_index_base_b
    .private_segment_fixed_size: 0
    .sgpr_count:     20
    .sgpr_spill_count: 0
    .symbol:         _ZN9rocsparseL19gebsrmvn_2xn_kernelILj128ELj10ELj16EdEEvi20rocsparse_direction_NS_24const_host_device_scalarIT2_EEPKiS6_PKS3_S8_S4_PS3_21rocsparse_index_base_b.kd
    .uniform_work_group_size: 1
    .uses_dynamic_stack: false
    .vgpr_count:     53
    .vgpr_spill_count: 0
    .wavefront_size: 64
  - .args:
      - .offset:         0
        .size:           4
        .value_kind:     by_value
      - .offset:         4
        .size:           4
        .value_kind:     by_value
      - .offset:         8
        .size:           8
        .value_kind:     by_value
      - .actual_access:  read_only
        .address_space:  global
        .offset:         16
        .size:           8
        .value_kind:     global_buffer
      - .actual_access:  read_only
        .address_space:  global
        .offset:         24
        .size:           8
        .value_kind:     global_buffer
      - .actual_access:  read_only
        .address_space:  global
        .offset:         32
        .size:           8
        .value_kind:     global_buffer
      - .actual_access:  read_only
        .address_space:  global
        .offset:         40
        .size:           8
        .value_kind:     global_buffer
      - .offset:         48
        .size:           8
        .value_kind:     by_value
      - .address_space:  global
        .offset:         56
        .size:           8
        .value_kind:     global_buffer
      - .offset:         64
        .size:           4
        .value_kind:     by_value
      - .offset:         68
        .size:           1
        .value_kind:     by_value
    .group_segment_fixed_size: 0
    .kernarg_segment_align: 8
    .kernarg_segment_size: 72
    .language:       OpenCL C
    .language_version:
      - 2
      - 0
    .max_flat_workgroup_size: 128
    .name:           _ZN9rocsparseL19gebsrmvn_2xn_kernelILj128ELj10ELj32EdEEvi20rocsparse_direction_NS_24const_host_device_scalarIT2_EEPKiS6_PKS3_S8_S4_PS3_21rocsparse_index_base_b
    .private_segment_fixed_size: 0
    .sgpr_count:     20
    .sgpr_spill_count: 0
    .symbol:         _ZN9rocsparseL19gebsrmvn_2xn_kernelILj128ELj10ELj32EdEEvi20rocsparse_direction_NS_24const_host_device_scalarIT2_EEPKiS6_PKS3_S8_S4_PS3_21rocsparse_index_base_b.kd
    .uniform_work_group_size: 1
    .uses_dynamic_stack: false
    .vgpr_count:     53
    .vgpr_spill_count: 0
    .wavefront_size: 64
  - .args:
      - .offset:         0
        .size:           4
        .value_kind:     by_value
      - .offset:         4
        .size:           4
        .value_kind:     by_value
      - .offset:         8
        .size:           8
        .value_kind:     by_value
      - .actual_access:  read_only
        .address_space:  global
        .offset:         16
        .size:           8
        .value_kind:     global_buffer
      - .actual_access:  read_only
        .address_space:  global
        .offset:         24
        .size:           8
        .value_kind:     global_buffer
      - .actual_access:  read_only
        .address_space:  global
        .offset:         32
        .size:           8
        .value_kind:     global_buffer
      - .actual_access:  read_only
        .address_space:  global
        .offset:         40
        .size:           8
        .value_kind:     global_buffer
      - .offset:         48
        .size:           8
        .value_kind:     by_value
      - .address_space:  global
        .offset:         56
        .size:           8
        .value_kind:     global_buffer
      - .offset:         64
        .size:           4
        .value_kind:     by_value
      - .offset:         68
        .size:           1
        .value_kind:     by_value
    .group_segment_fixed_size: 0
    .kernarg_segment_align: 8
    .kernarg_segment_size: 72
    .language:       OpenCL C
    .language_version:
      - 2
      - 0
    .max_flat_workgroup_size: 128
    .name:           _ZN9rocsparseL19gebsrmvn_2xn_kernelILj128ELj10ELj64EdEEvi20rocsparse_direction_NS_24const_host_device_scalarIT2_EEPKiS6_PKS3_S8_S4_PS3_21rocsparse_index_base_b
    .private_segment_fixed_size: 0
    .sgpr_count:     20
    .sgpr_spill_count: 0
    .symbol:         _ZN9rocsparseL19gebsrmvn_2xn_kernelILj128ELj10ELj64EdEEvi20rocsparse_direction_NS_24const_host_device_scalarIT2_EEPKiS6_PKS3_S8_S4_PS3_21rocsparse_index_base_b.kd
    .uniform_work_group_size: 1
    .uses_dynamic_stack: false
    .vgpr_count:     53
    .vgpr_spill_count: 0
    .wavefront_size: 64
  - .args:
      - .offset:         0
        .size:           4
        .value_kind:     by_value
      - .offset:         4
        .size:           4
        .value_kind:     by_value
      - .offset:         8
        .size:           8
        .value_kind:     by_value
      - .actual_access:  read_only
        .address_space:  global
        .offset:         16
        .size:           8
        .value_kind:     global_buffer
      - .actual_access:  read_only
        .address_space:  global
        .offset:         24
        .size:           8
        .value_kind:     global_buffer
      - .actual_access:  read_only
        .address_space:  global
        .offset:         32
        .size:           8
        .value_kind:     global_buffer
      - .actual_access:  read_only
        .address_space:  global
        .offset:         40
        .size:           8
        .value_kind:     global_buffer
      - .offset:         48
        .size:           8
        .value_kind:     by_value
      - .address_space:  global
        .offset:         56
        .size:           8
        .value_kind:     global_buffer
      - .offset:         64
        .size:           4
        .value_kind:     by_value
      - .offset:         68
        .size:           1
        .value_kind:     by_value
    .group_segment_fixed_size: 0
    .kernarg_segment_align: 8
    .kernarg_segment_size: 72
    .language:       OpenCL C
    .language_version:
      - 2
      - 0
    .max_flat_workgroup_size: 128
    .name:           _ZN9rocsparseL19gebsrmvn_2xn_kernelILj128ELj11ELj4EdEEvi20rocsparse_direction_NS_24const_host_device_scalarIT2_EEPKiS6_PKS3_S8_S4_PS3_21rocsparse_index_base_b
    .private_segment_fixed_size: 0
    .sgpr_count:     20
    .sgpr_spill_count: 0
    .symbol:         _ZN9rocsparseL19gebsrmvn_2xn_kernelILj128ELj11ELj4EdEEvi20rocsparse_direction_NS_24const_host_device_scalarIT2_EEPKiS6_PKS3_S8_S4_PS3_21rocsparse_index_base_b.kd
    .uniform_work_group_size: 1
    .uses_dynamic_stack: false
    .vgpr_count:     38
    .vgpr_spill_count: 0
    .wavefront_size: 64
  - .args:
      - .offset:         0
        .size:           4
        .value_kind:     by_value
      - .offset:         4
        .size:           4
        .value_kind:     by_value
      - .offset:         8
        .size:           8
        .value_kind:     by_value
      - .actual_access:  read_only
        .address_space:  global
        .offset:         16
        .size:           8
        .value_kind:     global_buffer
      - .actual_access:  read_only
        .address_space:  global
        .offset:         24
        .size:           8
        .value_kind:     global_buffer
      - .actual_access:  read_only
        .address_space:  global
        .offset:         32
        .size:           8
        .value_kind:     global_buffer
      - .actual_access:  read_only
        .address_space:  global
        .offset:         40
        .size:           8
        .value_kind:     global_buffer
      - .offset:         48
        .size:           8
        .value_kind:     by_value
      - .address_space:  global
        .offset:         56
        .size:           8
        .value_kind:     global_buffer
      - .offset:         64
        .size:           4
        .value_kind:     by_value
      - .offset:         68
        .size:           1
        .value_kind:     by_value
    .group_segment_fixed_size: 0
    .kernarg_segment_align: 8
    .kernarg_segment_size: 72
    .language:       OpenCL C
    .language_version:
      - 2
      - 0
    .max_flat_workgroup_size: 128
    .name:           _ZN9rocsparseL19gebsrmvn_2xn_kernelILj128ELj11ELj8EdEEvi20rocsparse_direction_NS_24const_host_device_scalarIT2_EEPKiS6_PKS3_S8_S4_PS3_21rocsparse_index_base_b
    .private_segment_fixed_size: 0
    .sgpr_count:     20
    .sgpr_spill_count: 0
    .symbol:         _ZN9rocsparseL19gebsrmvn_2xn_kernelILj128ELj11ELj8EdEEvi20rocsparse_direction_NS_24const_host_device_scalarIT2_EEPKiS6_PKS3_S8_S4_PS3_21rocsparse_index_base_b.kd
    .uniform_work_group_size: 1
    .uses_dynamic_stack: false
    .vgpr_count:     38
    .vgpr_spill_count: 0
    .wavefront_size: 64
  - .args:
      - .offset:         0
        .size:           4
        .value_kind:     by_value
      - .offset:         4
        .size:           4
        .value_kind:     by_value
      - .offset:         8
        .size:           8
        .value_kind:     by_value
      - .actual_access:  read_only
        .address_space:  global
        .offset:         16
        .size:           8
        .value_kind:     global_buffer
      - .actual_access:  read_only
        .address_space:  global
        .offset:         24
        .size:           8
        .value_kind:     global_buffer
      - .actual_access:  read_only
        .address_space:  global
        .offset:         32
        .size:           8
        .value_kind:     global_buffer
      - .actual_access:  read_only
        .address_space:  global
        .offset:         40
        .size:           8
        .value_kind:     global_buffer
      - .offset:         48
        .size:           8
        .value_kind:     by_value
      - .address_space:  global
        .offset:         56
        .size:           8
        .value_kind:     global_buffer
      - .offset:         64
        .size:           4
        .value_kind:     by_value
      - .offset:         68
        .size:           1
        .value_kind:     by_value
    .group_segment_fixed_size: 0
    .kernarg_segment_align: 8
    .kernarg_segment_size: 72
    .language:       OpenCL C
    .language_version:
      - 2
      - 0
    .max_flat_workgroup_size: 128
    .name:           _ZN9rocsparseL19gebsrmvn_2xn_kernelILj128ELj11ELj16EdEEvi20rocsparse_direction_NS_24const_host_device_scalarIT2_EEPKiS6_PKS3_S8_S4_PS3_21rocsparse_index_base_b
    .private_segment_fixed_size: 0
    .sgpr_count:     20
    .sgpr_spill_count: 0
    .symbol:         _ZN9rocsparseL19gebsrmvn_2xn_kernelILj128ELj11ELj16EdEEvi20rocsparse_direction_NS_24const_host_device_scalarIT2_EEPKiS6_PKS3_S8_S4_PS3_21rocsparse_index_base_b.kd
    .uniform_work_group_size: 1
    .uses_dynamic_stack: false
    .vgpr_count:     38
    .vgpr_spill_count: 0
    .wavefront_size: 64
  - .args:
      - .offset:         0
        .size:           4
        .value_kind:     by_value
      - .offset:         4
        .size:           4
        .value_kind:     by_value
      - .offset:         8
        .size:           8
        .value_kind:     by_value
      - .actual_access:  read_only
        .address_space:  global
        .offset:         16
        .size:           8
        .value_kind:     global_buffer
      - .actual_access:  read_only
        .address_space:  global
        .offset:         24
        .size:           8
        .value_kind:     global_buffer
      - .actual_access:  read_only
        .address_space:  global
        .offset:         32
        .size:           8
        .value_kind:     global_buffer
      - .actual_access:  read_only
        .address_space:  global
        .offset:         40
        .size:           8
        .value_kind:     global_buffer
      - .offset:         48
        .size:           8
        .value_kind:     by_value
      - .address_space:  global
        .offset:         56
        .size:           8
        .value_kind:     global_buffer
      - .offset:         64
        .size:           4
        .value_kind:     by_value
      - .offset:         68
        .size:           1
        .value_kind:     by_value
    .group_segment_fixed_size: 0
    .kernarg_segment_align: 8
    .kernarg_segment_size: 72
    .language:       OpenCL C
    .language_version:
      - 2
      - 0
    .max_flat_workgroup_size: 128
    .name:           _ZN9rocsparseL19gebsrmvn_2xn_kernelILj128ELj11ELj32EdEEvi20rocsparse_direction_NS_24const_host_device_scalarIT2_EEPKiS6_PKS3_S8_S4_PS3_21rocsparse_index_base_b
    .private_segment_fixed_size: 0
    .sgpr_count:     20
    .sgpr_spill_count: 0
    .symbol:         _ZN9rocsparseL19gebsrmvn_2xn_kernelILj128ELj11ELj32EdEEvi20rocsparse_direction_NS_24const_host_device_scalarIT2_EEPKiS6_PKS3_S8_S4_PS3_21rocsparse_index_base_b.kd
    .uniform_work_group_size: 1
    .uses_dynamic_stack: false
    .vgpr_count:     38
    .vgpr_spill_count: 0
    .wavefront_size: 64
  - .args:
      - .offset:         0
        .size:           4
        .value_kind:     by_value
      - .offset:         4
        .size:           4
        .value_kind:     by_value
      - .offset:         8
        .size:           8
        .value_kind:     by_value
      - .actual_access:  read_only
        .address_space:  global
        .offset:         16
        .size:           8
        .value_kind:     global_buffer
      - .actual_access:  read_only
        .address_space:  global
        .offset:         24
        .size:           8
        .value_kind:     global_buffer
      - .actual_access:  read_only
        .address_space:  global
        .offset:         32
        .size:           8
        .value_kind:     global_buffer
      - .actual_access:  read_only
        .address_space:  global
        .offset:         40
        .size:           8
        .value_kind:     global_buffer
      - .offset:         48
        .size:           8
        .value_kind:     by_value
      - .address_space:  global
        .offset:         56
        .size:           8
        .value_kind:     global_buffer
      - .offset:         64
        .size:           4
        .value_kind:     by_value
      - .offset:         68
        .size:           1
        .value_kind:     by_value
    .group_segment_fixed_size: 0
    .kernarg_segment_align: 8
    .kernarg_segment_size: 72
    .language:       OpenCL C
    .language_version:
      - 2
      - 0
    .max_flat_workgroup_size: 128
    .name:           _ZN9rocsparseL19gebsrmvn_2xn_kernelILj128ELj11ELj64EdEEvi20rocsparse_direction_NS_24const_host_device_scalarIT2_EEPKiS6_PKS3_S8_S4_PS3_21rocsparse_index_base_b
    .private_segment_fixed_size: 0
    .sgpr_count:     20
    .sgpr_spill_count: 0
    .symbol:         _ZN9rocsparseL19gebsrmvn_2xn_kernelILj128ELj11ELj64EdEEvi20rocsparse_direction_NS_24const_host_device_scalarIT2_EEPKiS6_PKS3_S8_S4_PS3_21rocsparse_index_base_b.kd
    .uniform_work_group_size: 1
    .uses_dynamic_stack: false
    .vgpr_count:     38
    .vgpr_spill_count: 0
    .wavefront_size: 64
  - .args:
      - .offset:         0
        .size:           4
        .value_kind:     by_value
      - .offset:         4
        .size:           4
        .value_kind:     by_value
      - .offset:         8
        .size:           8
        .value_kind:     by_value
      - .actual_access:  read_only
        .address_space:  global
        .offset:         16
        .size:           8
        .value_kind:     global_buffer
      - .actual_access:  read_only
        .address_space:  global
        .offset:         24
        .size:           8
        .value_kind:     global_buffer
      - .actual_access:  read_only
        .address_space:  global
        .offset:         32
        .size:           8
        .value_kind:     global_buffer
      - .actual_access:  read_only
        .address_space:  global
        .offset:         40
        .size:           8
        .value_kind:     global_buffer
      - .offset:         48
        .size:           8
        .value_kind:     by_value
      - .address_space:  global
        .offset:         56
        .size:           8
        .value_kind:     global_buffer
      - .offset:         64
        .size:           4
        .value_kind:     by_value
      - .offset:         68
        .size:           1
        .value_kind:     by_value
    .group_segment_fixed_size: 0
    .kernarg_segment_align: 8
    .kernarg_segment_size: 72
    .language:       OpenCL C
    .language_version:
      - 2
      - 0
    .max_flat_workgroup_size: 128
    .name:           _ZN9rocsparseL19gebsrmvn_2xn_kernelILj128ELj12ELj4EdEEvi20rocsparse_direction_NS_24const_host_device_scalarIT2_EEPKiS6_PKS3_S8_S4_PS3_21rocsparse_index_base_b
    .private_segment_fixed_size: 0
    .sgpr_count:     20
    .sgpr_spill_count: 0
    .symbol:         _ZN9rocsparseL19gebsrmvn_2xn_kernelILj128ELj12ELj4EdEEvi20rocsparse_direction_NS_24const_host_device_scalarIT2_EEPKiS6_PKS3_S8_S4_PS3_21rocsparse_index_base_b.kd
    .uniform_work_group_size: 1
    .uses_dynamic_stack: false
    .vgpr_count:     53
    .vgpr_spill_count: 0
    .wavefront_size: 64
  - .args:
      - .offset:         0
        .size:           4
        .value_kind:     by_value
      - .offset:         4
        .size:           4
        .value_kind:     by_value
      - .offset:         8
        .size:           8
        .value_kind:     by_value
      - .actual_access:  read_only
        .address_space:  global
        .offset:         16
        .size:           8
        .value_kind:     global_buffer
      - .actual_access:  read_only
        .address_space:  global
        .offset:         24
        .size:           8
        .value_kind:     global_buffer
      - .actual_access:  read_only
        .address_space:  global
        .offset:         32
        .size:           8
        .value_kind:     global_buffer
      - .actual_access:  read_only
        .address_space:  global
        .offset:         40
        .size:           8
        .value_kind:     global_buffer
      - .offset:         48
        .size:           8
        .value_kind:     by_value
      - .address_space:  global
        .offset:         56
        .size:           8
        .value_kind:     global_buffer
      - .offset:         64
        .size:           4
        .value_kind:     by_value
      - .offset:         68
        .size:           1
        .value_kind:     by_value
    .group_segment_fixed_size: 0
    .kernarg_segment_align: 8
    .kernarg_segment_size: 72
    .language:       OpenCL C
    .language_version:
      - 2
      - 0
    .max_flat_workgroup_size: 128
    .name:           _ZN9rocsparseL19gebsrmvn_2xn_kernelILj128ELj12ELj8EdEEvi20rocsparse_direction_NS_24const_host_device_scalarIT2_EEPKiS6_PKS3_S8_S4_PS3_21rocsparse_index_base_b
    .private_segment_fixed_size: 0
    .sgpr_count:     20
    .sgpr_spill_count: 0
    .symbol:         _ZN9rocsparseL19gebsrmvn_2xn_kernelILj128ELj12ELj8EdEEvi20rocsparse_direction_NS_24const_host_device_scalarIT2_EEPKiS6_PKS3_S8_S4_PS3_21rocsparse_index_base_b.kd
    .uniform_work_group_size: 1
    .uses_dynamic_stack: false
    .vgpr_count:     53
    .vgpr_spill_count: 0
    .wavefront_size: 64
  - .args:
      - .offset:         0
        .size:           4
        .value_kind:     by_value
      - .offset:         4
        .size:           4
        .value_kind:     by_value
      - .offset:         8
        .size:           8
        .value_kind:     by_value
      - .actual_access:  read_only
        .address_space:  global
        .offset:         16
        .size:           8
        .value_kind:     global_buffer
      - .actual_access:  read_only
        .address_space:  global
        .offset:         24
        .size:           8
        .value_kind:     global_buffer
      - .actual_access:  read_only
        .address_space:  global
        .offset:         32
        .size:           8
        .value_kind:     global_buffer
      - .actual_access:  read_only
        .address_space:  global
        .offset:         40
        .size:           8
        .value_kind:     global_buffer
      - .offset:         48
        .size:           8
        .value_kind:     by_value
      - .address_space:  global
        .offset:         56
        .size:           8
        .value_kind:     global_buffer
      - .offset:         64
        .size:           4
        .value_kind:     by_value
      - .offset:         68
        .size:           1
        .value_kind:     by_value
    .group_segment_fixed_size: 0
    .kernarg_segment_align: 8
    .kernarg_segment_size: 72
    .language:       OpenCL C
    .language_version:
      - 2
      - 0
    .max_flat_workgroup_size: 128
    .name:           _ZN9rocsparseL19gebsrmvn_2xn_kernelILj128ELj12ELj16EdEEvi20rocsparse_direction_NS_24const_host_device_scalarIT2_EEPKiS6_PKS3_S8_S4_PS3_21rocsparse_index_base_b
    .private_segment_fixed_size: 0
    .sgpr_count:     20
    .sgpr_spill_count: 0
    .symbol:         _ZN9rocsparseL19gebsrmvn_2xn_kernelILj128ELj12ELj16EdEEvi20rocsparse_direction_NS_24const_host_device_scalarIT2_EEPKiS6_PKS3_S8_S4_PS3_21rocsparse_index_base_b.kd
    .uniform_work_group_size: 1
    .uses_dynamic_stack: false
    .vgpr_count:     53
    .vgpr_spill_count: 0
    .wavefront_size: 64
  - .args:
      - .offset:         0
        .size:           4
        .value_kind:     by_value
      - .offset:         4
        .size:           4
        .value_kind:     by_value
      - .offset:         8
        .size:           8
        .value_kind:     by_value
      - .actual_access:  read_only
        .address_space:  global
        .offset:         16
        .size:           8
        .value_kind:     global_buffer
      - .actual_access:  read_only
        .address_space:  global
        .offset:         24
        .size:           8
        .value_kind:     global_buffer
      - .actual_access:  read_only
        .address_space:  global
        .offset:         32
        .size:           8
        .value_kind:     global_buffer
      - .actual_access:  read_only
        .address_space:  global
        .offset:         40
        .size:           8
        .value_kind:     global_buffer
      - .offset:         48
        .size:           8
        .value_kind:     by_value
      - .address_space:  global
        .offset:         56
        .size:           8
        .value_kind:     global_buffer
      - .offset:         64
        .size:           4
        .value_kind:     by_value
      - .offset:         68
        .size:           1
        .value_kind:     by_value
    .group_segment_fixed_size: 0
    .kernarg_segment_align: 8
    .kernarg_segment_size: 72
    .language:       OpenCL C
    .language_version:
      - 2
      - 0
    .max_flat_workgroup_size: 128
    .name:           _ZN9rocsparseL19gebsrmvn_2xn_kernelILj128ELj12ELj32EdEEvi20rocsparse_direction_NS_24const_host_device_scalarIT2_EEPKiS6_PKS3_S8_S4_PS3_21rocsparse_index_base_b
    .private_segment_fixed_size: 0
    .sgpr_count:     20
    .sgpr_spill_count: 0
    .symbol:         _ZN9rocsparseL19gebsrmvn_2xn_kernelILj128ELj12ELj32EdEEvi20rocsparse_direction_NS_24const_host_device_scalarIT2_EEPKiS6_PKS3_S8_S4_PS3_21rocsparse_index_base_b.kd
    .uniform_work_group_size: 1
    .uses_dynamic_stack: false
    .vgpr_count:     53
    .vgpr_spill_count: 0
    .wavefront_size: 64
  - .args:
      - .offset:         0
        .size:           4
        .value_kind:     by_value
      - .offset:         4
        .size:           4
        .value_kind:     by_value
      - .offset:         8
        .size:           8
        .value_kind:     by_value
      - .actual_access:  read_only
        .address_space:  global
        .offset:         16
        .size:           8
        .value_kind:     global_buffer
      - .actual_access:  read_only
        .address_space:  global
        .offset:         24
        .size:           8
        .value_kind:     global_buffer
      - .actual_access:  read_only
        .address_space:  global
        .offset:         32
        .size:           8
        .value_kind:     global_buffer
      - .actual_access:  read_only
        .address_space:  global
        .offset:         40
        .size:           8
        .value_kind:     global_buffer
      - .offset:         48
        .size:           8
        .value_kind:     by_value
      - .address_space:  global
        .offset:         56
        .size:           8
        .value_kind:     global_buffer
      - .offset:         64
        .size:           4
        .value_kind:     by_value
      - .offset:         68
        .size:           1
        .value_kind:     by_value
    .group_segment_fixed_size: 0
    .kernarg_segment_align: 8
    .kernarg_segment_size: 72
    .language:       OpenCL C
    .language_version:
      - 2
      - 0
    .max_flat_workgroup_size: 128
    .name:           _ZN9rocsparseL19gebsrmvn_2xn_kernelILj128ELj12ELj64EdEEvi20rocsparse_direction_NS_24const_host_device_scalarIT2_EEPKiS6_PKS3_S8_S4_PS3_21rocsparse_index_base_b
    .private_segment_fixed_size: 0
    .sgpr_count:     20
    .sgpr_spill_count: 0
    .symbol:         _ZN9rocsparseL19gebsrmvn_2xn_kernelILj128ELj12ELj64EdEEvi20rocsparse_direction_NS_24const_host_device_scalarIT2_EEPKiS6_PKS3_S8_S4_PS3_21rocsparse_index_base_b.kd
    .uniform_work_group_size: 1
    .uses_dynamic_stack: false
    .vgpr_count:     53
    .vgpr_spill_count: 0
    .wavefront_size: 64
  - .args:
      - .offset:         0
        .size:           4
        .value_kind:     by_value
      - .offset:         4
        .size:           4
        .value_kind:     by_value
      - .offset:         8
        .size:           8
        .value_kind:     by_value
      - .actual_access:  read_only
        .address_space:  global
        .offset:         16
        .size:           8
        .value_kind:     global_buffer
      - .actual_access:  read_only
        .address_space:  global
        .offset:         24
        .size:           8
        .value_kind:     global_buffer
      - .actual_access:  read_only
        .address_space:  global
        .offset:         32
        .size:           8
        .value_kind:     global_buffer
      - .actual_access:  read_only
        .address_space:  global
        .offset:         40
        .size:           8
        .value_kind:     global_buffer
      - .offset:         48
        .size:           8
        .value_kind:     by_value
      - .address_space:  global
        .offset:         56
        .size:           8
        .value_kind:     global_buffer
      - .offset:         64
        .size:           4
        .value_kind:     by_value
      - .offset:         68
        .size:           1
        .value_kind:     by_value
    .group_segment_fixed_size: 0
    .kernarg_segment_align: 8
    .kernarg_segment_size: 72
    .language:       OpenCL C
    .language_version:
      - 2
      - 0
    .max_flat_workgroup_size: 128
    .name:           _ZN9rocsparseL19gebsrmvn_2xn_kernelILj128ELj13ELj4EdEEvi20rocsparse_direction_NS_24const_host_device_scalarIT2_EEPKiS6_PKS3_S8_S4_PS3_21rocsparse_index_base_b
    .private_segment_fixed_size: 0
    .sgpr_count:     20
    .sgpr_spill_count: 0
    .symbol:         _ZN9rocsparseL19gebsrmvn_2xn_kernelILj128ELj13ELj4EdEEvi20rocsparse_direction_NS_24const_host_device_scalarIT2_EEPKiS6_PKS3_S8_S4_PS3_21rocsparse_index_base_b.kd
    .uniform_work_group_size: 1
    .uses_dynamic_stack: false
    .vgpr_count:     38
    .vgpr_spill_count: 0
    .wavefront_size: 64
  - .args:
      - .offset:         0
        .size:           4
        .value_kind:     by_value
      - .offset:         4
        .size:           4
        .value_kind:     by_value
      - .offset:         8
        .size:           8
        .value_kind:     by_value
      - .actual_access:  read_only
        .address_space:  global
        .offset:         16
        .size:           8
        .value_kind:     global_buffer
      - .actual_access:  read_only
        .address_space:  global
        .offset:         24
        .size:           8
        .value_kind:     global_buffer
      - .actual_access:  read_only
        .address_space:  global
        .offset:         32
        .size:           8
        .value_kind:     global_buffer
      - .actual_access:  read_only
        .address_space:  global
        .offset:         40
        .size:           8
        .value_kind:     global_buffer
      - .offset:         48
        .size:           8
        .value_kind:     by_value
      - .address_space:  global
        .offset:         56
        .size:           8
        .value_kind:     global_buffer
      - .offset:         64
        .size:           4
        .value_kind:     by_value
      - .offset:         68
        .size:           1
        .value_kind:     by_value
    .group_segment_fixed_size: 0
    .kernarg_segment_align: 8
    .kernarg_segment_size: 72
    .language:       OpenCL C
    .language_version:
      - 2
      - 0
    .max_flat_workgroup_size: 128
    .name:           _ZN9rocsparseL19gebsrmvn_2xn_kernelILj128ELj13ELj8EdEEvi20rocsparse_direction_NS_24const_host_device_scalarIT2_EEPKiS6_PKS3_S8_S4_PS3_21rocsparse_index_base_b
    .private_segment_fixed_size: 0
    .sgpr_count:     20
    .sgpr_spill_count: 0
    .symbol:         _ZN9rocsparseL19gebsrmvn_2xn_kernelILj128ELj13ELj8EdEEvi20rocsparse_direction_NS_24const_host_device_scalarIT2_EEPKiS6_PKS3_S8_S4_PS3_21rocsparse_index_base_b.kd
    .uniform_work_group_size: 1
    .uses_dynamic_stack: false
    .vgpr_count:     38
    .vgpr_spill_count: 0
    .wavefront_size: 64
  - .args:
      - .offset:         0
        .size:           4
        .value_kind:     by_value
      - .offset:         4
        .size:           4
        .value_kind:     by_value
      - .offset:         8
        .size:           8
        .value_kind:     by_value
      - .actual_access:  read_only
        .address_space:  global
        .offset:         16
        .size:           8
        .value_kind:     global_buffer
      - .actual_access:  read_only
        .address_space:  global
        .offset:         24
        .size:           8
        .value_kind:     global_buffer
      - .actual_access:  read_only
        .address_space:  global
        .offset:         32
        .size:           8
        .value_kind:     global_buffer
      - .actual_access:  read_only
        .address_space:  global
        .offset:         40
        .size:           8
        .value_kind:     global_buffer
      - .offset:         48
        .size:           8
        .value_kind:     by_value
      - .address_space:  global
        .offset:         56
        .size:           8
        .value_kind:     global_buffer
      - .offset:         64
        .size:           4
        .value_kind:     by_value
      - .offset:         68
        .size:           1
        .value_kind:     by_value
    .group_segment_fixed_size: 0
    .kernarg_segment_align: 8
    .kernarg_segment_size: 72
    .language:       OpenCL C
    .language_version:
      - 2
      - 0
    .max_flat_workgroup_size: 128
    .name:           _ZN9rocsparseL19gebsrmvn_2xn_kernelILj128ELj13ELj16EdEEvi20rocsparse_direction_NS_24const_host_device_scalarIT2_EEPKiS6_PKS3_S8_S4_PS3_21rocsparse_index_base_b
    .private_segment_fixed_size: 0
    .sgpr_count:     20
    .sgpr_spill_count: 0
    .symbol:         _ZN9rocsparseL19gebsrmvn_2xn_kernelILj128ELj13ELj16EdEEvi20rocsparse_direction_NS_24const_host_device_scalarIT2_EEPKiS6_PKS3_S8_S4_PS3_21rocsparse_index_base_b.kd
    .uniform_work_group_size: 1
    .uses_dynamic_stack: false
    .vgpr_count:     38
    .vgpr_spill_count: 0
    .wavefront_size: 64
  - .args:
      - .offset:         0
        .size:           4
        .value_kind:     by_value
      - .offset:         4
        .size:           4
        .value_kind:     by_value
      - .offset:         8
        .size:           8
        .value_kind:     by_value
      - .actual_access:  read_only
        .address_space:  global
        .offset:         16
        .size:           8
        .value_kind:     global_buffer
      - .actual_access:  read_only
        .address_space:  global
        .offset:         24
        .size:           8
        .value_kind:     global_buffer
      - .actual_access:  read_only
        .address_space:  global
        .offset:         32
        .size:           8
        .value_kind:     global_buffer
      - .actual_access:  read_only
        .address_space:  global
        .offset:         40
        .size:           8
        .value_kind:     global_buffer
      - .offset:         48
        .size:           8
        .value_kind:     by_value
      - .address_space:  global
        .offset:         56
        .size:           8
        .value_kind:     global_buffer
      - .offset:         64
        .size:           4
        .value_kind:     by_value
      - .offset:         68
        .size:           1
        .value_kind:     by_value
    .group_segment_fixed_size: 0
    .kernarg_segment_align: 8
    .kernarg_segment_size: 72
    .language:       OpenCL C
    .language_version:
      - 2
      - 0
    .max_flat_workgroup_size: 128
    .name:           _ZN9rocsparseL19gebsrmvn_2xn_kernelILj128ELj13ELj32EdEEvi20rocsparse_direction_NS_24const_host_device_scalarIT2_EEPKiS6_PKS3_S8_S4_PS3_21rocsparse_index_base_b
    .private_segment_fixed_size: 0
    .sgpr_count:     20
    .sgpr_spill_count: 0
    .symbol:         _ZN9rocsparseL19gebsrmvn_2xn_kernelILj128ELj13ELj32EdEEvi20rocsparse_direction_NS_24const_host_device_scalarIT2_EEPKiS6_PKS3_S8_S4_PS3_21rocsparse_index_base_b.kd
    .uniform_work_group_size: 1
    .uses_dynamic_stack: false
    .vgpr_count:     38
    .vgpr_spill_count: 0
    .wavefront_size: 64
  - .args:
      - .offset:         0
        .size:           4
        .value_kind:     by_value
      - .offset:         4
        .size:           4
        .value_kind:     by_value
      - .offset:         8
        .size:           8
        .value_kind:     by_value
      - .actual_access:  read_only
        .address_space:  global
        .offset:         16
        .size:           8
        .value_kind:     global_buffer
      - .actual_access:  read_only
        .address_space:  global
        .offset:         24
        .size:           8
        .value_kind:     global_buffer
      - .actual_access:  read_only
        .address_space:  global
        .offset:         32
        .size:           8
        .value_kind:     global_buffer
      - .actual_access:  read_only
        .address_space:  global
        .offset:         40
        .size:           8
        .value_kind:     global_buffer
      - .offset:         48
        .size:           8
        .value_kind:     by_value
      - .address_space:  global
        .offset:         56
        .size:           8
        .value_kind:     global_buffer
      - .offset:         64
        .size:           4
        .value_kind:     by_value
      - .offset:         68
        .size:           1
        .value_kind:     by_value
    .group_segment_fixed_size: 0
    .kernarg_segment_align: 8
    .kernarg_segment_size: 72
    .language:       OpenCL C
    .language_version:
      - 2
      - 0
    .max_flat_workgroup_size: 128
    .name:           _ZN9rocsparseL19gebsrmvn_2xn_kernelILj128ELj13ELj64EdEEvi20rocsparse_direction_NS_24const_host_device_scalarIT2_EEPKiS6_PKS3_S8_S4_PS3_21rocsparse_index_base_b
    .private_segment_fixed_size: 0
    .sgpr_count:     20
    .sgpr_spill_count: 0
    .symbol:         _ZN9rocsparseL19gebsrmvn_2xn_kernelILj128ELj13ELj64EdEEvi20rocsparse_direction_NS_24const_host_device_scalarIT2_EEPKiS6_PKS3_S8_S4_PS3_21rocsparse_index_base_b.kd
    .uniform_work_group_size: 1
    .uses_dynamic_stack: false
    .vgpr_count:     38
    .vgpr_spill_count: 0
    .wavefront_size: 64
  - .args:
      - .offset:         0
        .size:           4
        .value_kind:     by_value
      - .offset:         4
        .size:           4
        .value_kind:     by_value
      - .offset:         8
        .size:           8
        .value_kind:     by_value
      - .actual_access:  read_only
        .address_space:  global
        .offset:         16
        .size:           8
        .value_kind:     global_buffer
      - .actual_access:  read_only
        .address_space:  global
        .offset:         24
        .size:           8
        .value_kind:     global_buffer
      - .actual_access:  read_only
        .address_space:  global
        .offset:         32
        .size:           8
        .value_kind:     global_buffer
      - .actual_access:  read_only
        .address_space:  global
        .offset:         40
        .size:           8
        .value_kind:     global_buffer
      - .offset:         48
        .size:           8
        .value_kind:     by_value
      - .address_space:  global
        .offset:         56
        .size:           8
        .value_kind:     global_buffer
      - .offset:         64
        .size:           4
        .value_kind:     by_value
      - .offset:         68
        .size:           1
        .value_kind:     by_value
    .group_segment_fixed_size: 0
    .kernarg_segment_align: 8
    .kernarg_segment_size: 72
    .language:       OpenCL C
    .language_version:
      - 2
      - 0
    .max_flat_workgroup_size: 128
    .name:           _ZN9rocsparseL19gebsrmvn_2xn_kernelILj128ELj14ELj4EdEEvi20rocsparse_direction_NS_24const_host_device_scalarIT2_EEPKiS6_PKS3_S8_S4_PS3_21rocsparse_index_base_b
    .private_segment_fixed_size: 0
    .sgpr_count:     20
    .sgpr_spill_count: 0
    .symbol:         _ZN9rocsparseL19gebsrmvn_2xn_kernelILj128ELj14ELj4EdEEvi20rocsparse_direction_NS_24const_host_device_scalarIT2_EEPKiS6_PKS3_S8_S4_PS3_21rocsparse_index_base_b.kd
    .uniform_work_group_size: 1
    .uses_dynamic_stack: false
    .vgpr_count:     50
    .vgpr_spill_count: 0
    .wavefront_size: 64
  - .args:
      - .offset:         0
        .size:           4
        .value_kind:     by_value
      - .offset:         4
        .size:           4
        .value_kind:     by_value
      - .offset:         8
        .size:           8
        .value_kind:     by_value
      - .actual_access:  read_only
        .address_space:  global
        .offset:         16
        .size:           8
        .value_kind:     global_buffer
      - .actual_access:  read_only
        .address_space:  global
        .offset:         24
        .size:           8
        .value_kind:     global_buffer
      - .actual_access:  read_only
        .address_space:  global
        .offset:         32
        .size:           8
        .value_kind:     global_buffer
      - .actual_access:  read_only
        .address_space:  global
        .offset:         40
        .size:           8
        .value_kind:     global_buffer
      - .offset:         48
        .size:           8
        .value_kind:     by_value
      - .address_space:  global
        .offset:         56
        .size:           8
        .value_kind:     global_buffer
      - .offset:         64
        .size:           4
        .value_kind:     by_value
      - .offset:         68
        .size:           1
        .value_kind:     by_value
    .group_segment_fixed_size: 0
    .kernarg_segment_align: 8
    .kernarg_segment_size: 72
    .language:       OpenCL C
    .language_version:
      - 2
      - 0
    .max_flat_workgroup_size: 128
    .name:           _ZN9rocsparseL19gebsrmvn_2xn_kernelILj128ELj14ELj8EdEEvi20rocsparse_direction_NS_24const_host_device_scalarIT2_EEPKiS6_PKS3_S8_S4_PS3_21rocsparse_index_base_b
    .private_segment_fixed_size: 0
    .sgpr_count:     20
    .sgpr_spill_count: 0
    .symbol:         _ZN9rocsparseL19gebsrmvn_2xn_kernelILj128ELj14ELj8EdEEvi20rocsparse_direction_NS_24const_host_device_scalarIT2_EEPKiS6_PKS3_S8_S4_PS3_21rocsparse_index_base_b.kd
    .uniform_work_group_size: 1
    .uses_dynamic_stack: false
    .vgpr_count:     50
    .vgpr_spill_count: 0
    .wavefront_size: 64
  - .args:
      - .offset:         0
        .size:           4
        .value_kind:     by_value
      - .offset:         4
        .size:           4
        .value_kind:     by_value
      - .offset:         8
        .size:           8
        .value_kind:     by_value
      - .actual_access:  read_only
        .address_space:  global
        .offset:         16
        .size:           8
        .value_kind:     global_buffer
      - .actual_access:  read_only
        .address_space:  global
        .offset:         24
        .size:           8
        .value_kind:     global_buffer
      - .actual_access:  read_only
        .address_space:  global
        .offset:         32
        .size:           8
        .value_kind:     global_buffer
      - .actual_access:  read_only
        .address_space:  global
        .offset:         40
        .size:           8
        .value_kind:     global_buffer
      - .offset:         48
        .size:           8
        .value_kind:     by_value
      - .address_space:  global
        .offset:         56
        .size:           8
        .value_kind:     global_buffer
      - .offset:         64
        .size:           4
        .value_kind:     by_value
      - .offset:         68
        .size:           1
        .value_kind:     by_value
    .group_segment_fixed_size: 0
    .kernarg_segment_align: 8
    .kernarg_segment_size: 72
    .language:       OpenCL C
    .language_version:
      - 2
      - 0
    .max_flat_workgroup_size: 128
    .name:           _ZN9rocsparseL19gebsrmvn_2xn_kernelILj128ELj14ELj16EdEEvi20rocsparse_direction_NS_24const_host_device_scalarIT2_EEPKiS6_PKS3_S8_S4_PS3_21rocsparse_index_base_b
    .private_segment_fixed_size: 0
    .sgpr_count:     20
    .sgpr_spill_count: 0
    .symbol:         _ZN9rocsparseL19gebsrmvn_2xn_kernelILj128ELj14ELj16EdEEvi20rocsparse_direction_NS_24const_host_device_scalarIT2_EEPKiS6_PKS3_S8_S4_PS3_21rocsparse_index_base_b.kd
    .uniform_work_group_size: 1
    .uses_dynamic_stack: false
    .vgpr_count:     50
    .vgpr_spill_count: 0
    .wavefront_size: 64
  - .args:
      - .offset:         0
        .size:           4
        .value_kind:     by_value
      - .offset:         4
        .size:           4
        .value_kind:     by_value
      - .offset:         8
        .size:           8
        .value_kind:     by_value
      - .actual_access:  read_only
        .address_space:  global
        .offset:         16
        .size:           8
        .value_kind:     global_buffer
      - .actual_access:  read_only
        .address_space:  global
        .offset:         24
        .size:           8
        .value_kind:     global_buffer
      - .actual_access:  read_only
        .address_space:  global
        .offset:         32
        .size:           8
        .value_kind:     global_buffer
      - .actual_access:  read_only
        .address_space:  global
        .offset:         40
        .size:           8
        .value_kind:     global_buffer
      - .offset:         48
        .size:           8
        .value_kind:     by_value
      - .address_space:  global
        .offset:         56
        .size:           8
        .value_kind:     global_buffer
      - .offset:         64
        .size:           4
        .value_kind:     by_value
      - .offset:         68
        .size:           1
        .value_kind:     by_value
    .group_segment_fixed_size: 0
    .kernarg_segment_align: 8
    .kernarg_segment_size: 72
    .language:       OpenCL C
    .language_version:
      - 2
      - 0
    .max_flat_workgroup_size: 128
    .name:           _ZN9rocsparseL19gebsrmvn_2xn_kernelILj128ELj14ELj32EdEEvi20rocsparse_direction_NS_24const_host_device_scalarIT2_EEPKiS6_PKS3_S8_S4_PS3_21rocsparse_index_base_b
    .private_segment_fixed_size: 0
    .sgpr_count:     20
    .sgpr_spill_count: 0
    .symbol:         _ZN9rocsparseL19gebsrmvn_2xn_kernelILj128ELj14ELj32EdEEvi20rocsparse_direction_NS_24const_host_device_scalarIT2_EEPKiS6_PKS3_S8_S4_PS3_21rocsparse_index_base_b.kd
    .uniform_work_group_size: 1
    .uses_dynamic_stack: false
    .vgpr_count:     50
    .vgpr_spill_count: 0
    .wavefront_size: 64
  - .args:
      - .offset:         0
        .size:           4
        .value_kind:     by_value
      - .offset:         4
        .size:           4
        .value_kind:     by_value
      - .offset:         8
        .size:           8
        .value_kind:     by_value
      - .actual_access:  read_only
        .address_space:  global
        .offset:         16
        .size:           8
        .value_kind:     global_buffer
      - .actual_access:  read_only
        .address_space:  global
        .offset:         24
        .size:           8
        .value_kind:     global_buffer
      - .actual_access:  read_only
        .address_space:  global
        .offset:         32
        .size:           8
        .value_kind:     global_buffer
      - .actual_access:  read_only
        .address_space:  global
        .offset:         40
        .size:           8
        .value_kind:     global_buffer
      - .offset:         48
        .size:           8
        .value_kind:     by_value
      - .address_space:  global
        .offset:         56
        .size:           8
        .value_kind:     global_buffer
      - .offset:         64
        .size:           4
        .value_kind:     by_value
      - .offset:         68
        .size:           1
        .value_kind:     by_value
    .group_segment_fixed_size: 0
    .kernarg_segment_align: 8
    .kernarg_segment_size: 72
    .language:       OpenCL C
    .language_version:
      - 2
      - 0
    .max_flat_workgroup_size: 128
    .name:           _ZN9rocsparseL19gebsrmvn_2xn_kernelILj128ELj14ELj64EdEEvi20rocsparse_direction_NS_24const_host_device_scalarIT2_EEPKiS6_PKS3_S8_S4_PS3_21rocsparse_index_base_b
    .private_segment_fixed_size: 0
    .sgpr_count:     20
    .sgpr_spill_count: 0
    .symbol:         _ZN9rocsparseL19gebsrmvn_2xn_kernelILj128ELj14ELj64EdEEvi20rocsparse_direction_NS_24const_host_device_scalarIT2_EEPKiS6_PKS3_S8_S4_PS3_21rocsparse_index_base_b.kd
    .uniform_work_group_size: 1
    .uses_dynamic_stack: false
    .vgpr_count:     50
    .vgpr_spill_count: 0
    .wavefront_size: 64
  - .args:
      - .offset:         0
        .size:           4
        .value_kind:     by_value
      - .offset:         4
        .size:           4
        .value_kind:     by_value
      - .offset:         8
        .size:           8
        .value_kind:     by_value
      - .actual_access:  read_only
        .address_space:  global
        .offset:         16
        .size:           8
        .value_kind:     global_buffer
      - .actual_access:  read_only
        .address_space:  global
        .offset:         24
        .size:           8
        .value_kind:     global_buffer
      - .actual_access:  read_only
        .address_space:  global
        .offset:         32
        .size:           8
        .value_kind:     global_buffer
      - .actual_access:  read_only
        .address_space:  global
        .offset:         40
        .size:           8
        .value_kind:     global_buffer
      - .offset:         48
        .size:           8
        .value_kind:     by_value
      - .address_space:  global
        .offset:         56
        .size:           8
        .value_kind:     global_buffer
      - .offset:         64
        .size:           4
        .value_kind:     by_value
      - .offset:         68
        .size:           1
        .value_kind:     by_value
    .group_segment_fixed_size: 0
    .kernarg_segment_align: 8
    .kernarg_segment_size: 72
    .language:       OpenCL C
    .language_version:
      - 2
      - 0
    .max_flat_workgroup_size: 128
    .name:           _ZN9rocsparseL19gebsrmvn_2xn_kernelILj128ELj15ELj4EdEEvi20rocsparse_direction_NS_24const_host_device_scalarIT2_EEPKiS6_PKS3_S8_S4_PS3_21rocsparse_index_base_b
    .private_segment_fixed_size: 0
    .sgpr_count:     20
    .sgpr_spill_count: 0
    .symbol:         _ZN9rocsparseL19gebsrmvn_2xn_kernelILj128ELj15ELj4EdEEvi20rocsparse_direction_NS_24const_host_device_scalarIT2_EEPKiS6_PKS3_S8_S4_PS3_21rocsparse_index_base_b.kd
    .uniform_work_group_size: 1
    .uses_dynamic_stack: false
    .vgpr_count:     38
    .vgpr_spill_count: 0
    .wavefront_size: 64
  - .args:
      - .offset:         0
        .size:           4
        .value_kind:     by_value
      - .offset:         4
        .size:           4
        .value_kind:     by_value
      - .offset:         8
        .size:           8
        .value_kind:     by_value
      - .actual_access:  read_only
        .address_space:  global
        .offset:         16
        .size:           8
        .value_kind:     global_buffer
      - .actual_access:  read_only
        .address_space:  global
        .offset:         24
        .size:           8
        .value_kind:     global_buffer
      - .actual_access:  read_only
        .address_space:  global
        .offset:         32
        .size:           8
        .value_kind:     global_buffer
      - .actual_access:  read_only
        .address_space:  global
        .offset:         40
        .size:           8
        .value_kind:     global_buffer
      - .offset:         48
        .size:           8
        .value_kind:     by_value
      - .address_space:  global
        .offset:         56
        .size:           8
        .value_kind:     global_buffer
      - .offset:         64
        .size:           4
        .value_kind:     by_value
      - .offset:         68
        .size:           1
        .value_kind:     by_value
    .group_segment_fixed_size: 0
    .kernarg_segment_align: 8
    .kernarg_segment_size: 72
    .language:       OpenCL C
    .language_version:
      - 2
      - 0
    .max_flat_workgroup_size: 128
    .name:           _ZN9rocsparseL19gebsrmvn_2xn_kernelILj128ELj15ELj8EdEEvi20rocsparse_direction_NS_24const_host_device_scalarIT2_EEPKiS6_PKS3_S8_S4_PS3_21rocsparse_index_base_b
    .private_segment_fixed_size: 0
    .sgpr_count:     20
    .sgpr_spill_count: 0
    .symbol:         _ZN9rocsparseL19gebsrmvn_2xn_kernelILj128ELj15ELj8EdEEvi20rocsparse_direction_NS_24const_host_device_scalarIT2_EEPKiS6_PKS3_S8_S4_PS3_21rocsparse_index_base_b.kd
    .uniform_work_group_size: 1
    .uses_dynamic_stack: false
    .vgpr_count:     38
    .vgpr_spill_count: 0
    .wavefront_size: 64
  - .args:
      - .offset:         0
        .size:           4
        .value_kind:     by_value
      - .offset:         4
        .size:           4
        .value_kind:     by_value
      - .offset:         8
        .size:           8
        .value_kind:     by_value
      - .actual_access:  read_only
        .address_space:  global
        .offset:         16
        .size:           8
        .value_kind:     global_buffer
      - .actual_access:  read_only
        .address_space:  global
        .offset:         24
        .size:           8
        .value_kind:     global_buffer
      - .actual_access:  read_only
        .address_space:  global
        .offset:         32
        .size:           8
        .value_kind:     global_buffer
      - .actual_access:  read_only
        .address_space:  global
        .offset:         40
        .size:           8
        .value_kind:     global_buffer
      - .offset:         48
        .size:           8
        .value_kind:     by_value
      - .address_space:  global
        .offset:         56
        .size:           8
        .value_kind:     global_buffer
      - .offset:         64
        .size:           4
        .value_kind:     by_value
      - .offset:         68
        .size:           1
        .value_kind:     by_value
    .group_segment_fixed_size: 0
    .kernarg_segment_align: 8
    .kernarg_segment_size: 72
    .language:       OpenCL C
    .language_version:
      - 2
      - 0
    .max_flat_workgroup_size: 128
    .name:           _ZN9rocsparseL19gebsrmvn_2xn_kernelILj128ELj15ELj16EdEEvi20rocsparse_direction_NS_24const_host_device_scalarIT2_EEPKiS6_PKS3_S8_S4_PS3_21rocsparse_index_base_b
    .private_segment_fixed_size: 0
    .sgpr_count:     20
    .sgpr_spill_count: 0
    .symbol:         _ZN9rocsparseL19gebsrmvn_2xn_kernelILj128ELj15ELj16EdEEvi20rocsparse_direction_NS_24const_host_device_scalarIT2_EEPKiS6_PKS3_S8_S4_PS3_21rocsparse_index_base_b.kd
    .uniform_work_group_size: 1
    .uses_dynamic_stack: false
    .vgpr_count:     38
    .vgpr_spill_count: 0
    .wavefront_size: 64
  - .args:
      - .offset:         0
        .size:           4
        .value_kind:     by_value
      - .offset:         4
        .size:           4
        .value_kind:     by_value
      - .offset:         8
        .size:           8
        .value_kind:     by_value
      - .actual_access:  read_only
        .address_space:  global
        .offset:         16
        .size:           8
        .value_kind:     global_buffer
      - .actual_access:  read_only
        .address_space:  global
        .offset:         24
        .size:           8
        .value_kind:     global_buffer
      - .actual_access:  read_only
        .address_space:  global
        .offset:         32
        .size:           8
        .value_kind:     global_buffer
      - .actual_access:  read_only
        .address_space:  global
        .offset:         40
        .size:           8
        .value_kind:     global_buffer
      - .offset:         48
        .size:           8
        .value_kind:     by_value
      - .address_space:  global
        .offset:         56
        .size:           8
        .value_kind:     global_buffer
      - .offset:         64
        .size:           4
        .value_kind:     by_value
      - .offset:         68
        .size:           1
        .value_kind:     by_value
    .group_segment_fixed_size: 0
    .kernarg_segment_align: 8
    .kernarg_segment_size: 72
    .language:       OpenCL C
    .language_version:
      - 2
      - 0
    .max_flat_workgroup_size: 128
    .name:           _ZN9rocsparseL19gebsrmvn_2xn_kernelILj128ELj15ELj32EdEEvi20rocsparse_direction_NS_24const_host_device_scalarIT2_EEPKiS6_PKS3_S8_S4_PS3_21rocsparse_index_base_b
    .private_segment_fixed_size: 0
    .sgpr_count:     20
    .sgpr_spill_count: 0
    .symbol:         _ZN9rocsparseL19gebsrmvn_2xn_kernelILj128ELj15ELj32EdEEvi20rocsparse_direction_NS_24const_host_device_scalarIT2_EEPKiS6_PKS3_S8_S4_PS3_21rocsparse_index_base_b.kd
    .uniform_work_group_size: 1
    .uses_dynamic_stack: false
    .vgpr_count:     38
    .vgpr_spill_count: 0
    .wavefront_size: 64
  - .args:
      - .offset:         0
        .size:           4
        .value_kind:     by_value
      - .offset:         4
        .size:           4
        .value_kind:     by_value
      - .offset:         8
        .size:           8
        .value_kind:     by_value
      - .actual_access:  read_only
        .address_space:  global
        .offset:         16
        .size:           8
        .value_kind:     global_buffer
      - .actual_access:  read_only
        .address_space:  global
        .offset:         24
        .size:           8
        .value_kind:     global_buffer
      - .actual_access:  read_only
        .address_space:  global
        .offset:         32
        .size:           8
        .value_kind:     global_buffer
      - .actual_access:  read_only
        .address_space:  global
        .offset:         40
        .size:           8
        .value_kind:     global_buffer
      - .offset:         48
        .size:           8
        .value_kind:     by_value
      - .address_space:  global
        .offset:         56
        .size:           8
        .value_kind:     global_buffer
      - .offset:         64
        .size:           4
        .value_kind:     by_value
      - .offset:         68
        .size:           1
        .value_kind:     by_value
    .group_segment_fixed_size: 0
    .kernarg_segment_align: 8
    .kernarg_segment_size: 72
    .language:       OpenCL C
    .language_version:
      - 2
      - 0
    .max_flat_workgroup_size: 128
    .name:           _ZN9rocsparseL19gebsrmvn_2xn_kernelILj128ELj15ELj64EdEEvi20rocsparse_direction_NS_24const_host_device_scalarIT2_EEPKiS6_PKS3_S8_S4_PS3_21rocsparse_index_base_b
    .private_segment_fixed_size: 0
    .sgpr_count:     20
    .sgpr_spill_count: 0
    .symbol:         _ZN9rocsparseL19gebsrmvn_2xn_kernelILj128ELj15ELj64EdEEvi20rocsparse_direction_NS_24const_host_device_scalarIT2_EEPKiS6_PKS3_S8_S4_PS3_21rocsparse_index_base_b.kd
    .uniform_work_group_size: 1
    .uses_dynamic_stack: false
    .vgpr_count:     38
    .vgpr_spill_count: 0
    .wavefront_size: 64
  - .args:
      - .offset:         0
        .size:           4
        .value_kind:     by_value
      - .offset:         4
        .size:           4
        .value_kind:     by_value
      - .offset:         8
        .size:           8
        .value_kind:     by_value
      - .actual_access:  read_only
        .address_space:  global
        .offset:         16
        .size:           8
        .value_kind:     global_buffer
      - .actual_access:  read_only
        .address_space:  global
        .offset:         24
        .size:           8
        .value_kind:     global_buffer
      - .actual_access:  read_only
        .address_space:  global
        .offset:         32
        .size:           8
        .value_kind:     global_buffer
      - .actual_access:  read_only
        .address_space:  global
        .offset:         40
        .size:           8
        .value_kind:     global_buffer
      - .offset:         48
        .size:           8
        .value_kind:     by_value
      - .address_space:  global
        .offset:         56
        .size:           8
        .value_kind:     global_buffer
      - .offset:         64
        .size:           4
        .value_kind:     by_value
      - .offset:         68
        .size:           1
        .value_kind:     by_value
    .group_segment_fixed_size: 0
    .kernarg_segment_align: 8
    .kernarg_segment_size: 72
    .language:       OpenCL C
    .language_version:
      - 2
      - 0
    .max_flat_workgroup_size: 128
    .name:           _ZN9rocsparseL19gebsrmvn_2xn_kernelILj128ELj16ELj4EdEEvi20rocsparse_direction_NS_24const_host_device_scalarIT2_EEPKiS6_PKS3_S8_S4_PS3_21rocsparse_index_base_b
    .private_segment_fixed_size: 0
    .sgpr_count:     20
    .sgpr_spill_count: 0
    .symbol:         _ZN9rocsparseL19gebsrmvn_2xn_kernelILj128ELj16ELj4EdEEvi20rocsparse_direction_NS_24const_host_device_scalarIT2_EEPKiS6_PKS3_S8_S4_PS3_21rocsparse_index_base_b.kd
    .uniform_work_group_size: 1
    .uses_dynamic_stack: false
    .vgpr_count:     53
    .vgpr_spill_count: 0
    .wavefront_size: 64
  - .args:
      - .offset:         0
        .size:           4
        .value_kind:     by_value
      - .offset:         4
        .size:           4
        .value_kind:     by_value
      - .offset:         8
        .size:           8
        .value_kind:     by_value
      - .actual_access:  read_only
        .address_space:  global
        .offset:         16
        .size:           8
        .value_kind:     global_buffer
      - .actual_access:  read_only
        .address_space:  global
        .offset:         24
        .size:           8
        .value_kind:     global_buffer
      - .actual_access:  read_only
        .address_space:  global
        .offset:         32
        .size:           8
        .value_kind:     global_buffer
      - .actual_access:  read_only
        .address_space:  global
        .offset:         40
        .size:           8
        .value_kind:     global_buffer
      - .offset:         48
        .size:           8
        .value_kind:     by_value
      - .address_space:  global
        .offset:         56
        .size:           8
        .value_kind:     global_buffer
      - .offset:         64
        .size:           4
        .value_kind:     by_value
      - .offset:         68
        .size:           1
        .value_kind:     by_value
    .group_segment_fixed_size: 0
    .kernarg_segment_align: 8
    .kernarg_segment_size: 72
    .language:       OpenCL C
    .language_version:
      - 2
      - 0
    .max_flat_workgroup_size: 128
    .name:           _ZN9rocsparseL19gebsrmvn_2xn_kernelILj128ELj16ELj8EdEEvi20rocsparse_direction_NS_24const_host_device_scalarIT2_EEPKiS6_PKS3_S8_S4_PS3_21rocsparse_index_base_b
    .private_segment_fixed_size: 0
    .sgpr_count:     20
    .sgpr_spill_count: 0
    .symbol:         _ZN9rocsparseL19gebsrmvn_2xn_kernelILj128ELj16ELj8EdEEvi20rocsparse_direction_NS_24const_host_device_scalarIT2_EEPKiS6_PKS3_S8_S4_PS3_21rocsparse_index_base_b.kd
    .uniform_work_group_size: 1
    .uses_dynamic_stack: false
    .vgpr_count:     53
    .vgpr_spill_count: 0
    .wavefront_size: 64
  - .args:
      - .offset:         0
        .size:           4
        .value_kind:     by_value
      - .offset:         4
        .size:           4
        .value_kind:     by_value
      - .offset:         8
        .size:           8
        .value_kind:     by_value
      - .actual_access:  read_only
        .address_space:  global
        .offset:         16
        .size:           8
        .value_kind:     global_buffer
      - .actual_access:  read_only
        .address_space:  global
        .offset:         24
        .size:           8
        .value_kind:     global_buffer
      - .actual_access:  read_only
        .address_space:  global
        .offset:         32
        .size:           8
        .value_kind:     global_buffer
      - .actual_access:  read_only
        .address_space:  global
        .offset:         40
        .size:           8
        .value_kind:     global_buffer
      - .offset:         48
        .size:           8
        .value_kind:     by_value
      - .address_space:  global
        .offset:         56
        .size:           8
        .value_kind:     global_buffer
      - .offset:         64
        .size:           4
        .value_kind:     by_value
      - .offset:         68
        .size:           1
        .value_kind:     by_value
    .group_segment_fixed_size: 0
    .kernarg_segment_align: 8
    .kernarg_segment_size: 72
    .language:       OpenCL C
    .language_version:
      - 2
      - 0
    .max_flat_workgroup_size: 128
    .name:           _ZN9rocsparseL19gebsrmvn_2xn_kernelILj128ELj16ELj16EdEEvi20rocsparse_direction_NS_24const_host_device_scalarIT2_EEPKiS6_PKS3_S8_S4_PS3_21rocsparse_index_base_b
    .private_segment_fixed_size: 0
    .sgpr_count:     20
    .sgpr_spill_count: 0
    .symbol:         _ZN9rocsparseL19gebsrmvn_2xn_kernelILj128ELj16ELj16EdEEvi20rocsparse_direction_NS_24const_host_device_scalarIT2_EEPKiS6_PKS3_S8_S4_PS3_21rocsparse_index_base_b.kd
    .uniform_work_group_size: 1
    .uses_dynamic_stack: false
    .vgpr_count:     53
    .vgpr_spill_count: 0
    .wavefront_size: 64
  - .args:
      - .offset:         0
        .size:           4
        .value_kind:     by_value
      - .offset:         4
        .size:           4
        .value_kind:     by_value
      - .offset:         8
        .size:           8
        .value_kind:     by_value
      - .actual_access:  read_only
        .address_space:  global
        .offset:         16
        .size:           8
        .value_kind:     global_buffer
      - .actual_access:  read_only
        .address_space:  global
        .offset:         24
        .size:           8
        .value_kind:     global_buffer
      - .actual_access:  read_only
        .address_space:  global
        .offset:         32
        .size:           8
        .value_kind:     global_buffer
      - .actual_access:  read_only
        .address_space:  global
        .offset:         40
        .size:           8
        .value_kind:     global_buffer
      - .offset:         48
        .size:           8
        .value_kind:     by_value
      - .address_space:  global
        .offset:         56
        .size:           8
        .value_kind:     global_buffer
      - .offset:         64
        .size:           4
        .value_kind:     by_value
      - .offset:         68
        .size:           1
        .value_kind:     by_value
    .group_segment_fixed_size: 0
    .kernarg_segment_align: 8
    .kernarg_segment_size: 72
    .language:       OpenCL C
    .language_version:
      - 2
      - 0
    .max_flat_workgroup_size: 128
    .name:           _ZN9rocsparseL19gebsrmvn_2xn_kernelILj128ELj16ELj32EdEEvi20rocsparse_direction_NS_24const_host_device_scalarIT2_EEPKiS6_PKS3_S8_S4_PS3_21rocsparse_index_base_b
    .private_segment_fixed_size: 0
    .sgpr_count:     20
    .sgpr_spill_count: 0
    .symbol:         _ZN9rocsparseL19gebsrmvn_2xn_kernelILj128ELj16ELj32EdEEvi20rocsparse_direction_NS_24const_host_device_scalarIT2_EEPKiS6_PKS3_S8_S4_PS3_21rocsparse_index_base_b.kd
    .uniform_work_group_size: 1
    .uses_dynamic_stack: false
    .vgpr_count:     55
    .vgpr_spill_count: 0
    .wavefront_size: 64
  - .args:
      - .offset:         0
        .size:           4
        .value_kind:     by_value
      - .offset:         4
        .size:           4
        .value_kind:     by_value
      - .offset:         8
        .size:           8
        .value_kind:     by_value
      - .actual_access:  read_only
        .address_space:  global
        .offset:         16
        .size:           8
        .value_kind:     global_buffer
      - .actual_access:  read_only
        .address_space:  global
        .offset:         24
        .size:           8
        .value_kind:     global_buffer
      - .actual_access:  read_only
        .address_space:  global
        .offset:         32
        .size:           8
        .value_kind:     global_buffer
      - .actual_access:  read_only
        .address_space:  global
        .offset:         40
        .size:           8
        .value_kind:     global_buffer
      - .offset:         48
        .size:           8
        .value_kind:     by_value
      - .address_space:  global
        .offset:         56
        .size:           8
        .value_kind:     global_buffer
      - .offset:         64
        .size:           4
        .value_kind:     by_value
      - .offset:         68
        .size:           1
        .value_kind:     by_value
    .group_segment_fixed_size: 0
    .kernarg_segment_align: 8
    .kernarg_segment_size: 72
    .language:       OpenCL C
    .language_version:
      - 2
      - 0
    .max_flat_workgroup_size: 128
    .name:           _ZN9rocsparseL19gebsrmvn_2xn_kernelILj128ELj16ELj64EdEEvi20rocsparse_direction_NS_24const_host_device_scalarIT2_EEPKiS6_PKS3_S8_S4_PS3_21rocsparse_index_base_b
    .private_segment_fixed_size: 0
    .sgpr_count:     20
    .sgpr_spill_count: 0
    .symbol:         _ZN9rocsparseL19gebsrmvn_2xn_kernelILj128ELj16ELj64EdEEvi20rocsparse_direction_NS_24const_host_device_scalarIT2_EEPKiS6_PKS3_S8_S4_PS3_21rocsparse_index_base_b.kd
    .uniform_work_group_size: 1
    .uses_dynamic_stack: false
    .vgpr_count:     55
    .vgpr_spill_count: 0
    .wavefront_size: 64
  - .args:
      - .offset:         0
        .size:           4
        .value_kind:     by_value
      - .offset:         4
        .size:           4
        .value_kind:     by_value
      - .offset:         8
        .size:           8
        .value_kind:     by_value
      - .actual_access:  read_only
        .address_space:  global
        .offset:         16
        .size:           8
        .value_kind:     global_buffer
      - .actual_access:  read_only
        .address_space:  global
        .offset:         24
        .size:           8
        .value_kind:     global_buffer
      - .actual_access:  read_only
        .address_space:  global
        .offset:         32
        .size:           8
        .value_kind:     global_buffer
      - .offset:         40
        .size:           4
        .value_kind:     by_value
      - .offset:         44
        .size:           4
        .value_kind:     by_value
      - .actual_access:  read_only
        .address_space:  global
        .offset:         48
        .size:           8
        .value_kind:     global_buffer
      - .offset:         56
        .size:           8
        .value_kind:     by_value
      - .address_space:  global
        .offset:         64
        .size:           8
        .value_kind:     global_buffer
      - .offset:         72
        .size:           4
        .value_kind:     by_value
      - .offset:         76
        .size:           1
        .value_kind:     by_value
    .group_segment_fixed_size: 0
    .kernarg_segment_align: 8
    .kernarg_segment_size: 80
    .language:       OpenCL C
    .language_version:
      - 2
      - 0
    .max_flat_workgroup_size: 32
    .name:           _ZN9rocsparseL23gebsrmvn_general_kernelILj32ELj32EdEEvi20rocsparse_direction_NS_24const_host_device_scalarIT1_EEPKiS6_PKS3_iiS8_S4_PS3_21rocsparse_index_base_b
    .private_segment_fixed_size: 0
    .sgpr_count:     41
    .sgpr_spill_count: 0
    .symbol:         _ZN9rocsparseL23gebsrmvn_general_kernelILj32ELj32EdEEvi20rocsparse_direction_NS_24const_host_device_scalarIT1_EEPKiS6_PKS3_iiS8_S4_PS3_21rocsparse_index_base_b.kd
    .uniform_work_group_size: 1
    .uses_dynamic_stack: false
    .vgpr_count:     16
    .vgpr_spill_count: 0
    .wavefront_size: 64
  - .args:
      - .offset:         0
        .size:           4
        .value_kind:     by_value
      - .offset:         4
        .size:           4
        .value_kind:     by_value
      - .offset:         8
        .size:           8
        .value_kind:     by_value
      - .actual_access:  read_only
        .address_space:  global
        .offset:         16
        .size:           8
        .value_kind:     global_buffer
      - .actual_access:  read_only
        .address_space:  global
        .offset:         24
        .size:           8
        .value_kind:     global_buffer
      - .actual_access:  read_only
        .address_space:  global
        .offset:         32
        .size:           8
        .value_kind:     global_buffer
      - .actual_access:  read_only
        .address_space:  global
        .offset:         40
        .size:           8
        .value_kind:     global_buffer
      - .offset:         48
        .size:           8
        .value_kind:     by_value
      - .address_space:  global
        .offset:         56
        .size:           8
        .value_kind:     global_buffer
      - .offset:         64
        .size:           4
        .value_kind:     by_value
      - .offset:         68
        .size:           1
        .value_kind:     by_value
    .group_segment_fixed_size: 0
    .kernarg_segment_align: 8
    .kernarg_segment_size: 72
    .language:       OpenCL C
    .language_version:
      - 2
      - 0
    .max_flat_workgroup_size: 128
    .name:           _ZN9rocsparseL19gebsrmvn_2xn_kernelILj128ELj1ELj4E21rocsparse_complex_numIfEEEvi20rocsparse_direction_NS_24const_host_device_scalarIT2_EEPKiS8_PKS5_SA_S6_PS5_21rocsparse_index_base_b
    .private_segment_fixed_size: 0
    .sgpr_count:     20
    .sgpr_spill_count: 0
    .symbol:         _ZN9rocsparseL19gebsrmvn_2xn_kernelILj128ELj1ELj4E21rocsparse_complex_numIfEEEvi20rocsparse_direction_NS_24const_host_device_scalarIT2_EEPKiS8_PKS5_SA_S6_PS5_21rocsparse_index_base_b.kd
    .uniform_work_group_size: 1
    .uses_dynamic_stack: false
    .vgpr_count:     25
    .vgpr_spill_count: 0
    .wavefront_size: 64
  - .args:
      - .offset:         0
        .size:           4
        .value_kind:     by_value
      - .offset:         4
        .size:           4
        .value_kind:     by_value
      - .offset:         8
        .size:           8
        .value_kind:     by_value
      - .actual_access:  read_only
        .address_space:  global
        .offset:         16
        .size:           8
        .value_kind:     global_buffer
      - .actual_access:  read_only
        .address_space:  global
        .offset:         24
        .size:           8
        .value_kind:     global_buffer
      - .actual_access:  read_only
        .address_space:  global
        .offset:         32
        .size:           8
        .value_kind:     global_buffer
      - .actual_access:  read_only
        .address_space:  global
        .offset:         40
        .size:           8
        .value_kind:     global_buffer
      - .offset:         48
        .size:           8
        .value_kind:     by_value
      - .address_space:  global
        .offset:         56
        .size:           8
        .value_kind:     global_buffer
      - .offset:         64
        .size:           4
        .value_kind:     by_value
      - .offset:         68
        .size:           1
        .value_kind:     by_value
    .group_segment_fixed_size: 0
    .kernarg_segment_align: 8
    .kernarg_segment_size: 72
    .language:       OpenCL C
    .language_version:
      - 2
      - 0
    .max_flat_workgroup_size: 128
    .name:           _ZN9rocsparseL19gebsrmvn_2xn_kernelILj128ELj1ELj8E21rocsparse_complex_numIfEEEvi20rocsparse_direction_NS_24const_host_device_scalarIT2_EEPKiS8_PKS5_SA_S6_PS5_21rocsparse_index_base_b
    .private_segment_fixed_size: 0
    .sgpr_count:     20
    .sgpr_spill_count: 0
    .symbol:         _ZN9rocsparseL19gebsrmvn_2xn_kernelILj128ELj1ELj8E21rocsparse_complex_numIfEEEvi20rocsparse_direction_NS_24const_host_device_scalarIT2_EEPKiS8_PKS5_SA_S6_PS5_21rocsparse_index_base_b.kd
    .uniform_work_group_size: 1
    .uses_dynamic_stack: false
    .vgpr_count:     25
    .vgpr_spill_count: 0
    .wavefront_size: 64
  - .args:
      - .offset:         0
        .size:           4
        .value_kind:     by_value
      - .offset:         4
        .size:           4
        .value_kind:     by_value
      - .offset:         8
        .size:           8
        .value_kind:     by_value
      - .actual_access:  read_only
        .address_space:  global
        .offset:         16
        .size:           8
        .value_kind:     global_buffer
      - .actual_access:  read_only
        .address_space:  global
        .offset:         24
        .size:           8
        .value_kind:     global_buffer
      - .actual_access:  read_only
        .address_space:  global
        .offset:         32
        .size:           8
        .value_kind:     global_buffer
      - .actual_access:  read_only
        .address_space:  global
        .offset:         40
        .size:           8
        .value_kind:     global_buffer
      - .offset:         48
        .size:           8
        .value_kind:     by_value
      - .address_space:  global
        .offset:         56
        .size:           8
        .value_kind:     global_buffer
      - .offset:         64
        .size:           4
        .value_kind:     by_value
      - .offset:         68
        .size:           1
        .value_kind:     by_value
    .group_segment_fixed_size: 0
    .kernarg_segment_align: 8
    .kernarg_segment_size: 72
    .language:       OpenCL C
    .language_version:
      - 2
      - 0
    .max_flat_workgroup_size: 128
    .name:           _ZN9rocsparseL19gebsrmvn_2xn_kernelILj128ELj1ELj16E21rocsparse_complex_numIfEEEvi20rocsparse_direction_NS_24const_host_device_scalarIT2_EEPKiS8_PKS5_SA_S6_PS5_21rocsparse_index_base_b
    .private_segment_fixed_size: 0
    .sgpr_count:     20
    .sgpr_spill_count: 0
    .symbol:         _ZN9rocsparseL19gebsrmvn_2xn_kernelILj128ELj1ELj16E21rocsparse_complex_numIfEEEvi20rocsparse_direction_NS_24const_host_device_scalarIT2_EEPKiS8_PKS5_SA_S6_PS5_21rocsparse_index_base_b.kd
    .uniform_work_group_size: 1
    .uses_dynamic_stack: false
    .vgpr_count:     25
    .vgpr_spill_count: 0
    .wavefront_size: 64
  - .args:
      - .offset:         0
        .size:           4
        .value_kind:     by_value
      - .offset:         4
        .size:           4
        .value_kind:     by_value
      - .offset:         8
        .size:           8
        .value_kind:     by_value
      - .actual_access:  read_only
        .address_space:  global
        .offset:         16
        .size:           8
        .value_kind:     global_buffer
      - .actual_access:  read_only
        .address_space:  global
        .offset:         24
        .size:           8
        .value_kind:     global_buffer
      - .actual_access:  read_only
        .address_space:  global
        .offset:         32
        .size:           8
        .value_kind:     global_buffer
      - .actual_access:  read_only
        .address_space:  global
        .offset:         40
        .size:           8
        .value_kind:     global_buffer
      - .offset:         48
        .size:           8
        .value_kind:     by_value
      - .address_space:  global
        .offset:         56
        .size:           8
        .value_kind:     global_buffer
      - .offset:         64
        .size:           4
        .value_kind:     by_value
      - .offset:         68
        .size:           1
        .value_kind:     by_value
    .group_segment_fixed_size: 0
    .kernarg_segment_align: 8
    .kernarg_segment_size: 72
    .language:       OpenCL C
    .language_version:
      - 2
      - 0
    .max_flat_workgroup_size: 128
    .name:           _ZN9rocsparseL19gebsrmvn_2xn_kernelILj128ELj1ELj32E21rocsparse_complex_numIfEEEvi20rocsparse_direction_NS_24const_host_device_scalarIT2_EEPKiS8_PKS5_SA_S6_PS5_21rocsparse_index_base_b
    .private_segment_fixed_size: 0
    .sgpr_count:     20
    .sgpr_spill_count: 0
    .symbol:         _ZN9rocsparseL19gebsrmvn_2xn_kernelILj128ELj1ELj32E21rocsparse_complex_numIfEEEvi20rocsparse_direction_NS_24const_host_device_scalarIT2_EEPKiS8_PKS5_SA_S6_PS5_21rocsparse_index_base_b.kd
    .uniform_work_group_size: 1
    .uses_dynamic_stack: false
    .vgpr_count:     25
    .vgpr_spill_count: 0
    .wavefront_size: 64
  - .args:
      - .offset:         0
        .size:           4
        .value_kind:     by_value
      - .offset:         4
        .size:           4
        .value_kind:     by_value
      - .offset:         8
        .size:           8
        .value_kind:     by_value
      - .actual_access:  read_only
        .address_space:  global
        .offset:         16
        .size:           8
        .value_kind:     global_buffer
      - .actual_access:  read_only
        .address_space:  global
        .offset:         24
        .size:           8
        .value_kind:     global_buffer
      - .actual_access:  read_only
        .address_space:  global
        .offset:         32
        .size:           8
        .value_kind:     global_buffer
      - .actual_access:  read_only
        .address_space:  global
        .offset:         40
        .size:           8
        .value_kind:     global_buffer
      - .offset:         48
        .size:           8
        .value_kind:     by_value
      - .address_space:  global
        .offset:         56
        .size:           8
        .value_kind:     global_buffer
      - .offset:         64
        .size:           4
        .value_kind:     by_value
      - .offset:         68
        .size:           1
        .value_kind:     by_value
    .group_segment_fixed_size: 0
    .kernarg_segment_align: 8
    .kernarg_segment_size: 72
    .language:       OpenCL C
    .language_version:
      - 2
      - 0
    .max_flat_workgroup_size: 128
    .name:           _ZN9rocsparseL19gebsrmvn_2xn_kernelILj128ELj1ELj64E21rocsparse_complex_numIfEEEvi20rocsparse_direction_NS_24const_host_device_scalarIT2_EEPKiS8_PKS5_SA_S6_PS5_21rocsparse_index_base_b
    .private_segment_fixed_size: 0
    .sgpr_count:     20
    .sgpr_spill_count: 0
    .symbol:         _ZN9rocsparseL19gebsrmvn_2xn_kernelILj128ELj1ELj64E21rocsparse_complex_numIfEEEvi20rocsparse_direction_NS_24const_host_device_scalarIT2_EEPKiS8_PKS5_SA_S6_PS5_21rocsparse_index_base_b.kd
    .uniform_work_group_size: 1
    .uses_dynamic_stack: false
    .vgpr_count:     25
    .vgpr_spill_count: 0
    .wavefront_size: 64
  - .args:
      - .offset:         0
        .size:           4
        .value_kind:     by_value
      - .offset:         4
        .size:           4
        .value_kind:     by_value
      - .offset:         8
        .size:           8
        .value_kind:     by_value
      - .actual_access:  read_only
        .address_space:  global
        .offset:         16
        .size:           8
        .value_kind:     global_buffer
      - .actual_access:  read_only
        .address_space:  global
        .offset:         24
        .size:           8
        .value_kind:     global_buffer
      - .actual_access:  read_only
        .address_space:  global
        .offset:         32
        .size:           8
        .value_kind:     global_buffer
      - .actual_access:  read_only
        .address_space:  global
        .offset:         40
        .size:           8
        .value_kind:     global_buffer
      - .offset:         48
        .size:           8
        .value_kind:     by_value
      - .address_space:  global
        .offset:         56
        .size:           8
        .value_kind:     global_buffer
      - .offset:         64
        .size:           4
        .value_kind:     by_value
      - .offset:         68
        .size:           1
        .value_kind:     by_value
    .group_segment_fixed_size: 0
    .kernarg_segment_align: 8
    .kernarg_segment_size: 72
    .language:       OpenCL C
    .language_version:
      - 2
      - 0
    .max_flat_workgroup_size: 128
    .name:           _ZN9rocsparseL19gebsrmvn_2xn_kernelILj128ELj3ELj4E21rocsparse_complex_numIfEEEvi20rocsparse_direction_NS_24const_host_device_scalarIT2_EEPKiS8_PKS5_SA_S6_PS5_21rocsparse_index_base_b
    .private_segment_fixed_size: 0
    .sgpr_count:     20
    .sgpr_spill_count: 0
    .symbol:         _ZN9rocsparseL19gebsrmvn_2xn_kernelILj128ELj3ELj4E21rocsparse_complex_numIfEEEvi20rocsparse_direction_NS_24const_host_device_scalarIT2_EEPKiS8_PKS5_SA_S6_PS5_21rocsparse_index_base_b.kd
    .uniform_work_group_size: 1
    .uses_dynamic_stack: false
    .vgpr_count:     38
    .vgpr_spill_count: 0
    .wavefront_size: 64
  - .args:
      - .offset:         0
        .size:           4
        .value_kind:     by_value
      - .offset:         4
        .size:           4
        .value_kind:     by_value
      - .offset:         8
        .size:           8
        .value_kind:     by_value
      - .actual_access:  read_only
        .address_space:  global
        .offset:         16
        .size:           8
        .value_kind:     global_buffer
      - .actual_access:  read_only
        .address_space:  global
        .offset:         24
        .size:           8
        .value_kind:     global_buffer
      - .actual_access:  read_only
        .address_space:  global
        .offset:         32
        .size:           8
        .value_kind:     global_buffer
      - .actual_access:  read_only
        .address_space:  global
        .offset:         40
        .size:           8
        .value_kind:     global_buffer
      - .offset:         48
        .size:           8
        .value_kind:     by_value
      - .address_space:  global
        .offset:         56
        .size:           8
        .value_kind:     global_buffer
      - .offset:         64
        .size:           4
        .value_kind:     by_value
      - .offset:         68
        .size:           1
        .value_kind:     by_value
    .group_segment_fixed_size: 0
    .kernarg_segment_align: 8
    .kernarg_segment_size: 72
    .language:       OpenCL C
    .language_version:
      - 2
      - 0
    .max_flat_workgroup_size: 128
    .name:           _ZN9rocsparseL19gebsrmvn_2xn_kernelILj128ELj3ELj8E21rocsparse_complex_numIfEEEvi20rocsparse_direction_NS_24const_host_device_scalarIT2_EEPKiS8_PKS5_SA_S6_PS5_21rocsparse_index_base_b
    .private_segment_fixed_size: 0
    .sgpr_count:     20
    .sgpr_spill_count: 0
    .symbol:         _ZN9rocsparseL19gebsrmvn_2xn_kernelILj128ELj3ELj8E21rocsparse_complex_numIfEEEvi20rocsparse_direction_NS_24const_host_device_scalarIT2_EEPKiS8_PKS5_SA_S6_PS5_21rocsparse_index_base_b.kd
    .uniform_work_group_size: 1
    .uses_dynamic_stack: false
    .vgpr_count:     38
    .vgpr_spill_count: 0
    .wavefront_size: 64
  - .args:
      - .offset:         0
        .size:           4
        .value_kind:     by_value
      - .offset:         4
        .size:           4
        .value_kind:     by_value
      - .offset:         8
        .size:           8
        .value_kind:     by_value
      - .actual_access:  read_only
        .address_space:  global
        .offset:         16
        .size:           8
        .value_kind:     global_buffer
      - .actual_access:  read_only
        .address_space:  global
        .offset:         24
        .size:           8
        .value_kind:     global_buffer
      - .actual_access:  read_only
        .address_space:  global
        .offset:         32
        .size:           8
        .value_kind:     global_buffer
      - .actual_access:  read_only
        .address_space:  global
        .offset:         40
        .size:           8
        .value_kind:     global_buffer
      - .offset:         48
        .size:           8
        .value_kind:     by_value
      - .address_space:  global
        .offset:         56
        .size:           8
        .value_kind:     global_buffer
      - .offset:         64
        .size:           4
        .value_kind:     by_value
      - .offset:         68
        .size:           1
        .value_kind:     by_value
    .group_segment_fixed_size: 0
    .kernarg_segment_align: 8
    .kernarg_segment_size: 72
    .language:       OpenCL C
    .language_version:
      - 2
      - 0
    .max_flat_workgroup_size: 128
    .name:           _ZN9rocsparseL19gebsrmvn_2xn_kernelILj128ELj3ELj16E21rocsparse_complex_numIfEEEvi20rocsparse_direction_NS_24const_host_device_scalarIT2_EEPKiS8_PKS5_SA_S6_PS5_21rocsparse_index_base_b
    .private_segment_fixed_size: 0
    .sgpr_count:     20
    .sgpr_spill_count: 0
    .symbol:         _ZN9rocsparseL19gebsrmvn_2xn_kernelILj128ELj3ELj16E21rocsparse_complex_numIfEEEvi20rocsparse_direction_NS_24const_host_device_scalarIT2_EEPKiS8_PKS5_SA_S6_PS5_21rocsparse_index_base_b.kd
    .uniform_work_group_size: 1
    .uses_dynamic_stack: false
    .vgpr_count:     38
    .vgpr_spill_count: 0
    .wavefront_size: 64
  - .args:
      - .offset:         0
        .size:           4
        .value_kind:     by_value
      - .offset:         4
        .size:           4
        .value_kind:     by_value
      - .offset:         8
        .size:           8
        .value_kind:     by_value
      - .actual_access:  read_only
        .address_space:  global
        .offset:         16
        .size:           8
        .value_kind:     global_buffer
      - .actual_access:  read_only
        .address_space:  global
        .offset:         24
        .size:           8
        .value_kind:     global_buffer
      - .actual_access:  read_only
        .address_space:  global
        .offset:         32
        .size:           8
        .value_kind:     global_buffer
      - .actual_access:  read_only
        .address_space:  global
        .offset:         40
        .size:           8
        .value_kind:     global_buffer
      - .offset:         48
        .size:           8
        .value_kind:     by_value
      - .address_space:  global
        .offset:         56
        .size:           8
        .value_kind:     global_buffer
      - .offset:         64
        .size:           4
        .value_kind:     by_value
      - .offset:         68
        .size:           1
        .value_kind:     by_value
    .group_segment_fixed_size: 0
    .kernarg_segment_align: 8
    .kernarg_segment_size: 72
    .language:       OpenCL C
    .language_version:
      - 2
      - 0
    .max_flat_workgroup_size: 128
    .name:           _ZN9rocsparseL19gebsrmvn_2xn_kernelILj128ELj3ELj32E21rocsparse_complex_numIfEEEvi20rocsparse_direction_NS_24const_host_device_scalarIT2_EEPKiS8_PKS5_SA_S6_PS5_21rocsparse_index_base_b
    .private_segment_fixed_size: 0
    .sgpr_count:     20
    .sgpr_spill_count: 0
    .symbol:         _ZN9rocsparseL19gebsrmvn_2xn_kernelILj128ELj3ELj32E21rocsparse_complex_numIfEEEvi20rocsparse_direction_NS_24const_host_device_scalarIT2_EEPKiS8_PKS5_SA_S6_PS5_21rocsparse_index_base_b.kd
    .uniform_work_group_size: 1
    .uses_dynamic_stack: false
    .vgpr_count:     38
    .vgpr_spill_count: 0
    .wavefront_size: 64
  - .args:
      - .offset:         0
        .size:           4
        .value_kind:     by_value
      - .offset:         4
        .size:           4
        .value_kind:     by_value
      - .offset:         8
        .size:           8
        .value_kind:     by_value
      - .actual_access:  read_only
        .address_space:  global
        .offset:         16
        .size:           8
        .value_kind:     global_buffer
      - .actual_access:  read_only
        .address_space:  global
        .offset:         24
        .size:           8
        .value_kind:     global_buffer
      - .actual_access:  read_only
        .address_space:  global
        .offset:         32
        .size:           8
        .value_kind:     global_buffer
      - .actual_access:  read_only
        .address_space:  global
        .offset:         40
        .size:           8
        .value_kind:     global_buffer
      - .offset:         48
        .size:           8
        .value_kind:     by_value
      - .address_space:  global
        .offset:         56
        .size:           8
        .value_kind:     global_buffer
      - .offset:         64
        .size:           4
        .value_kind:     by_value
      - .offset:         68
        .size:           1
        .value_kind:     by_value
    .group_segment_fixed_size: 0
    .kernarg_segment_align: 8
    .kernarg_segment_size: 72
    .language:       OpenCL C
    .language_version:
      - 2
      - 0
    .max_flat_workgroup_size: 128
    .name:           _ZN9rocsparseL19gebsrmvn_2xn_kernelILj128ELj3ELj64E21rocsparse_complex_numIfEEEvi20rocsparse_direction_NS_24const_host_device_scalarIT2_EEPKiS8_PKS5_SA_S6_PS5_21rocsparse_index_base_b
    .private_segment_fixed_size: 0
    .sgpr_count:     20
    .sgpr_spill_count: 0
    .symbol:         _ZN9rocsparseL19gebsrmvn_2xn_kernelILj128ELj3ELj64E21rocsparse_complex_numIfEEEvi20rocsparse_direction_NS_24const_host_device_scalarIT2_EEPKiS8_PKS5_SA_S6_PS5_21rocsparse_index_base_b.kd
    .uniform_work_group_size: 1
    .uses_dynamic_stack: false
    .vgpr_count:     38
    .vgpr_spill_count: 0
    .wavefront_size: 64
  - .args:
      - .offset:         0
        .size:           4
        .value_kind:     by_value
      - .offset:         4
        .size:           4
        .value_kind:     by_value
      - .offset:         8
        .size:           8
        .value_kind:     by_value
      - .actual_access:  read_only
        .address_space:  global
        .offset:         16
        .size:           8
        .value_kind:     global_buffer
      - .actual_access:  read_only
        .address_space:  global
        .offset:         24
        .size:           8
        .value_kind:     global_buffer
      - .actual_access:  read_only
        .address_space:  global
        .offset:         32
        .size:           8
        .value_kind:     global_buffer
      - .actual_access:  read_only
        .address_space:  global
        .offset:         40
        .size:           8
        .value_kind:     global_buffer
      - .offset:         48
        .size:           8
        .value_kind:     by_value
      - .address_space:  global
        .offset:         56
        .size:           8
        .value_kind:     global_buffer
      - .offset:         64
        .size:           4
        .value_kind:     by_value
      - .offset:         68
        .size:           1
        .value_kind:     by_value
    .group_segment_fixed_size: 0
    .kernarg_segment_align: 8
    .kernarg_segment_size: 72
    .language:       OpenCL C
    .language_version:
      - 2
      - 0
    .max_flat_workgroup_size: 128
    .name:           _ZN9rocsparseL19gebsrmvn_2xn_kernelILj128ELj4ELj4E21rocsparse_complex_numIfEEEvi20rocsparse_direction_NS_24const_host_device_scalarIT2_EEPKiS8_PKS5_SA_S6_PS5_21rocsparse_index_base_b
    .private_segment_fixed_size: 0
    .sgpr_count:     20
    .sgpr_spill_count: 0
    .symbol:         _ZN9rocsparseL19gebsrmvn_2xn_kernelILj128ELj4ELj4E21rocsparse_complex_numIfEEEvi20rocsparse_direction_NS_24const_host_device_scalarIT2_EEPKiS8_PKS5_SA_S6_PS5_21rocsparse_index_base_b.kd
    .uniform_work_group_size: 1
    .uses_dynamic_stack: false
    .vgpr_count:     47
    .vgpr_spill_count: 0
    .wavefront_size: 64
  - .args:
      - .offset:         0
        .size:           4
        .value_kind:     by_value
      - .offset:         4
        .size:           4
        .value_kind:     by_value
      - .offset:         8
        .size:           8
        .value_kind:     by_value
      - .actual_access:  read_only
        .address_space:  global
        .offset:         16
        .size:           8
        .value_kind:     global_buffer
      - .actual_access:  read_only
        .address_space:  global
        .offset:         24
        .size:           8
        .value_kind:     global_buffer
      - .actual_access:  read_only
        .address_space:  global
        .offset:         32
        .size:           8
        .value_kind:     global_buffer
      - .actual_access:  read_only
        .address_space:  global
        .offset:         40
        .size:           8
        .value_kind:     global_buffer
      - .offset:         48
        .size:           8
        .value_kind:     by_value
      - .address_space:  global
        .offset:         56
        .size:           8
        .value_kind:     global_buffer
      - .offset:         64
        .size:           4
        .value_kind:     by_value
      - .offset:         68
        .size:           1
        .value_kind:     by_value
    .group_segment_fixed_size: 0
    .kernarg_segment_align: 8
    .kernarg_segment_size: 72
    .language:       OpenCL C
    .language_version:
      - 2
      - 0
    .max_flat_workgroup_size: 128
    .name:           _ZN9rocsparseL19gebsrmvn_2xn_kernelILj128ELj4ELj8E21rocsparse_complex_numIfEEEvi20rocsparse_direction_NS_24const_host_device_scalarIT2_EEPKiS8_PKS5_SA_S6_PS5_21rocsparse_index_base_b
    .private_segment_fixed_size: 0
    .sgpr_count:     20
    .sgpr_spill_count: 0
    .symbol:         _ZN9rocsparseL19gebsrmvn_2xn_kernelILj128ELj4ELj8E21rocsparse_complex_numIfEEEvi20rocsparse_direction_NS_24const_host_device_scalarIT2_EEPKiS8_PKS5_SA_S6_PS5_21rocsparse_index_base_b.kd
    .uniform_work_group_size: 1
    .uses_dynamic_stack: false
    .vgpr_count:     47
    .vgpr_spill_count: 0
    .wavefront_size: 64
  - .args:
      - .offset:         0
        .size:           4
        .value_kind:     by_value
      - .offset:         4
        .size:           4
        .value_kind:     by_value
      - .offset:         8
        .size:           8
        .value_kind:     by_value
      - .actual_access:  read_only
        .address_space:  global
        .offset:         16
        .size:           8
        .value_kind:     global_buffer
      - .actual_access:  read_only
        .address_space:  global
        .offset:         24
        .size:           8
        .value_kind:     global_buffer
      - .actual_access:  read_only
        .address_space:  global
        .offset:         32
        .size:           8
        .value_kind:     global_buffer
      - .actual_access:  read_only
        .address_space:  global
        .offset:         40
        .size:           8
        .value_kind:     global_buffer
      - .offset:         48
        .size:           8
        .value_kind:     by_value
      - .address_space:  global
        .offset:         56
        .size:           8
        .value_kind:     global_buffer
      - .offset:         64
        .size:           4
        .value_kind:     by_value
      - .offset:         68
        .size:           1
        .value_kind:     by_value
    .group_segment_fixed_size: 0
    .kernarg_segment_align: 8
    .kernarg_segment_size: 72
    .language:       OpenCL C
    .language_version:
      - 2
      - 0
    .max_flat_workgroup_size: 128
    .name:           _ZN9rocsparseL19gebsrmvn_2xn_kernelILj128ELj4ELj16E21rocsparse_complex_numIfEEEvi20rocsparse_direction_NS_24const_host_device_scalarIT2_EEPKiS8_PKS5_SA_S6_PS5_21rocsparse_index_base_b
    .private_segment_fixed_size: 0
    .sgpr_count:     20
    .sgpr_spill_count: 0
    .symbol:         _ZN9rocsparseL19gebsrmvn_2xn_kernelILj128ELj4ELj16E21rocsparse_complex_numIfEEEvi20rocsparse_direction_NS_24const_host_device_scalarIT2_EEPKiS8_PKS5_SA_S6_PS5_21rocsparse_index_base_b.kd
    .uniform_work_group_size: 1
    .uses_dynamic_stack: false
    .vgpr_count:     47
    .vgpr_spill_count: 0
    .wavefront_size: 64
  - .args:
      - .offset:         0
        .size:           4
        .value_kind:     by_value
      - .offset:         4
        .size:           4
        .value_kind:     by_value
      - .offset:         8
        .size:           8
        .value_kind:     by_value
      - .actual_access:  read_only
        .address_space:  global
        .offset:         16
        .size:           8
        .value_kind:     global_buffer
      - .actual_access:  read_only
        .address_space:  global
        .offset:         24
        .size:           8
        .value_kind:     global_buffer
      - .actual_access:  read_only
        .address_space:  global
        .offset:         32
        .size:           8
        .value_kind:     global_buffer
      - .actual_access:  read_only
        .address_space:  global
        .offset:         40
        .size:           8
        .value_kind:     global_buffer
      - .offset:         48
        .size:           8
        .value_kind:     by_value
      - .address_space:  global
        .offset:         56
        .size:           8
        .value_kind:     global_buffer
      - .offset:         64
        .size:           4
        .value_kind:     by_value
      - .offset:         68
        .size:           1
        .value_kind:     by_value
    .group_segment_fixed_size: 0
    .kernarg_segment_align: 8
    .kernarg_segment_size: 72
    .language:       OpenCL C
    .language_version:
      - 2
      - 0
    .max_flat_workgroup_size: 128
    .name:           _ZN9rocsparseL19gebsrmvn_2xn_kernelILj128ELj4ELj32E21rocsparse_complex_numIfEEEvi20rocsparse_direction_NS_24const_host_device_scalarIT2_EEPKiS8_PKS5_SA_S6_PS5_21rocsparse_index_base_b
    .private_segment_fixed_size: 0
    .sgpr_count:     20
    .sgpr_spill_count: 0
    .symbol:         _ZN9rocsparseL19gebsrmvn_2xn_kernelILj128ELj4ELj32E21rocsparse_complex_numIfEEEvi20rocsparse_direction_NS_24const_host_device_scalarIT2_EEPKiS8_PKS5_SA_S6_PS5_21rocsparse_index_base_b.kd
    .uniform_work_group_size: 1
    .uses_dynamic_stack: false
    .vgpr_count:     47
    .vgpr_spill_count: 0
    .wavefront_size: 64
  - .args:
      - .offset:         0
        .size:           4
        .value_kind:     by_value
      - .offset:         4
        .size:           4
        .value_kind:     by_value
      - .offset:         8
        .size:           8
        .value_kind:     by_value
      - .actual_access:  read_only
        .address_space:  global
        .offset:         16
        .size:           8
        .value_kind:     global_buffer
      - .actual_access:  read_only
        .address_space:  global
        .offset:         24
        .size:           8
        .value_kind:     global_buffer
      - .actual_access:  read_only
        .address_space:  global
        .offset:         32
        .size:           8
        .value_kind:     global_buffer
      - .actual_access:  read_only
        .address_space:  global
        .offset:         40
        .size:           8
        .value_kind:     global_buffer
      - .offset:         48
        .size:           8
        .value_kind:     by_value
      - .address_space:  global
        .offset:         56
        .size:           8
        .value_kind:     global_buffer
      - .offset:         64
        .size:           4
        .value_kind:     by_value
      - .offset:         68
        .size:           1
        .value_kind:     by_value
    .group_segment_fixed_size: 0
    .kernarg_segment_align: 8
    .kernarg_segment_size: 72
    .language:       OpenCL C
    .language_version:
      - 2
      - 0
    .max_flat_workgroup_size: 128
    .name:           _ZN9rocsparseL19gebsrmvn_2xn_kernelILj128ELj4ELj64E21rocsparse_complex_numIfEEEvi20rocsparse_direction_NS_24const_host_device_scalarIT2_EEPKiS8_PKS5_SA_S6_PS5_21rocsparse_index_base_b
    .private_segment_fixed_size: 0
    .sgpr_count:     20
    .sgpr_spill_count: 0
    .symbol:         _ZN9rocsparseL19gebsrmvn_2xn_kernelILj128ELj4ELj64E21rocsparse_complex_numIfEEEvi20rocsparse_direction_NS_24const_host_device_scalarIT2_EEPKiS8_PKS5_SA_S6_PS5_21rocsparse_index_base_b.kd
    .uniform_work_group_size: 1
    .uses_dynamic_stack: false
    .vgpr_count:     47
    .vgpr_spill_count: 0
    .wavefront_size: 64
  - .args:
      - .offset:         0
        .size:           4
        .value_kind:     by_value
      - .offset:         4
        .size:           4
        .value_kind:     by_value
      - .offset:         8
        .size:           8
        .value_kind:     by_value
      - .actual_access:  read_only
        .address_space:  global
        .offset:         16
        .size:           8
        .value_kind:     global_buffer
      - .actual_access:  read_only
        .address_space:  global
        .offset:         24
        .size:           8
        .value_kind:     global_buffer
      - .actual_access:  read_only
        .address_space:  global
        .offset:         32
        .size:           8
        .value_kind:     global_buffer
      - .actual_access:  read_only
        .address_space:  global
        .offset:         40
        .size:           8
        .value_kind:     global_buffer
      - .offset:         48
        .size:           8
        .value_kind:     by_value
      - .address_space:  global
        .offset:         56
        .size:           8
        .value_kind:     global_buffer
      - .offset:         64
        .size:           4
        .value_kind:     by_value
      - .offset:         68
        .size:           1
        .value_kind:     by_value
    .group_segment_fixed_size: 0
    .kernarg_segment_align: 8
    .kernarg_segment_size: 72
    .language:       OpenCL C
    .language_version:
      - 2
      - 0
    .max_flat_workgroup_size: 128
    .name:           _ZN9rocsparseL19gebsrmvn_2xn_kernelILj128ELj5ELj4E21rocsparse_complex_numIfEEEvi20rocsparse_direction_NS_24const_host_device_scalarIT2_EEPKiS8_PKS5_SA_S6_PS5_21rocsparse_index_base_b
    .private_segment_fixed_size: 0
    .sgpr_count:     20
    .sgpr_spill_count: 0
    .symbol:         _ZN9rocsparseL19gebsrmvn_2xn_kernelILj128ELj5ELj4E21rocsparse_complex_numIfEEEvi20rocsparse_direction_NS_24const_host_device_scalarIT2_EEPKiS8_PKS5_SA_S6_PS5_21rocsparse_index_base_b.kd
    .uniform_work_group_size: 1
    .uses_dynamic_stack: false
    .vgpr_count:     38
    .vgpr_spill_count: 0
    .wavefront_size: 64
  - .args:
      - .offset:         0
        .size:           4
        .value_kind:     by_value
      - .offset:         4
        .size:           4
        .value_kind:     by_value
      - .offset:         8
        .size:           8
        .value_kind:     by_value
      - .actual_access:  read_only
        .address_space:  global
        .offset:         16
        .size:           8
        .value_kind:     global_buffer
      - .actual_access:  read_only
        .address_space:  global
        .offset:         24
        .size:           8
        .value_kind:     global_buffer
      - .actual_access:  read_only
        .address_space:  global
        .offset:         32
        .size:           8
        .value_kind:     global_buffer
      - .actual_access:  read_only
        .address_space:  global
        .offset:         40
        .size:           8
        .value_kind:     global_buffer
      - .offset:         48
        .size:           8
        .value_kind:     by_value
      - .address_space:  global
        .offset:         56
        .size:           8
        .value_kind:     global_buffer
      - .offset:         64
        .size:           4
        .value_kind:     by_value
      - .offset:         68
        .size:           1
        .value_kind:     by_value
    .group_segment_fixed_size: 0
    .kernarg_segment_align: 8
    .kernarg_segment_size: 72
    .language:       OpenCL C
    .language_version:
      - 2
      - 0
    .max_flat_workgroup_size: 128
    .name:           _ZN9rocsparseL19gebsrmvn_2xn_kernelILj128ELj5ELj8E21rocsparse_complex_numIfEEEvi20rocsparse_direction_NS_24const_host_device_scalarIT2_EEPKiS8_PKS5_SA_S6_PS5_21rocsparse_index_base_b
    .private_segment_fixed_size: 0
    .sgpr_count:     20
    .sgpr_spill_count: 0
    .symbol:         _ZN9rocsparseL19gebsrmvn_2xn_kernelILj128ELj5ELj8E21rocsparse_complex_numIfEEEvi20rocsparse_direction_NS_24const_host_device_scalarIT2_EEPKiS8_PKS5_SA_S6_PS5_21rocsparse_index_base_b.kd
    .uniform_work_group_size: 1
    .uses_dynamic_stack: false
    .vgpr_count:     38
    .vgpr_spill_count: 0
    .wavefront_size: 64
  - .args:
      - .offset:         0
        .size:           4
        .value_kind:     by_value
      - .offset:         4
        .size:           4
        .value_kind:     by_value
      - .offset:         8
        .size:           8
        .value_kind:     by_value
      - .actual_access:  read_only
        .address_space:  global
        .offset:         16
        .size:           8
        .value_kind:     global_buffer
      - .actual_access:  read_only
        .address_space:  global
        .offset:         24
        .size:           8
        .value_kind:     global_buffer
      - .actual_access:  read_only
        .address_space:  global
        .offset:         32
        .size:           8
        .value_kind:     global_buffer
      - .actual_access:  read_only
        .address_space:  global
        .offset:         40
        .size:           8
        .value_kind:     global_buffer
      - .offset:         48
        .size:           8
        .value_kind:     by_value
      - .address_space:  global
        .offset:         56
        .size:           8
        .value_kind:     global_buffer
      - .offset:         64
        .size:           4
        .value_kind:     by_value
      - .offset:         68
        .size:           1
        .value_kind:     by_value
    .group_segment_fixed_size: 0
    .kernarg_segment_align: 8
    .kernarg_segment_size: 72
    .language:       OpenCL C
    .language_version:
      - 2
      - 0
    .max_flat_workgroup_size: 128
    .name:           _ZN9rocsparseL19gebsrmvn_2xn_kernelILj128ELj5ELj16E21rocsparse_complex_numIfEEEvi20rocsparse_direction_NS_24const_host_device_scalarIT2_EEPKiS8_PKS5_SA_S6_PS5_21rocsparse_index_base_b
    .private_segment_fixed_size: 0
    .sgpr_count:     20
    .sgpr_spill_count: 0
    .symbol:         _ZN9rocsparseL19gebsrmvn_2xn_kernelILj128ELj5ELj16E21rocsparse_complex_numIfEEEvi20rocsparse_direction_NS_24const_host_device_scalarIT2_EEPKiS8_PKS5_SA_S6_PS5_21rocsparse_index_base_b.kd
    .uniform_work_group_size: 1
    .uses_dynamic_stack: false
    .vgpr_count:     38
    .vgpr_spill_count: 0
    .wavefront_size: 64
  - .args:
      - .offset:         0
        .size:           4
        .value_kind:     by_value
      - .offset:         4
        .size:           4
        .value_kind:     by_value
      - .offset:         8
        .size:           8
        .value_kind:     by_value
      - .actual_access:  read_only
        .address_space:  global
        .offset:         16
        .size:           8
        .value_kind:     global_buffer
      - .actual_access:  read_only
        .address_space:  global
        .offset:         24
        .size:           8
        .value_kind:     global_buffer
      - .actual_access:  read_only
        .address_space:  global
        .offset:         32
        .size:           8
        .value_kind:     global_buffer
      - .actual_access:  read_only
        .address_space:  global
        .offset:         40
        .size:           8
        .value_kind:     global_buffer
      - .offset:         48
        .size:           8
        .value_kind:     by_value
      - .address_space:  global
        .offset:         56
        .size:           8
        .value_kind:     global_buffer
      - .offset:         64
        .size:           4
        .value_kind:     by_value
      - .offset:         68
        .size:           1
        .value_kind:     by_value
    .group_segment_fixed_size: 0
    .kernarg_segment_align: 8
    .kernarg_segment_size: 72
    .language:       OpenCL C
    .language_version:
      - 2
      - 0
    .max_flat_workgroup_size: 128
    .name:           _ZN9rocsparseL19gebsrmvn_2xn_kernelILj128ELj5ELj32E21rocsparse_complex_numIfEEEvi20rocsparse_direction_NS_24const_host_device_scalarIT2_EEPKiS8_PKS5_SA_S6_PS5_21rocsparse_index_base_b
    .private_segment_fixed_size: 0
    .sgpr_count:     20
    .sgpr_spill_count: 0
    .symbol:         _ZN9rocsparseL19gebsrmvn_2xn_kernelILj128ELj5ELj32E21rocsparse_complex_numIfEEEvi20rocsparse_direction_NS_24const_host_device_scalarIT2_EEPKiS8_PKS5_SA_S6_PS5_21rocsparse_index_base_b.kd
    .uniform_work_group_size: 1
    .uses_dynamic_stack: false
    .vgpr_count:     38
    .vgpr_spill_count: 0
    .wavefront_size: 64
  - .args:
      - .offset:         0
        .size:           4
        .value_kind:     by_value
      - .offset:         4
        .size:           4
        .value_kind:     by_value
      - .offset:         8
        .size:           8
        .value_kind:     by_value
      - .actual_access:  read_only
        .address_space:  global
        .offset:         16
        .size:           8
        .value_kind:     global_buffer
      - .actual_access:  read_only
        .address_space:  global
        .offset:         24
        .size:           8
        .value_kind:     global_buffer
      - .actual_access:  read_only
        .address_space:  global
        .offset:         32
        .size:           8
        .value_kind:     global_buffer
      - .actual_access:  read_only
        .address_space:  global
        .offset:         40
        .size:           8
        .value_kind:     global_buffer
      - .offset:         48
        .size:           8
        .value_kind:     by_value
      - .address_space:  global
        .offset:         56
        .size:           8
        .value_kind:     global_buffer
      - .offset:         64
        .size:           4
        .value_kind:     by_value
      - .offset:         68
        .size:           1
        .value_kind:     by_value
    .group_segment_fixed_size: 0
    .kernarg_segment_align: 8
    .kernarg_segment_size: 72
    .language:       OpenCL C
    .language_version:
      - 2
      - 0
    .max_flat_workgroup_size: 128
    .name:           _ZN9rocsparseL19gebsrmvn_2xn_kernelILj128ELj5ELj64E21rocsparse_complex_numIfEEEvi20rocsparse_direction_NS_24const_host_device_scalarIT2_EEPKiS8_PKS5_SA_S6_PS5_21rocsparse_index_base_b
    .private_segment_fixed_size: 0
    .sgpr_count:     20
    .sgpr_spill_count: 0
    .symbol:         _ZN9rocsparseL19gebsrmvn_2xn_kernelILj128ELj5ELj64E21rocsparse_complex_numIfEEEvi20rocsparse_direction_NS_24const_host_device_scalarIT2_EEPKiS8_PKS5_SA_S6_PS5_21rocsparse_index_base_b.kd
    .uniform_work_group_size: 1
    .uses_dynamic_stack: false
    .vgpr_count:     38
    .vgpr_spill_count: 0
    .wavefront_size: 64
  - .args:
      - .offset:         0
        .size:           4
        .value_kind:     by_value
      - .offset:         4
        .size:           4
        .value_kind:     by_value
      - .offset:         8
        .size:           8
        .value_kind:     by_value
      - .actual_access:  read_only
        .address_space:  global
        .offset:         16
        .size:           8
        .value_kind:     global_buffer
      - .actual_access:  read_only
        .address_space:  global
        .offset:         24
        .size:           8
        .value_kind:     global_buffer
      - .actual_access:  read_only
        .address_space:  global
        .offset:         32
        .size:           8
        .value_kind:     global_buffer
      - .actual_access:  read_only
        .address_space:  global
        .offset:         40
        .size:           8
        .value_kind:     global_buffer
      - .offset:         48
        .size:           8
        .value_kind:     by_value
      - .address_space:  global
        .offset:         56
        .size:           8
        .value_kind:     global_buffer
      - .offset:         64
        .size:           4
        .value_kind:     by_value
      - .offset:         68
        .size:           1
        .value_kind:     by_value
    .group_segment_fixed_size: 0
    .kernarg_segment_align: 8
    .kernarg_segment_size: 72
    .language:       OpenCL C
    .language_version:
      - 2
      - 0
    .max_flat_workgroup_size: 128
    .name:           _ZN9rocsparseL19gebsrmvn_2xn_kernelILj128ELj6ELj4E21rocsparse_complex_numIfEEEvi20rocsparse_direction_NS_24const_host_device_scalarIT2_EEPKiS8_PKS5_SA_S6_PS5_21rocsparse_index_base_b
    .private_segment_fixed_size: 0
    .sgpr_count:     20
    .sgpr_spill_count: 0
    .symbol:         _ZN9rocsparseL19gebsrmvn_2xn_kernelILj128ELj6ELj4E21rocsparse_complex_numIfEEEvi20rocsparse_direction_NS_24const_host_device_scalarIT2_EEPKiS8_PKS5_SA_S6_PS5_21rocsparse_index_base_b.kd
    .uniform_work_group_size: 1
    .uses_dynamic_stack: false
    .vgpr_count:     41
    .vgpr_spill_count: 0
    .wavefront_size: 64
  - .args:
      - .offset:         0
        .size:           4
        .value_kind:     by_value
      - .offset:         4
        .size:           4
        .value_kind:     by_value
      - .offset:         8
        .size:           8
        .value_kind:     by_value
      - .actual_access:  read_only
        .address_space:  global
        .offset:         16
        .size:           8
        .value_kind:     global_buffer
      - .actual_access:  read_only
        .address_space:  global
        .offset:         24
        .size:           8
        .value_kind:     global_buffer
      - .actual_access:  read_only
        .address_space:  global
        .offset:         32
        .size:           8
        .value_kind:     global_buffer
      - .actual_access:  read_only
        .address_space:  global
        .offset:         40
        .size:           8
        .value_kind:     global_buffer
      - .offset:         48
        .size:           8
        .value_kind:     by_value
      - .address_space:  global
        .offset:         56
        .size:           8
        .value_kind:     global_buffer
      - .offset:         64
        .size:           4
        .value_kind:     by_value
      - .offset:         68
        .size:           1
        .value_kind:     by_value
    .group_segment_fixed_size: 0
    .kernarg_segment_align: 8
    .kernarg_segment_size: 72
    .language:       OpenCL C
    .language_version:
      - 2
      - 0
    .max_flat_workgroup_size: 128
    .name:           _ZN9rocsparseL19gebsrmvn_2xn_kernelILj128ELj6ELj8E21rocsparse_complex_numIfEEEvi20rocsparse_direction_NS_24const_host_device_scalarIT2_EEPKiS8_PKS5_SA_S6_PS5_21rocsparse_index_base_b
    .private_segment_fixed_size: 0
    .sgpr_count:     20
    .sgpr_spill_count: 0
    .symbol:         _ZN9rocsparseL19gebsrmvn_2xn_kernelILj128ELj6ELj8E21rocsparse_complex_numIfEEEvi20rocsparse_direction_NS_24const_host_device_scalarIT2_EEPKiS8_PKS5_SA_S6_PS5_21rocsparse_index_base_b.kd
    .uniform_work_group_size: 1
    .uses_dynamic_stack: false
    .vgpr_count:     41
    .vgpr_spill_count: 0
    .wavefront_size: 64
  - .args:
      - .offset:         0
        .size:           4
        .value_kind:     by_value
      - .offset:         4
        .size:           4
        .value_kind:     by_value
      - .offset:         8
        .size:           8
        .value_kind:     by_value
      - .actual_access:  read_only
        .address_space:  global
        .offset:         16
        .size:           8
        .value_kind:     global_buffer
      - .actual_access:  read_only
        .address_space:  global
        .offset:         24
        .size:           8
        .value_kind:     global_buffer
      - .actual_access:  read_only
        .address_space:  global
        .offset:         32
        .size:           8
        .value_kind:     global_buffer
      - .actual_access:  read_only
        .address_space:  global
        .offset:         40
        .size:           8
        .value_kind:     global_buffer
      - .offset:         48
        .size:           8
        .value_kind:     by_value
      - .address_space:  global
        .offset:         56
        .size:           8
        .value_kind:     global_buffer
      - .offset:         64
        .size:           4
        .value_kind:     by_value
      - .offset:         68
        .size:           1
        .value_kind:     by_value
    .group_segment_fixed_size: 0
    .kernarg_segment_align: 8
    .kernarg_segment_size: 72
    .language:       OpenCL C
    .language_version:
      - 2
      - 0
    .max_flat_workgroup_size: 128
    .name:           _ZN9rocsparseL19gebsrmvn_2xn_kernelILj128ELj6ELj16E21rocsparse_complex_numIfEEEvi20rocsparse_direction_NS_24const_host_device_scalarIT2_EEPKiS8_PKS5_SA_S6_PS5_21rocsparse_index_base_b
    .private_segment_fixed_size: 0
    .sgpr_count:     20
    .sgpr_spill_count: 0
    .symbol:         _ZN9rocsparseL19gebsrmvn_2xn_kernelILj128ELj6ELj16E21rocsparse_complex_numIfEEEvi20rocsparse_direction_NS_24const_host_device_scalarIT2_EEPKiS8_PKS5_SA_S6_PS5_21rocsparse_index_base_b.kd
    .uniform_work_group_size: 1
    .uses_dynamic_stack: false
    .vgpr_count:     41
    .vgpr_spill_count: 0
    .wavefront_size: 64
  - .args:
      - .offset:         0
        .size:           4
        .value_kind:     by_value
      - .offset:         4
        .size:           4
        .value_kind:     by_value
      - .offset:         8
        .size:           8
        .value_kind:     by_value
      - .actual_access:  read_only
        .address_space:  global
        .offset:         16
        .size:           8
        .value_kind:     global_buffer
      - .actual_access:  read_only
        .address_space:  global
        .offset:         24
        .size:           8
        .value_kind:     global_buffer
      - .actual_access:  read_only
        .address_space:  global
        .offset:         32
        .size:           8
        .value_kind:     global_buffer
      - .actual_access:  read_only
        .address_space:  global
        .offset:         40
        .size:           8
        .value_kind:     global_buffer
      - .offset:         48
        .size:           8
        .value_kind:     by_value
      - .address_space:  global
        .offset:         56
        .size:           8
        .value_kind:     global_buffer
      - .offset:         64
        .size:           4
        .value_kind:     by_value
      - .offset:         68
        .size:           1
        .value_kind:     by_value
    .group_segment_fixed_size: 0
    .kernarg_segment_align: 8
    .kernarg_segment_size: 72
    .language:       OpenCL C
    .language_version:
      - 2
      - 0
    .max_flat_workgroup_size: 128
    .name:           _ZN9rocsparseL19gebsrmvn_2xn_kernelILj128ELj6ELj32E21rocsparse_complex_numIfEEEvi20rocsparse_direction_NS_24const_host_device_scalarIT2_EEPKiS8_PKS5_SA_S6_PS5_21rocsparse_index_base_b
    .private_segment_fixed_size: 0
    .sgpr_count:     20
    .sgpr_spill_count: 0
    .symbol:         _ZN9rocsparseL19gebsrmvn_2xn_kernelILj128ELj6ELj32E21rocsparse_complex_numIfEEEvi20rocsparse_direction_NS_24const_host_device_scalarIT2_EEPKiS8_PKS5_SA_S6_PS5_21rocsparse_index_base_b.kd
    .uniform_work_group_size: 1
    .uses_dynamic_stack: false
    .vgpr_count:     41
    .vgpr_spill_count: 0
    .wavefront_size: 64
  - .args:
      - .offset:         0
        .size:           4
        .value_kind:     by_value
      - .offset:         4
        .size:           4
        .value_kind:     by_value
      - .offset:         8
        .size:           8
        .value_kind:     by_value
      - .actual_access:  read_only
        .address_space:  global
        .offset:         16
        .size:           8
        .value_kind:     global_buffer
      - .actual_access:  read_only
        .address_space:  global
        .offset:         24
        .size:           8
        .value_kind:     global_buffer
      - .actual_access:  read_only
        .address_space:  global
        .offset:         32
        .size:           8
        .value_kind:     global_buffer
      - .actual_access:  read_only
        .address_space:  global
        .offset:         40
        .size:           8
        .value_kind:     global_buffer
      - .offset:         48
        .size:           8
        .value_kind:     by_value
      - .address_space:  global
        .offset:         56
        .size:           8
        .value_kind:     global_buffer
      - .offset:         64
        .size:           4
        .value_kind:     by_value
      - .offset:         68
        .size:           1
        .value_kind:     by_value
    .group_segment_fixed_size: 0
    .kernarg_segment_align: 8
    .kernarg_segment_size: 72
    .language:       OpenCL C
    .language_version:
      - 2
      - 0
    .max_flat_workgroup_size: 128
    .name:           _ZN9rocsparseL19gebsrmvn_2xn_kernelILj128ELj6ELj64E21rocsparse_complex_numIfEEEvi20rocsparse_direction_NS_24const_host_device_scalarIT2_EEPKiS8_PKS5_SA_S6_PS5_21rocsparse_index_base_b
    .private_segment_fixed_size: 0
    .sgpr_count:     20
    .sgpr_spill_count: 0
    .symbol:         _ZN9rocsparseL19gebsrmvn_2xn_kernelILj128ELj6ELj64E21rocsparse_complex_numIfEEEvi20rocsparse_direction_NS_24const_host_device_scalarIT2_EEPKiS8_PKS5_SA_S6_PS5_21rocsparse_index_base_b.kd
    .uniform_work_group_size: 1
    .uses_dynamic_stack: false
    .vgpr_count:     41
    .vgpr_spill_count: 0
    .wavefront_size: 64
  - .args:
      - .offset:         0
        .size:           4
        .value_kind:     by_value
      - .offset:         4
        .size:           4
        .value_kind:     by_value
      - .offset:         8
        .size:           8
        .value_kind:     by_value
      - .actual_access:  read_only
        .address_space:  global
        .offset:         16
        .size:           8
        .value_kind:     global_buffer
      - .actual_access:  read_only
        .address_space:  global
        .offset:         24
        .size:           8
        .value_kind:     global_buffer
      - .actual_access:  read_only
        .address_space:  global
        .offset:         32
        .size:           8
        .value_kind:     global_buffer
      - .actual_access:  read_only
        .address_space:  global
        .offset:         40
        .size:           8
        .value_kind:     global_buffer
      - .offset:         48
        .size:           8
        .value_kind:     by_value
      - .address_space:  global
        .offset:         56
        .size:           8
        .value_kind:     global_buffer
      - .offset:         64
        .size:           4
        .value_kind:     by_value
      - .offset:         68
        .size:           1
        .value_kind:     by_value
    .group_segment_fixed_size: 0
    .kernarg_segment_align: 8
    .kernarg_segment_size: 72
    .language:       OpenCL C
    .language_version:
      - 2
      - 0
    .max_flat_workgroup_size: 128
    .name:           _ZN9rocsparseL19gebsrmvn_2xn_kernelILj128ELj7ELj4E21rocsparse_complex_numIfEEEvi20rocsparse_direction_NS_24const_host_device_scalarIT2_EEPKiS8_PKS5_SA_S6_PS5_21rocsparse_index_base_b
    .private_segment_fixed_size: 0
    .sgpr_count:     20
    .sgpr_spill_count: 0
    .symbol:         _ZN9rocsparseL19gebsrmvn_2xn_kernelILj128ELj7ELj4E21rocsparse_complex_numIfEEEvi20rocsparse_direction_NS_24const_host_device_scalarIT2_EEPKiS8_PKS5_SA_S6_PS5_21rocsparse_index_base_b.kd
    .uniform_work_group_size: 1
    .uses_dynamic_stack: false
    .vgpr_count:     38
    .vgpr_spill_count: 0
    .wavefront_size: 64
  - .args:
      - .offset:         0
        .size:           4
        .value_kind:     by_value
      - .offset:         4
        .size:           4
        .value_kind:     by_value
      - .offset:         8
        .size:           8
        .value_kind:     by_value
      - .actual_access:  read_only
        .address_space:  global
        .offset:         16
        .size:           8
        .value_kind:     global_buffer
      - .actual_access:  read_only
        .address_space:  global
        .offset:         24
        .size:           8
        .value_kind:     global_buffer
      - .actual_access:  read_only
        .address_space:  global
        .offset:         32
        .size:           8
        .value_kind:     global_buffer
      - .actual_access:  read_only
        .address_space:  global
        .offset:         40
        .size:           8
        .value_kind:     global_buffer
      - .offset:         48
        .size:           8
        .value_kind:     by_value
      - .address_space:  global
        .offset:         56
        .size:           8
        .value_kind:     global_buffer
      - .offset:         64
        .size:           4
        .value_kind:     by_value
      - .offset:         68
        .size:           1
        .value_kind:     by_value
    .group_segment_fixed_size: 0
    .kernarg_segment_align: 8
    .kernarg_segment_size: 72
    .language:       OpenCL C
    .language_version:
      - 2
      - 0
    .max_flat_workgroup_size: 128
    .name:           _ZN9rocsparseL19gebsrmvn_2xn_kernelILj128ELj7ELj8E21rocsparse_complex_numIfEEEvi20rocsparse_direction_NS_24const_host_device_scalarIT2_EEPKiS8_PKS5_SA_S6_PS5_21rocsparse_index_base_b
    .private_segment_fixed_size: 0
    .sgpr_count:     20
    .sgpr_spill_count: 0
    .symbol:         _ZN9rocsparseL19gebsrmvn_2xn_kernelILj128ELj7ELj8E21rocsparse_complex_numIfEEEvi20rocsparse_direction_NS_24const_host_device_scalarIT2_EEPKiS8_PKS5_SA_S6_PS5_21rocsparse_index_base_b.kd
    .uniform_work_group_size: 1
    .uses_dynamic_stack: false
    .vgpr_count:     38
    .vgpr_spill_count: 0
    .wavefront_size: 64
  - .args:
      - .offset:         0
        .size:           4
        .value_kind:     by_value
      - .offset:         4
        .size:           4
        .value_kind:     by_value
      - .offset:         8
        .size:           8
        .value_kind:     by_value
      - .actual_access:  read_only
        .address_space:  global
        .offset:         16
        .size:           8
        .value_kind:     global_buffer
      - .actual_access:  read_only
        .address_space:  global
        .offset:         24
        .size:           8
        .value_kind:     global_buffer
      - .actual_access:  read_only
        .address_space:  global
        .offset:         32
        .size:           8
        .value_kind:     global_buffer
      - .actual_access:  read_only
        .address_space:  global
        .offset:         40
        .size:           8
        .value_kind:     global_buffer
      - .offset:         48
        .size:           8
        .value_kind:     by_value
      - .address_space:  global
        .offset:         56
        .size:           8
        .value_kind:     global_buffer
      - .offset:         64
        .size:           4
        .value_kind:     by_value
      - .offset:         68
        .size:           1
        .value_kind:     by_value
    .group_segment_fixed_size: 0
    .kernarg_segment_align: 8
    .kernarg_segment_size: 72
    .language:       OpenCL C
    .language_version:
      - 2
      - 0
    .max_flat_workgroup_size: 128
    .name:           _ZN9rocsparseL19gebsrmvn_2xn_kernelILj128ELj7ELj16E21rocsparse_complex_numIfEEEvi20rocsparse_direction_NS_24const_host_device_scalarIT2_EEPKiS8_PKS5_SA_S6_PS5_21rocsparse_index_base_b
    .private_segment_fixed_size: 0
    .sgpr_count:     20
    .sgpr_spill_count: 0
    .symbol:         _ZN9rocsparseL19gebsrmvn_2xn_kernelILj128ELj7ELj16E21rocsparse_complex_numIfEEEvi20rocsparse_direction_NS_24const_host_device_scalarIT2_EEPKiS8_PKS5_SA_S6_PS5_21rocsparse_index_base_b.kd
    .uniform_work_group_size: 1
    .uses_dynamic_stack: false
    .vgpr_count:     38
    .vgpr_spill_count: 0
    .wavefront_size: 64
  - .args:
      - .offset:         0
        .size:           4
        .value_kind:     by_value
      - .offset:         4
        .size:           4
        .value_kind:     by_value
      - .offset:         8
        .size:           8
        .value_kind:     by_value
      - .actual_access:  read_only
        .address_space:  global
        .offset:         16
        .size:           8
        .value_kind:     global_buffer
      - .actual_access:  read_only
        .address_space:  global
        .offset:         24
        .size:           8
        .value_kind:     global_buffer
      - .actual_access:  read_only
        .address_space:  global
        .offset:         32
        .size:           8
        .value_kind:     global_buffer
      - .actual_access:  read_only
        .address_space:  global
        .offset:         40
        .size:           8
        .value_kind:     global_buffer
      - .offset:         48
        .size:           8
        .value_kind:     by_value
      - .address_space:  global
        .offset:         56
        .size:           8
        .value_kind:     global_buffer
      - .offset:         64
        .size:           4
        .value_kind:     by_value
      - .offset:         68
        .size:           1
        .value_kind:     by_value
    .group_segment_fixed_size: 0
    .kernarg_segment_align: 8
    .kernarg_segment_size: 72
    .language:       OpenCL C
    .language_version:
      - 2
      - 0
    .max_flat_workgroup_size: 128
    .name:           _ZN9rocsparseL19gebsrmvn_2xn_kernelILj128ELj7ELj32E21rocsparse_complex_numIfEEEvi20rocsparse_direction_NS_24const_host_device_scalarIT2_EEPKiS8_PKS5_SA_S6_PS5_21rocsparse_index_base_b
    .private_segment_fixed_size: 0
    .sgpr_count:     20
    .sgpr_spill_count: 0
    .symbol:         _ZN9rocsparseL19gebsrmvn_2xn_kernelILj128ELj7ELj32E21rocsparse_complex_numIfEEEvi20rocsparse_direction_NS_24const_host_device_scalarIT2_EEPKiS8_PKS5_SA_S6_PS5_21rocsparse_index_base_b.kd
    .uniform_work_group_size: 1
    .uses_dynamic_stack: false
    .vgpr_count:     38
    .vgpr_spill_count: 0
    .wavefront_size: 64
  - .args:
      - .offset:         0
        .size:           4
        .value_kind:     by_value
      - .offset:         4
        .size:           4
        .value_kind:     by_value
      - .offset:         8
        .size:           8
        .value_kind:     by_value
      - .actual_access:  read_only
        .address_space:  global
        .offset:         16
        .size:           8
        .value_kind:     global_buffer
      - .actual_access:  read_only
        .address_space:  global
        .offset:         24
        .size:           8
        .value_kind:     global_buffer
      - .actual_access:  read_only
        .address_space:  global
        .offset:         32
        .size:           8
        .value_kind:     global_buffer
      - .actual_access:  read_only
        .address_space:  global
        .offset:         40
        .size:           8
        .value_kind:     global_buffer
      - .offset:         48
        .size:           8
        .value_kind:     by_value
      - .address_space:  global
        .offset:         56
        .size:           8
        .value_kind:     global_buffer
      - .offset:         64
        .size:           4
        .value_kind:     by_value
      - .offset:         68
        .size:           1
        .value_kind:     by_value
    .group_segment_fixed_size: 0
    .kernarg_segment_align: 8
    .kernarg_segment_size: 72
    .language:       OpenCL C
    .language_version:
      - 2
      - 0
    .max_flat_workgroup_size: 128
    .name:           _ZN9rocsparseL19gebsrmvn_2xn_kernelILj128ELj7ELj64E21rocsparse_complex_numIfEEEvi20rocsparse_direction_NS_24const_host_device_scalarIT2_EEPKiS8_PKS5_SA_S6_PS5_21rocsparse_index_base_b
    .private_segment_fixed_size: 0
    .sgpr_count:     20
    .sgpr_spill_count: 0
    .symbol:         _ZN9rocsparseL19gebsrmvn_2xn_kernelILj128ELj7ELj64E21rocsparse_complex_numIfEEEvi20rocsparse_direction_NS_24const_host_device_scalarIT2_EEPKiS8_PKS5_SA_S6_PS5_21rocsparse_index_base_b.kd
    .uniform_work_group_size: 1
    .uses_dynamic_stack: false
    .vgpr_count:     38
    .vgpr_spill_count: 0
    .wavefront_size: 64
  - .args:
      - .offset:         0
        .size:           4
        .value_kind:     by_value
      - .offset:         4
        .size:           4
        .value_kind:     by_value
      - .offset:         8
        .size:           8
        .value_kind:     by_value
      - .actual_access:  read_only
        .address_space:  global
        .offset:         16
        .size:           8
        .value_kind:     global_buffer
      - .actual_access:  read_only
        .address_space:  global
        .offset:         24
        .size:           8
        .value_kind:     global_buffer
      - .actual_access:  read_only
        .address_space:  global
        .offset:         32
        .size:           8
        .value_kind:     global_buffer
      - .actual_access:  read_only
        .address_space:  global
        .offset:         40
        .size:           8
        .value_kind:     global_buffer
      - .offset:         48
        .size:           8
        .value_kind:     by_value
      - .address_space:  global
        .offset:         56
        .size:           8
        .value_kind:     global_buffer
      - .offset:         64
        .size:           4
        .value_kind:     by_value
      - .offset:         68
        .size:           1
        .value_kind:     by_value
    .group_segment_fixed_size: 0
    .kernarg_segment_align: 8
    .kernarg_segment_size: 72
    .language:       OpenCL C
    .language_version:
      - 2
      - 0
    .max_flat_workgroup_size: 128
    .name:           _ZN9rocsparseL19gebsrmvn_2xn_kernelILj128ELj8ELj4E21rocsparse_complex_numIfEEEvi20rocsparse_direction_NS_24const_host_device_scalarIT2_EEPKiS8_PKS5_SA_S6_PS5_21rocsparse_index_base_b
    .private_segment_fixed_size: 0
    .sgpr_count:     20
    .sgpr_spill_count: 0
    .symbol:         _ZN9rocsparseL19gebsrmvn_2xn_kernelILj128ELj8ELj4E21rocsparse_complex_numIfEEEvi20rocsparse_direction_NS_24const_host_device_scalarIT2_EEPKiS8_PKS5_SA_S6_PS5_21rocsparse_index_base_b.kd
    .uniform_work_group_size: 1
    .uses_dynamic_stack: false
    .vgpr_count:     55
    .vgpr_spill_count: 0
    .wavefront_size: 64
  - .args:
      - .offset:         0
        .size:           4
        .value_kind:     by_value
      - .offset:         4
        .size:           4
        .value_kind:     by_value
      - .offset:         8
        .size:           8
        .value_kind:     by_value
      - .actual_access:  read_only
        .address_space:  global
        .offset:         16
        .size:           8
        .value_kind:     global_buffer
      - .actual_access:  read_only
        .address_space:  global
        .offset:         24
        .size:           8
        .value_kind:     global_buffer
      - .actual_access:  read_only
        .address_space:  global
        .offset:         32
        .size:           8
        .value_kind:     global_buffer
      - .actual_access:  read_only
        .address_space:  global
        .offset:         40
        .size:           8
        .value_kind:     global_buffer
      - .offset:         48
        .size:           8
        .value_kind:     by_value
      - .address_space:  global
        .offset:         56
        .size:           8
        .value_kind:     global_buffer
      - .offset:         64
        .size:           4
        .value_kind:     by_value
      - .offset:         68
        .size:           1
        .value_kind:     by_value
    .group_segment_fixed_size: 0
    .kernarg_segment_align: 8
    .kernarg_segment_size: 72
    .language:       OpenCL C
    .language_version:
      - 2
      - 0
    .max_flat_workgroup_size: 128
    .name:           _ZN9rocsparseL19gebsrmvn_2xn_kernelILj128ELj8ELj8E21rocsparse_complex_numIfEEEvi20rocsparse_direction_NS_24const_host_device_scalarIT2_EEPKiS8_PKS5_SA_S6_PS5_21rocsparse_index_base_b
    .private_segment_fixed_size: 0
    .sgpr_count:     20
    .sgpr_spill_count: 0
    .symbol:         _ZN9rocsparseL19gebsrmvn_2xn_kernelILj128ELj8ELj8E21rocsparse_complex_numIfEEEvi20rocsparse_direction_NS_24const_host_device_scalarIT2_EEPKiS8_PKS5_SA_S6_PS5_21rocsparse_index_base_b.kd
    .uniform_work_group_size: 1
    .uses_dynamic_stack: false
    .vgpr_count:     55
    .vgpr_spill_count: 0
    .wavefront_size: 64
  - .args:
      - .offset:         0
        .size:           4
        .value_kind:     by_value
      - .offset:         4
        .size:           4
        .value_kind:     by_value
      - .offset:         8
        .size:           8
        .value_kind:     by_value
      - .actual_access:  read_only
        .address_space:  global
        .offset:         16
        .size:           8
        .value_kind:     global_buffer
      - .actual_access:  read_only
        .address_space:  global
        .offset:         24
        .size:           8
        .value_kind:     global_buffer
      - .actual_access:  read_only
        .address_space:  global
        .offset:         32
        .size:           8
        .value_kind:     global_buffer
      - .actual_access:  read_only
        .address_space:  global
        .offset:         40
        .size:           8
        .value_kind:     global_buffer
      - .offset:         48
        .size:           8
        .value_kind:     by_value
      - .address_space:  global
        .offset:         56
        .size:           8
        .value_kind:     global_buffer
      - .offset:         64
        .size:           4
        .value_kind:     by_value
      - .offset:         68
        .size:           1
        .value_kind:     by_value
    .group_segment_fixed_size: 0
    .kernarg_segment_align: 8
    .kernarg_segment_size: 72
    .language:       OpenCL C
    .language_version:
      - 2
      - 0
    .max_flat_workgroup_size: 128
    .name:           _ZN9rocsparseL19gebsrmvn_2xn_kernelILj128ELj8ELj16E21rocsparse_complex_numIfEEEvi20rocsparse_direction_NS_24const_host_device_scalarIT2_EEPKiS8_PKS5_SA_S6_PS5_21rocsparse_index_base_b
    .private_segment_fixed_size: 0
    .sgpr_count:     20
    .sgpr_spill_count: 0
    .symbol:         _ZN9rocsparseL19gebsrmvn_2xn_kernelILj128ELj8ELj16E21rocsparse_complex_numIfEEEvi20rocsparse_direction_NS_24const_host_device_scalarIT2_EEPKiS8_PKS5_SA_S6_PS5_21rocsparse_index_base_b.kd
    .uniform_work_group_size: 1
    .uses_dynamic_stack: false
    .vgpr_count:     55
    .vgpr_spill_count: 0
    .wavefront_size: 64
  - .args:
      - .offset:         0
        .size:           4
        .value_kind:     by_value
      - .offset:         4
        .size:           4
        .value_kind:     by_value
      - .offset:         8
        .size:           8
        .value_kind:     by_value
      - .actual_access:  read_only
        .address_space:  global
        .offset:         16
        .size:           8
        .value_kind:     global_buffer
      - .actual_access:  read_only
        .address_space:  global
        .offset:         24
        .size:           8
        .value_kind:     global_buffer
      - .actual_access:  read_only
        .address_space:  global
        .offset:         32
        .size:           8
        .value_kind:     global_buffer
      - .actual_access:  read_only
        .address_space:  global
        .offset:         40
        .size:           8
        .value_kind:     global_buffer
      - .offset:         48
        .size:           8
        .value_kind:     by_value
      - .address_space:  global
        .offset:         56
        .size:           8
        .value_kind:     global_buffer
      - .offset:         64
        .size:           4
        .value_kind:     by_value
      - .offset:         68
        .size:           1
        .value_kind:     by_value
    .group_segment_fixed_size: 0
    .kernarg_segment_align: 8
    .kernarg_segment_size: 72
    .language:       OpenCL C
    .language_version:
      - 2
      - 0
    .max_flat_workgroup_size: 128
    .name:           _ZN9rocsparseL19gebsrmvn_2xn_kernelILj128ELj8ELj32E21rocsparse_complex_numIfEEEvi20rocsparse_direction_NS_24const_host_device_scalarIT2_EEPKiS8_PKS5_SA_S6_PS5_21rocsparse_index_base_b
    .private_segment_fixed_size: 0
    .sgpr_count:     20
    .sgpr_spill_count: 0
    .symbol:         _ZN9rocsparseL19gebsrmvn_2xn_kernelILj128ELj8ELj32E21rocsparse_complex_numIfEEEvi20rocsparse_direction_NS_24const_host_device_scalarIT2_EEPKiS8_PKS5_SA_S6_PS5_21rocsparse_index_base_b.kd
    .uniform_work_group_size: 1
    .uses_dynamic_stack: false
    .vgpr_count:     55
    .vgpr_spill_count: 0
    .wavefront_size: 64
  - .args:
      - .offset:         0
        .size:           4
        .value_kind:     by_value
      - .offset:         4
        .size:           4
        .value_kind:     by_value
      - .offset:         8
        .size:           8
        .value_kind:     by_value
      - .actual_access:  read_only
        .address_space:  global
        .offset:         16
        .size:           8
        .value_kind:     global_buffer
      - .actual_access:  read_only
        .address_space:  global
        .offset:         24
        .size:           8
        .value_kind:     global_buffer
      - .actual_access:  read_only
        .address_space:  global
        .offset:         32
        .size:           8
        .value_kind:     global_buffer
      - .actual_access:  read_only
        .address_space:  global
        .offset:         40
        .size:           8
        .value_kind:     global_buffer
      - .offset:         48
        .size:           8
        .value_kind:     by_value
      - .address_space:  global
        .offset:         56
        .size:           8
        .value_kind:     global_buffer
      - .offset:         64
        .size:           4
        .value_kind:     by_value
      - .offset:         68
        .size:           1
        .value_kind:     by_value
    .group_segment_fixed_size: 0
    .kernarg_segment_align: 8
    .kernarg_segment_size: 72
    .language:       OpenCL C
    .language_version:
      - 2
      - 0
    .max_flat_workgroup_size: 128
    .name:           _ZN9rocsparseL19gebsrmvn_2xn_kernelILj128ELj8ELj64E21rocsparse_complex_numIfEEEvi20rocsparse_direction_NS_24const_host_device_scalarIT2_EEPKiS8_PKS5_SA_S6_PS5_21rocsparse_index_base_b
    .private_segment_fixed_size: 0
    .sgpr_count:     20
    .sgpr_spill_count: 0
    .symbol:         _ZN9rocsparseL19gebsrmvn_2xn_kernelILj128ELj8ELj64E21rocsparse_complex_numIfEEEvi20rocsparse_direction_NS_24const_host_device_scalarIT2_EEPKiS8_PKS5_SA_S6_PS5_21rocsparse_index_base_b.kd
    .uniform_work_group_size: 1
    .uses_dynamic_stack: false
    .vgpr_count:     55
    .vgpr_spill_count: 0
    .wavefront_size: 64
  - .args:
      - .offset:         0
        .size:           4
        .value_kind:     by_value
      - .offset:         4
        .size:           4
        .value_kind:     by_value
      - .offset:         8
        .size:           8
        .value_kind:     by_value
      - .actual_access:  read_only
        .address_space:  global
        .offset:         16
        .size:           8
        .value_kind:     global_buffer
      - .actual_access:  read_only
        .address_space:  global
        .offset:         24
        .size:           8
        .value_kind:     global_buffer
      - .actual_access:  read_only
        .address_space:  global
        .offset:         32
        .size:           8
        .value_kind:     global_buffer
      - .actual_access:  read_only
        .address_space:  global
        .offset:         40
        .size:           8
        .value_kind:     global_buffer
      - .offset:         48
        .size:           8
        .value_kind:     by_value
      - .address_space:  global
        .offset:         56
        .size:           8
        .value_kind:     global_buffer
      - .offset:         64
        .size:           4
        .value_kind:     by_value
      - .offset:         68
        .size:           1
        .value_kind:     by_value
    .group_segment_fixed_size: 0
    .kernarg_segment_align: 8
    .kernarg_segment_size: 72
    .language:       OpenCL C
    .language_version:
      - 2
      - 0
    .max_flat_workgroup_size: 128
    .name:           _ZN9rocsparseL19gebsrmvn_2xn_kernelILj128ELj9ELj4E21rocsparse_complex_numIfEEEvi20rocsparse_direction_NS_24const_host_device_scalarIT2_EEPKiS8_PKS5_SA_S6_PS5_21rocsparse_index_base_b
    .private_segment_fixed_size: 0
    .sgpr_count:     20
    .sgpr_spill_count: 0
    .symbol:         _ZN9rocsparseL19gebsrmvn_2xn_kernelILj128ELj9ELj4E21rocsparse_complex_numIfEEEvi20rocsparse_direction_NS_24const_host_device_scalarIT2_EEPKiS8_PKS5_SA_S6_PS5_21rocsparse_index_base_b.kd
    .uniform_work_group_size: 1
    .uses_dynamic_stack: false
    .vgpr_count:     38
    .vgpr_spill_count: 0
    .wavefront_size: 64
  - .args:
      - .offset:         0
        .size:           4
        .value_kind:     by_value
      - .offset:         4
        .size:           4
        .value_kind:     by_value
      - .offset:         8
        .size:           8
        .value_kind:     by_value
      - .actual_access:  read_only
        .address_space:  global
        .offset:         16
        .size:           8
        .value_kind:     global_buffer
      - .actual_access:  read_only
        .address_space:  global
        .offset:         24
        .size:           8
        .value_kind:     global_buffer
      - .actual_access:  read_only
        .address_space:  global
        .offset:         32
        .size:           8
        .value_kind:     global_buffer
      - .actual_access:  read_only
        .address_space:  global
        .offset:         40
        .size:           8
        .value_kind:     global_buffer
      - .offset:         48
        .size:           8
        .value_kind:     by_value
      - .address_space:  global
        .offset:         56
        .size:           8
        .value_kind:     global_buffer
      - .offset:         64
        .size:           4
        .value_kind:     by_value
      - .offset:         68
        .size:           1
        .value_kind:     by_value
    .group_segment_fixed_size: 0
    .kernarg_segment_align: 8
    .kernarg_segment_size: 72
    .language:       OpenCL C
    .language_version:
      - 2
      - 0
    .max_flat_workgroup_size: 128
    .name:           _ZN9rocsparseL19gebsrmvn_2xn_kernelILj128ELj9ELj8E21rocsparse_complex_numIfEEEvi20rocsparse_direction_NS_24const_host_device_scalarIT2_EEPKiS8_PKS5_SA_S6_PS5_21rocsparse_index_base_b
    .private_segment_fixed_size: 0
    .sgpr_count:     20
    .sgpr_spill_count: 0
    .symbol:         _ZN9rocsparseL19gebsrmvn_2xn_kernelILj128ELj9ELj8E21rocsparse_complex_numIfEEEvi20rocsparse_direction_NS_24const_host_device_scalarIT2_EEPKiS8_PKS5_SA_S6_PS5_21rocsparse_index_base_b.kd
    .uniform_work_group_size: 1
    .uses_dynamic_stack: false
    .vgpr_count:     38
    .vgpr_spill_count: 0
    .wavefront_size: 64
  - .args:
      - .offset:         0
        .size:           4
        .value_kind:     by_value
      - .offset:         4
        .size:           4
        .value_kind:     by_value
      - .offset:         8
        .size:           8
        .value_kind:     by_value
      - .actual_access:  read_only
        .address_space:  global
        .offset:         16
        .size:           8
        .value_kind:     global_buffer
      - .actual_access:  read_only
        .address_space:  global
        .offset:         24
        .size:           8
        .value_kind:     global_buffer
      - .actual_access:  read_only
        .address_space:  global
        .offset:         32
        .size:           8
        .value_kind:     global_buffer
      - .actual_access:  read_only
        .address_space:  global
        .offset:         40
        .size:           8
        .value_kind:     global_buffer
      - .offset:         48
        .size:           8
        .value_kind:     by_value
      - .address_space:  global
        .offset:         56
        .size:           8
        .value_kind:     global_buffer
      - .offset:         64
        .size:           4
        .value_kind:     by_value
      - .offset:         68
        .size:           1
        .value_kind:     by_value
    .group_segment_fixed_size: 0
    .kernarg_segment_align: 8
    .kernarg_segment_size: 72
    .language:       OpenCL C
    .language_version:
      - 2
      - 0
    .max_flat_workgroup_size: 128
    .name:           _ZN9rocsparseL19gebsrmvn_2xn_kernelILj128ELj9ELj16E21rocsparse_complex_numIfEEEvi20rocsparse_direction_NS_24const_host_device_scalarIT2_EEPKiS8_PKS5_SA_S6_PS5_21rocsparse_index_base_b
    .private_segment_fixed_size: 0
    .sgpr_count:     20
    .sgpr_spill_count: 0
    .symbol:         _ZN9rocsparseL19gebsrmvn_2xn_kernelILj128ELj9ELj16E21rocsparse_complex_numIfEEEvi20rocsparse_direction_NS_24const_host_device_scalarIT2_EEPKiS8_PKS5_SA_S6_PS5_21rocsparse_index_base_b.kd
    .uniform_work_group_size: 1
    .uses_dynamic_stack: false
    .vgpr_count:     38
    .vgpr_spill_count: 0
    .wavefront_size: 64
  - .args:
      - .offset:         0
        .size:           4
        .value_kind:     by_value
      - .offset:         4
        .size:           4
        .value_kind:     by_value
      - .offset:         8
        .size:           8
        .value_kind:     by_value
      - .actual_access:  read_only
        .address_space:  global
        .offset:         16
        .size:           8
        .value_kind:     global_buffer
      - .actual_access:  read_only
        .address_space:  global
        .offset:         24
        .size:           8
        .value_kind:     global_buffer
      - .actual_access:  read_only
        .address_space:  global
        .offset:         32
        .size:           8
        .value_kind:     global_buffer
      - .actual_access:  read_only
        .address_space:  global
        .offset:         40
        .size:           8
        .value_kind:     global_buffer
      - .offset:         48
        .size:           8
        .value_kind:     by_value
      - .address_space:  global
        .offset:         56
        .size:           8
        .value_kind:     global_buffer
      - .offset:         64
        .size:           4
        .value_kind:     by_value
      - .offset:         68
        .size:           1
        .value_kind:     by_value
    .group_segment_fixed_size: 0
    .kernarg_segment_align: 8
    .kernarg_segment_size: 72
    .language:       OpenCL C
    .language_version:
      - 2
      - 0
    .max_flat_workgroup_size: 128
    .name:           _ZN9rocsparseL19gebsrmvn_2xn_kernelILj128ELj9ELj32E21rocsparse_complex_numIfEEEvi20rocsparse_direction_NS_24const_host_device_scalarIT2_EEPKiS8_PKS5_SA_S6_PS5_21rocsparse_index_base_b
    .private_segment_fixed_size: 0
    .sgpr_count:     20
    .sgpr_spill_count: 0
    .symbol:         _ZN9rocsparseL19gebsrmvn_2xn_kernelILj128ELj9ELj32E21rocsparse_complex_numIfEEEvi20rocsparse_direction_NS_24const_host_device_scalarIT2_EEPKiS8_PKS5_SA_S6_PS5_21rocsparse_index_base_b.kd
    .uniform_work_group_size: 1
    .uses_dynamic_stack: false
    .vgpr_count:     38
    .vgpr_spill_count: 0
    .wavefront_size: 64
  - .args:
      - .offset:         0
        .size:           4
        .value_kind:     by_value
      - .offset:         4
        .size:           4
        .value_kind:     by_value
      - .offset:         8
        .size:           8
        .value_kind:     by_value
      - .actual_access:  read_only
        .address_space:  global
        .offset:         16
        .size:           8
        .value_kind:     global_buffer
      - .actual_access:  read_only
        .address_space:  global
        .offset:         24
        .size:           8
        .value_kind:     global_buffer
      - .actual_access:  read_only
        .address_space:  global
        .offset:         32
        .size:           8
        .value_kind:     global_buffer
      - .actual_access:  read_only
        .address_space:  global
        .offset:         40
        .size:           8
        .value_kind:     global_buffer
      - .offset:         48
        .size:           8
        .value_kind:     by_value
      - .address_space:  global
        .offset:         56
        .size:           8
        .value_kind:     global_buffer
      - .offset:         64
        .size:           4
        .value_kind:     by_value
      - .offset:         68
        .size:           1
        .value_kind:     by_value
    .group_segment_fixed_size: 0
    .kernarg_segment_align: 8
    .kernarg_segment_size: 72
    .language:       OpenCL C
    .language_version:
      - 2
      - 0
    .max_flat_workgroup_size: 128
    .name:           _ZN9rocsparseL19gebsrmvn_2xn_kernelILj128ELj9ELj64E21rocsparse_complex_numIfEEEvi20rocsparse_direction_NS_24const_host_device_scalarIT2_EEPKiS8_PKS5_SA_S6_PS5_21rocsparse_index_base_b
    .private_segment_fixed_size: 0
    .sgpr_count:     20
    .sgpr_spill_count: 0
    .symbol:         _ZN9rocsparseL19gebsrmvn_2xn_kernelILj128ELj9ELj64E21rocsparse_complex_numIfEEEvi20rocsparse_direction_NS_24const_host_device_scalarIT2_EEPKiS8_PKS5_SA_S6_PS5_21rocsparse_index_base_b.kd
    .uniform_work_group_size: 1
    .uses_dynamic_stack: false
    .vgpr_count:     38
    .vgpr_spill_count: 0
    .wavefront_size: 64
  - .args:
      - .offset:         0
        .size:           4
        .value_kind:     by_value
      - .offset:         4
        .size:           4
        .value_kind:     by_value
      - .offset:         8
        .size:           8
        .value_kind:     by_value
      - .actual_access:  read_only
        .address_space:  global
        .offset:         16
        .size:           8
        .value_kind:     global_buffer
      - .actual_access:  read_only
        .address_space:  global
        .offset:         24
        .size:           8
        .value_kind:     global_buffer
      - .actual_access:  read_only
        .address_space:  global
        .offset:         32
        .size:           8
        .value_kind:     global_buffer
      - .actual_access:  read_only
        .address_space:  global
        .offset:         40
        .size:           8
        .value_kind:     global_buffer
      - .offset:         48
        .size:           8
        .value_kind:     by_value
      - .address_space:  global
        .offset:         56
        .size:           8
        .value_kind:     global_buffer
      - .offset:         64
        .size:           4
        .value_kind:     by_value
      - .offset:         68
        .size:           1
        .value_kind:     by_value
    .group_segment_fixed_size: 0
    .kernarg_segment_align: 8
    .kernarg_segment_size: 72
    .language:       OpenCL C
    .language_version:
      - 2
      - 0
    .max_flat_workgroup_size: 128
    .name:           _ZN9rocsparseL19gebsrmvn_2xn_kernelILj128ELj10ELj4E21rocsparse_complex_numIfEEEvi20rocsparse_direction_NS_24const_host_device_scalarIT2_EEPKiS8_PKS5_SA_S6_PS5_21rocsparse_index_base_b
    .private_segment_fixed_size: 0
    .sgpr_count:     20
    .sgpr_spill_count: 0
    .symbol:         _ZN9rocsparseL19gebsrmvn_2xn_kernelILj128ELj10ELj4E21rocsparse_complex_numIfEEEvi20rocsparse_direction_NS_24const_host_device_scalarIT2_EEPKiS8_PKS5_SA_S6_PS5_21rocsparse_index_base_b.kd
    .uniform_work_group_size: 1
    .uses_dynamic_stack: false
    .vgpr_count:     51
    .vgpr_spill_count: 0
    .wavefront_size: 64
  - .args:
      - .offset:         0
        .size:           4
        .value_kind:     by_value
      - .offset:         4
        .size:           4
        .value_kind:     by_value
      - .offset:         8
        .size:           8
        .value_kind:     by_value
      - .actual_access:  read_only
        .address_space:  global
        .offset:         16
        .size:           8
        .value_kind:     global_buffer
      - .actual_access:  read_only
        .address_space:  global
        .offset:         24
        .size:           8
        .value_kind:     global_buffer
      - .actual_access:  read_only
        .address_space:  global
        .offset:         32
        .size:           8
        .value_kind:     global_buffer
      - .actual_access:  read_only
        .address_space:  global
        .offset:         40
        .size:           8
        .value_kind:     global_buffer
      - .offset:         48
        .size:           8
        .value_kind:     by_value
      - .address_space:  global
        .offset:         56
        .size:           8
        .value_kind:     global_buffer
      - .offset:         64
        .size:           4
        .value_kind:     by_value
      - .offset:         68
        .size:           1
        .value_kind:     by_value
    .group_segment_fixed_size: 0
    .kernarg_segment_align: 8
    .kernarg_segment_size: 72
    .language:       OpenCL C
    .language_version:
      - 2
      - 0
    .max_flat_workgroup_size: 128
    .name:           _ZN9rocsparseL19gebsrmvn_2xn_kernelILj128ELj10ELj8E21rocsparse_complex_numIfEEEvi20rocsparse_direction_NS_24const_host_device_scalarIT2_EEPKiS8_PKS5_SA_S6_PS5_21rocsparse_index_base_b
    .private_segment_fixed_size: 0
    .sgpr_count:     20
    .sgpr_spill_count: 0
    .symbol:         _ZN9rocsparseL19gebsrmvn_2xn_kernelILj128ELj10ELj8E21rocsparse_complex_numIfEEEvi20rocsparse_direction_NS_24const_host_device_scalarIT2_EEPKiS8_PKS5_SA_S6_PS5_21rocsparse_index_base_b.kd
    .uniform_work_group_size: 1
    .uses_dynamic_stack: false
    .vgpr_count:     51
    .vgpr_spill_count: 0
    .wavefront_size: 64
  - .args:
      - .offset:         0
        .size:           4
        .value_kind:     by_value
      - .offset:         4
        .size:           4
        .value_kind:     by_value
      - .offset:         8
        .size:           8
        .value_kind:     by_value
      - .actual_access:  read_only
        .address_space:  global
        .offset:         16
        .size:           8
        .value_kind:     global_buffer
      - .actual_access:  read_only
        .address_space:  global
        .offset:         24
        .size:           8
        .value_kind:     global_buffer
      - .actual_access:  read_only
        .address_space:  global
        .offset:         32
        .size:           8
        .value_kind:     global_buffer
      - .actual_access:  read_only
        .address_space:  global
        .offset:         40
        .size:           8
        .value_kind:     global_buffer
      - .offset:         48
        .size:           8
        .value_kind:     by_value
      - .address_space:  global
        .offset:         56
        .size:           8
        .value_kind:     global_buffer
      - .offset:         64
        .size:           4
        .value_kind:     by_value
      - .offset:         68
        .size:           1
        .value_kind:     by_value
    .group_segment_fixed_size: 0
    .kernarg_segment_align: 8
    .kernarg_segment_size: 72
    .language:       OpenCL C
    .language_version:
      - 2
      - 0
    .max_flat_workgroup_size: 128
    .name:           _ZN9rocsparseL19gebsrmvn_2xn_kernelILj128ELj10ELj16E21rocsparse_complex_numIfEEEvi20rocsparse_direction_NS_24const_host_device_scalarIT2_EEPKiS8_PKS5_SA_S6_PS5_21rocsparse_index_base_b
    .private_segment_fixed_size: 0
    .sgpr_count:     20
    .sgpr_spill_count: 0
    .symbol:         _ZN9rocsparseL19gebsrmvn_2xn_kernelILj128ELj10ELj16E21rocsparse_complex_numIfEEEvi20rocsparse_direction_NS_24const_host_device_scalarIT2_EEPKiS8_PKS5_SA_S6_PS5_21rocsparse_index_base_b.kd
    .uniform_work_group_size: 1
    .uses_dynamic_stack: false
    .vgpr_count:     51
    .vgpr_spill_count: 0
    .wavefront_size: 64
  - .args:
      - .offset:         0
        .size:           4
        .value_kind:     by_value
      - .offset:         4
        .size:           4
        .value_kind:     by_value
      - .offset:         8
        .size:           8
        .value_kind:     by_value
      - .actual_access:  read_only
        .address_space:  global
        .offset:         16
        .size:           8
        .value_kind:     global_buffer
      - .actual_access:  read_only
        .address_space:  global
        .offset:         24
        .size:           8
        .value_kind:     global_buffer
      - .actual_access:  read_only
        .address_space:  global
        .offset:         32
        .size:           8
        .value_kind:     global_buffer
      - .actual_access:  read_only
        .address_space:  global
        .offset:         40
        .size:           8
        .value_kind:     global_buffer
      - .offset:         48
        .size:           8
        .value_kind:     by_value
      - .address_space:  global
        .offset:         56
        .size:           8
        .value_kind:     global_buffer
      - .offset:         64
        .size:           4
        .value_kind:     by_value
      - .offset:         68
        .size:           1
        .value_kind:     by_value
    .group_segment_fixed_size: 0
    .kernarg_segment_align: 8
    .kernarg_segment_size: 72
    .language:       OpenCL C
    .language_version:
      - 2
      - 0
    .max_flat_workgroup_size: 128
    .name:           _ZN9rocsparseL19gebsrmvn_2xn_kernelILj128ELj10ELj32E21rocsparse_complex_numIfEEEvi20rocsparse_direction_NS_24const_host_device_scalarIT2_EEPKiS8_PKS5_SA_S6_PS5_21rocsparse_index_base_b
    .private_segment_fixed_size: 0
    .sgpr_count:     20
    .sgpr_spill_count: 0
    .symbol:         _ZN9rocsparseL19gebsrmvn_2xn_kernelILj128ELj10ELj32E21rocsparse_complex_numIfEEEvi20rocsparse_direction_NS_24const_host_device_scalarIT2_EEPKiS8_PKS5_SA_S6_PS5_21rocsparse_index_base_b.kd
    .uniform_work_group_size: 1
    .uses_dynamic_stack: false
    .vgpr_count:     51
    .vgpr_spill_count: 0
    .wavefront_size: 64
  - .args:
      - .offset:         0
        .size:           4
        .value_kind:     by_value
      - .offset:         4
        .size:           4
        .value_kind:     by_value
      - .offset:         8
        .size:           8
        .value_kind:     by_value
      - .actual_access:  read_only
        .address_space:  global
        .offset:         16
        .size:           8
        .value_kind:     global_buffer
      - .actual_access:  read_only
        .address_space:  global
        .offset:         24
        .size:           8
        .value_kind:     global_buffer
      - .actual_access:  read_only
        .address_space:  global
        .offset:         32
        .size:           8
        .value_kind:     global_buffer
      - .actual_access:  read_only
        .address_space:  global
        .offset:         40
        .size:           8
        .value_kind:     global_buffer
      - .offset:         48
        .size:           8
        .value_kind:     by_value
      - .address_space:  global
        .offset:         56
        .size:           8
        .value_kind:     global_buffer
      - .offset:         64
        .size:           4
        .value_kind:     by_value
      - .offset:         68
        .size:           1
        .value_kind:     by_value
    .group_segment_fixed_size: 0
    .kernarg_segment_align: 8
    .kernarg_segment_size: 72
    .language:       OpenCL C
    .language_version:
      - 2
      - 0
    .max_flat_workgroup_size: 128
    .name:           _ZN9rocsparseL19gebsrmvn_2xn_kernelILj128ELj10ELj64E21rocsparse_complex_numIfEEEvi20rocsparse_direction_NS_24const_host_device_scalarIT2_EEPKiS8_PKS5_SA_S6_PS5_21rocsparse_index_base_b
    .private_segment_fixed_size: 0
    .sgpr_count:     20
    .sgpr_spill_count: 0
    .symbol:         _ZN9rocsparseL19gebsrmvn_2xn_kernelILj128ELj10ELj64E21rocsparse_complex_numIfEEEvi20rocsparse_direction_NS_24const_host_device_scalarIT2_EEPKiS8_PKS5_SA_S6_PS5_21rocsparse_index_base_b.kd
    .uniform_work_group_size: 1
    .uses_dynamic_stack: false
    .vgpr_count:     51
    .vgpr_spill_count: 0
    .wavefront_size: 64
  - .args:
      - .offset:         0
        .size:           4
        .value_kind:     by_value
      - .offset:         4
        .size:           4
        .value_kind:     by_value
      - .offset:         8
        .size:           8
        .value_kind:     by_value
      - .actual_access:  read_only
        .address_space:  global
        .offset:         16
        .size:           8
        .value_kind:     global_buffer
      - .actual_access:  read_only
        .address_space:  global
        .offset:         24
        .size:           8
        .value_kind:     global_buffer
      - .actual_access:  read_only
        .address_space:  global
        .offset:         32
        .size:           8
        .value_kind:     global_buffer
      - .actual_access:  read_only
        .address_space:  global
        .offset:         40
        .size:           8
        .value_kind:     global_buffer
      - .offset:         48
        .size:           8
        .value_kind:     by_value
      - .address_space:  global
        .offset:         56
        .size:           8
        .value_kind:     global_buffer
      - .offset:         64
        .size:           4
        .value_kind:     by_value
      - .offset:         68
        .size:           1
        .value_kind:     by_value
    .group_segment_fixed_size: 0
    .kernarg_segment_align: 8
    .kernarg_segment_size: 72
    .language:       OpenCL C
    .language_version:
      - 2
      - 0
    .max_flat_workgroup_size: 128
    .name:           _ZN9rocsparseL19gebsrmvn_2xn_kernelILj128ELj11ELj4E21rocsparse_complex_numIfEEEvi20rocsparse_direction_NS_24const_host_device_scalarIT2_EEPKiS8_PKS5_SA_S6_PS5_21rocsparse_index_base_b
    .private_segment_fixed_size: 0
    .sgpr_count:     20
    .sgpr_spill_count: 0
    .symbol:         _ZN9rocsparseL19gebsrmvn_2xn_kernelILj128ELj11ELj4E21rocsparse_complex_numIfEEEvi20rocsparse_direction_NS_24const_host_device_scalarIT2_EEPKiS8_PKS5_SA_S6_PS5_21rocsparse_index_base_b.kd
    .uniform_work_group_size: 1
    .uses_dynamic_stack: false
    .vgpr_count:     38
    .vgpr_spill_count: 0
    .wavefront_size: 64
  - .args:
      - .offset:         0
        .size:           4
        .value_kind:     by_value
      - .offset:         4
        .size:           4
        .value_kind:     by_value
      - .offset:         8
        .size:           8
        .value_kind:     by_value
      - .actual_access:  read_only
        .address_space:  global
        .offset:         16
        .size:           8
        .value_kind:     global_buffer
      - .actual_access:  read_only
        .address_space:  global
        .offset:         24
        .size:           8
        .value_kind:     global_buffer
      - .actual_access:  read_only
        .address_space:  global
        .offset:         32
        .size:           8
        .value_kind:     global_buffer
      - .actual_access:  read_only
        .address_space:  global
        .offset:         40
        .size:           8
        .value_kind:     global_buffer
      - .offset:         48
        .size:           8
        .value_kind:     by_value
      - .address_space:  global
        .offset:         56
        .size:           8
        .value_kind:     global_buffer
      - .offset:         64
        .size:           4
        .value_kind:     by_value
      - .offset:         68
        .size:           1
        .value_kind:     by_value
    .group_segment_fixed_size: 0
    .kernarg_segment_align: 8
    .kernarg_segment_size: 72
    .language:       OpenCL C
    .language_version:
      - 2
      - 0
    .max_flat_workgroup_size: 128
    .name:           _ZN9rocsparseL19gebsrmvn_2xn_kernelILj128ELj11ELj8E21rocsparse_complex_numIfEEEvi20rocsparse_direction_NS_24const_host_device_scalarIT2_EEPKiS8_PKS5_SA_S6_PS5_21rocsparse_index_base_b
    .private_segment_fixed_size: 0
    .sgpr_count:     20
    .sgpr_spill_count: 0
    .symbol:         _ZN9rocsparseL19gebsrmvn_2xn_kernelILj128ELj11ELj8E21rocsparse_complex_numIfEEEvi20rocsparse_direction_NS_24const_host_device_scalarIT2_EEPKiS8_PKS5_SA_S6_PS5_21rocsparse_index_base_b.kd
    .uniform_work_group_size: 1
    .uses_dynamic_stack: false
    .vgpr_count:     38
    .vgpr_spill_count: 0
    .wavefront_size: 64
  - .args:
      - .offset:         0
        .size:           4
        .value_kind:     by_value
      - .offset:         4
        .size:           4
        .value_kind:     by_value
      - .offset:         8
        .size:           8
        .value_kind:     by_value
      - .actual_access:  read_only
        .address_space:  global
        .offset:         16
        .size:           8
        .value_kind:     global_buffer
      - .actual_access:  read_only
        .address_space:  global
        .offset:         24
        .size:           8
        .value_kind:     global_buffer
      - .actual_access:  read_only
        .address_space:  global
        .offset:         32
        .size:           8
        .value_kind:     global_buffer
      - .actual_access:  read_only
        .address_space:  global
        .offset:         40
        .size:           8
        .value_kind:     global_buffer
      - .offset:         48
        .size:           8
        .value_kind:     by_value
      - .address_space:  global
        .offset:         56
        .size:           8
        .value_kind:     global_buffer
      - .offset:         64
        .size:           4
        .value_kind:     by_value
      - .offset:         68
        .size:           1
        .value_kind:     by_value
    .group_segment_fixed_size: 0
    .kernarg_segment_align: 8
    .kernarg_segment_size: 72
    .language:       OpenCL C
    .language_version:
      - 2
      - 0
    .max_flat_workgroup_size: 128
    .name:           _ZN9rocsparseL19gebsrmvn_2xn_kernelILj128ELj11ELj16E21rocsparse_complex_numIfEEEvi20rocsparse_direction_NS_24const_host_device_scalarIT2_EEPKiS8_PKS5_SA_S6_PS5_21rocsparse_index_base_b
    .private_segment_fixed_size: 0
    .sgpr_count:     20
    .sgpr_spill_count: 0
    .symbol:         _ZN9rocsparseL19gebsrmvn_2xn_kernelILj128ELj11ELj16E21rocsparse_complex_numIfEEEvi20rocsparse_direction_NS_24const_host_device_scalarIT2_EEPKiS8_PKS5_SA_S6_PS5_21rocsparse_index_base_b.kd
    .uniform_work_group_size: 1
    .uses_dynamic_stack: false
    .vgpr_count:     38
    .vgpr_spill_count: 0
    .wavefront_size: 64
  - .args:
      - .offset:         0
        .size:           4
        .value_kind:     by_value
      - .offset:         4
        .size:           4
        .value_kind:     by_value
      - .offset:         8
        .size:           8
        .value_kind:     by_value
      - .actual_access:  read_only
        .address_space:  global
        .offset:         16
        .size:           8
        .value_kind:     global_buffer
      - .actual_access:  read_only
        .address_space:  global
        .offset:         24
        .size:           8
        .value_kind:     global_buffer
      - .actual_access:  read_only
        .address_space:  global
        .offset:         32
        .size:           8
        .value_kind:     global_buffer
      - .actual_access:  read_only
        .address_space:  global
        .offset:         40
        .size:           8
        .value_kind:     global_buffer
      - .offset:         48
        .size:           8
        .value_kind:     by_value
      - .address_space:  global
        .offset:         56
        .size:           8
        .value_kind:     global_buffer
      - .offset:         64
        .size:           4
        .value_kind:     by_value
      - .offset:         68
        .size:           1
        .value_kind:     by_value
    .group_segment_fixed_size: 0
    .kernarg_segment_align: 8
    .kernarg_segment_size: 72
    .language:       OpenCL C
    .language_version:
      - 2
      - 0
    .max_flat_workgroup_size: 128
    .name:           _ZN9rocsparseL19gebsrmvn_2xn_kernelILj128ELj11ELj32E21rocsparse_complex_numIfEEEvi20rocsparse_direction_NS_24const_host_device_scalarIT2_EEPKiS8_PKS5_SA_S6_PS5_21rocsparse_index_base_b
    .private_segment_fixed_size: 0
    .sgpr_count:     20
    .sgpr_spill_count: 0
    .symbol:         _ZN9rocsparseL19gebsrmvn_2xn_kernelILj128ELj11ELj32E21rocsparse_complex_numIfEEEvi20rocsparse_direction_NS_24const_host_device_scalarIT2_EEPKiS8_PKS5_SA_S6_PS5_21rocsparse_index_base_b.kd
    .uniform_work_group_size: 1
    .uses_dynamic_stack: false
    .vgpr_count:     38
    .vgpr_spill_count: 0
    .wavefront_size: 64
  - .args:
      - .offset:         0
        .size:           4
        .value_kind:     by_value
      - .offset:         4
        .size:           4
        .value_kind:     by_value
      - .offset:         8
        .size:           8
        .value_kind:     by_value
      - .actual_access:  read_only
        .address_space:  global
        .offset:         16
        .size:           8
        .value_kind:     global_buffer
      - .actual_access:  read_only
        .address_space:  global
        .offset:         24
        .size:           8
        .value_kind:     global_buffer
      - .actual_access:  read_only
        .address_space:  global
        .offset:         32
        .size:           8
        .value_kind:     global_buffer
      - .actual_access:  read_only
        .address_space:  global
        .offset:         40
        .size:           8
        .value_kind:     global_buffer
      - .offset:         48
        .size:           8
        .value_kind:     by_value
      - .address_space:  global
        .offset:         56
        .size:           8
        .value_kind:     global_buffer
      - .offset:         64
        .size:           4
        .value_kind:     by_value
      - .offset:         68
        .size:           1
        .value_kind:     by_value
    .group_segment_fixed_size: 0
    .kernarg_segment_align: 8
    .kernarg_segment_size: 72
    .language:       OpenCL C
    .language_version:
      - 2
      - 0
    .max_flat_workgroup_size: 128
    .name:           _ZN9rocsparseL19gebsrmvn_2xn_kernelILj128ELj11ELj64E21rocsparse_complex_numIfEEEvi20rocsparse_direction_NS_24const_host_device_scalarIT2_EEPKiS8_PKS5_SA_S6_PS5_21rocsparse_index_base_b
    .private_segment_fixed_size: 0
    .sgpr_count:     20
    .sgpr_spill_count: 0
    .symbol:         _ZN9rocsparseL19gebsrmvn_2xn_kernelILj128ELj11ELj64E21rocsparse_complex_numIfEEEvi20rocsparse_direction_NS_24const_host_device_scalarIT2_EEPKiS8_PKS5_SA_S6_PS5_21rocsparse_index_base_b.kd
    .uniform_work_group_size: 1
    .uses_dynamic_stack: false
    .vgpr_count:     38
    .vgpr_spill_count: 0
    .wavefront_size: 64
  - .args:
      - .offset:         0
        .size:           4
        .value_kind:     by_value
      - .offset:         4
        .size:           4
        .value_kind:     by_value
      - .offset:         8
        .size:           8
        .value_kind:     by_value
      - .actual_access:  read_only
        .address_space:  global
        .offset:         16
        .size:           8
        .value_kind:     global_buffer
      - .actual_access:  read_only
        .address_space:  global
        .offset:         24
        .size:           8
        .value_kind:     global_buffer
      - .actual_access:  read_only
        .address_space:  global
        .offset:         32
        .size:           8
        .value_kind:     global_buffer
      - .actual_access:  read_only
        .address_space:  global
        .offset:         40
        .size:           8
        .value_kind:     global_buffer
      - .offset:         48
        .size:           8
        .value_kind:     by_value
      - .address_space:  global
        .offset:         56
        .size:           8
        .value_kind:     global_buffer
      - .offset:         64
        .size:           4
        .value_kind:     by_value
      - .offset:         68
        .size:           1
        .value_kind:     by_value
    .group_segment_fixed_size: 0
    .kernarg_segment_align: 8
    .kernarg_segment_size: 72
    .language:       OpenCL C
    .language_version:
      - 2
      - 0
    .max_flat_workgroup_size: 128
    .name:           _ZN9rocsparseL19gebsrmvn_2xn_kernelILj128ELj12ELj4E21rocsparse_complex_numIfEEEvi20rocsparse_direction_NS_24const_host_device_scalarIT2_EEPKiS8_PKS5_SA_S6_PS5_21rocsparse_index_base_b
    .private_segment_fixed_size: 0
    .sgpr_count:     20
    .sgpr_spill_count: 0
    .symbol:         _ZN9rocsparseL19gebsrmvn_2xn_kernelILj128ELj12ELj4E21rocsparse_complex_numIfEEEvi20rocsparse_direction_NS_24const_host_device_scalarIT2_EEPKiS8_PKS5_SA_S6_PS5_21rocsparse_index_base_b.kd
    .uniform_work_group_size: 1
    .uses_dynamic_stack: false
    .vgpr_count:     52
    .vgpr_spill_count: 0
    .wavefront_size: 64
  - .args:
      - .offset:         0
        .size:           4
        .value_kind:     by_value
      - .offset:         4
        .size:           4
        .value_kind:     by_value
      - .offset:         8
        .size:           8
        .value_kind:     by_value
      - .actual_access:  read_only
        .address_space:  global
        .offset:         16
        .size:           8
        .value_kind:     global_buffer
      - .actual_access:  read_only
        .address_space:  global
        .offset:         24
        .size:           8
        .value_kind:     global_buffer
      - .actual_access:  read_only
        .address_space:  global
        .offset:         32
        .size:           8
        .value_kind:     global_buffer
      - .actual_access:  read_only
        .address_space:  global
        .offset:         40
        .size:           8
        .value_kind:     global_buffer
      - .offset:         48
        .size:           8
        .value_kind:     by_value
      - .address_space:  global
        .offset:         56
        .size:           8
        .value_kind:     global_buffer
      - .offset:         64
        .size:           4
        .value_kind:     by_value
      - .offset:         68
        .size:           1
        .value_kind:     by_value
    .group_segment_fixed_size: 0
    .kernarg_segment_align: 8
    .kernarg_segment_size: 72
    .language:       OpenCL C
    .language_version:
      - 2
      - 0
    .max_flat_workgroup_size: 128
    .name:           _ZN9rocsparseL19gebsrmvn_2xn_kernelILj128ELj12ELj8E21rocsparse_complex_numIfEEEvi20rocsparse_direction_NS_24const_host_device_scalarIT2_EEPKiS8_PKS5_SA_S6_PS5_21rocsparse_index_base_b
    .private_segment_fixed_size: 0
    .sgpr_count:     20
    .sgpr_spill_count: 0
    .symbol:         _ZN9rocsparseL19gebsrmvn_2xn_kernelILj128ELj12ELj8E21rocsparse_complex_numIfEEEvi20rocsparse_direction_NS_24const_host_device_scalarIT2_EEPKiS8_PKS5_SA_S6_PS5_21rocsparse_index_base_b.kd
    .uniform_work_group_size: 1
    .uses_dynamic_stack: false
    .vgpr_count:     52
    .vgpr_spill_count: 0
    .wavefront_size: 64
  - .args:
      - .offset:         0
        .size:           4
        .value_kind:     by_value
      - .offset:         4
        .size:           4
        .value_kind:     by_value
      - .offset:         8
        .size:           8
        .value_kind:     by_value
      - .actual_access:  read_only
        .address_space:  global
        .offset:         16
        .size:           8
        .value_kind:     global_buffer
      - .actual_access:  read_only
        .address_space:  global
        .offset:         24
        .size:           8
        .value_kind:     global_buffer
      - .actual_access:  read_only
        .address_space:  global
        .offset:         32
        .size:           8
        .value_kind:     global_buffer
      - .actual_access:  read_only
        .address_space:  global
        .offset:         40
        .size:           8
        .value_kind:     global_buffer
      - .offset:         48
        .size:           8
        .value_kind:     by_value
      - .address_space:  global
        .offset:         56
        .size:           8
        .value_kind:     global_buffer
      - .offset:         64
        .size:           4
        .value_kind:     by_value
      - .offset:         68
        .size:           1
        .value_kind:     by_value
    .group_segment_fixed_size: 0
    .kernarg_segment_align: 8
    .kernarg_segment_size: 72
    .language:       OpenCL C
    .language_version:
      - 2
      - 0
    .max_flat_workgroup_size: 128
    .name:           _ZN9rocsparseL19gebsrmvn_2xn_kernelILj128ELj12ELj16E21rocsparse_complex_numIfEEEvi20rocsparse_direction_NS_24const_host_device_scalarIT2_EEPKiS8_PKS5_SA_S6_PS5_21rocsparse_index_base_b
    .private_segment_fixed_size: 0
    .sgpr_count:     20
    .sgpr_spill_count: 0
    .symbol:         _ZN9rocsparseL19gebsrmvn_2xn_kernelILj128ELj12ELj16E21rocsparse_complex_numIfEEEvi20rocsparse_direction_NS_24const_host_device_scalarIT2_EEPKiS8_PKS5_SA_S6_PS5_21rocsparse_index_base_b.kd
    .uniform_work_group_size: 1
    .uses_dynamic_stack: false
    .vgpr_count:     52
    .vgpr_spill_count: 0
    .wavefront_size: 64
  - .args:
      - .offset:         0
        .size:           4
        .value_kind:     by_value
      - .offset:         4
        .size:           4
        .value_kind:     by_value
      - .offset:         8
        .size:           8
        .value_kind:     by_value
      - .actual_access:  read_only
        .address_space:  global
        .offset:         16
        .size:           8
        .value_kind:     global_buffer
      - .actual_access:  read_only
        .address_space:  global
        .offset:         24
        .size:           8
        .value_kind:     global_buffer
      - .actual_access:  read_only
        .address_space:  global
        .offset:         32
        .size:           8
        .value_kind:     global_buffer
      - .actual_access:  read_only
        .address_space:  global
        .offset:         40
        .size:           8
        .value_kind:     global_buffer
      - .offset:         48
        .size:           8
        .value_kind:     by_value
      - .address_space:  global
        .offset:         56
        .size:           8
        .value_kind:     global_buffer
      - .offset:         64
        .size:           4
        .value_kind:     by_value
      - .offset:         68
        .size:           1
        .value_kind:     by_value
    .group_segment_fixed_size: 0
    .kernarg_segment_align: 8
    .kernarg_segment_size: 72
    .language:       OpenCL C
    .language_version:
      - 2
      - 0
    .max_flat_workgroup_size: 128
    .name:           _ZN9rocsparseL19gebsrmvn_2xn_kernelILj128ELj12ELj32E21rocsparse_complex_numIfEEEvi20rocsparse_direction_NS_24const_host_device_scalarIT2_EEPKiS8_PKS5_SA_S6_PS5_21rocsparse_index_base_b
    .private_segment_fixed_size: 0
    .sgpr_count:     20
    .sgpr_spill_count: 0
    .symbol:         _ZN9rocsparseL19gebsrmvn_2xn_kernelILj128ELj12ELj32E21rocsparse_complex_numIfEEEvi20rocsparse_direction_NS_24const_host_device_scalarIT2_EEPKiS8_PKS5_SA_S6_PS5_21rocsparse_index_base_b.kd
    .uniform_work_group_size: 1
    .uses_dynamic_stack: false
    .vgpr_count:     52
    .vgpr_spill_count: 0
    .wavefront_size: 64
  - .args:
      - .offset:         0
        .size:           4
        .value_kind:     by_value
      - .offset:         4
        .size:           4
        .value_kind:     by_value
      - .offset:         8
        .size:           8
        .value_kind:     by_value
      - .actual_access:  read_only
        .address_space:  global
        .offset:         16
        .size:           8
        .value_kind:     global_buffer
      - .actual_access:  read_only
        .address_space:  global
        .offset:         24
        .size:           8
        .value_kind:     global_buffer
      - .actual_access:  read_only
        .address_space:  global
        .offset:         32
        .size:           8
        .value_kind:     global_buffer
      - .actual_access:  read_only
        .address_space:  global
        .offset:         40
        .size:           8
        .value_kind:     global_buffer
      - .offset:         48
        .size:           8
        .value_kind:     by_value
      - .address_space:  global
        .offset:         56
        .size:           8
        .value_kind:     global_buffer
      - .offset:         64
        .size:           4
        .value_kind:     by_value
      - .offset:         68
        .size:           1
        .value_kind:     by_value
    .group_segment_fixed_size: 0
    .kernarg_segment_align: 8
    .kernarg_segment_size: 72
    .language:       OpenCL C
    .language_version:
      - 2
      - 0
    .max_flat_workgroup_size: 128
    .name:           _ZN9rocsparseL19gebsrmvn_2xn_kernelILj128ELj12ELj64E21rocsparse_complex_numIfEEEvi20rocsparse_direction_NS_24const_host_device_scalarIT2_EEPKiS8_PKS5_SA_S6_PS5_21rocsparse_index_base_b
    .private_segment_fixed_size: 0
    .sgpr_count:     20
    .sgpr_spill_count: 0
    .symbol:         _ZN9rocsparseL19gebsrmvn_2xn_kernelILj128ELj12ELj64E21rocsparse_complex_numIfEEEvi20rocsparse_direction_NS_24const_host_device_scalarIT2_EEPKiS8_PKS5_SA_S6_PS5_21rocsparse_index_base_b.kd
    .uniform_work_group_size: 1
    .uses_dynamic_stack: false
    .vgpr_count:     52
    .vgpr_spill_count: 0
    .wavefront_size: 64
  - .args:
      - .offset:         0
        .size:           4
        .value_kind:     by_value
      - .offset:         4
        .size:           4
        .value_kind:     by_value
      - .offset:         8
        .size:           8
        .value_kind:     by_value
      - .actual_access:  read_only
        .address_space:  global
        .offset:         16
        .size:           8
        .value_kind:     global_buffer
      - .actual_access:  read_only
        .address_space:  global
        .offset:         24
        .size:           8
        .value_kind:     global_buffer
      - .actual_access:  read_only
        .address_space:  global
        .offset:         32
        .size:           8
        .value_kind:     global_buffer
      - .actual_access:  read_only
        .address_space:  global
        .offset:         40
        .size:           8
        .value_kind:     global_buffer
      - .offset:         48
        .size:           8
        .value_kind:     by_value
      - .address_space:  global
        .offset:         56
        .size:           8
        .value_kind:     global_buffer
      - .offset:         64
        .size:           4
        .value_kind:     by_value
      - .offset:         68
        .size:           1
        .value_kind:     by_value
    .group_segment_fixed_size: 0
    .kernarg_segment_align: 8
    .kernarg_segment_size: 72
    .language:       OpenCL C
    .language_version:
      - 2
      - 0
    .max_flat_workgroup_size: 128
    .name:           _ZN9rocsparseL19gebsrmvn_2xn_kernelILj128ELj13ELj4E21rocsparse_complex_numIfEEEvi20rocsparse_direction_NS_24const_host_device_scalarIT2_EEPKiS8_PKS5_SA_S6_PS5_21rocsparse_index_base_b
    .private_segment_fixed_size: 0
    .sgpr_count:     20
    .sgpr_spill_count: 0
    .symbol:         _ZN9rocsparseL19gebsrmvn_2xn_kernelILj128ELj13ELj4E21rocsparse_complex_numIfEEEvi20rocsparse_direction_NS_24const_host_device_scalarIT2_EEPKiS8_PKS5_SA_S6_PS5_21rocsparse_index_base_b.kd
    .uniform_work_group_size: 1
    .uses_dynamic_stack: false
    .vgpr_count:     52
    .vgpr_spill_count: 0
    .wavefront_size: 64
  - .args:
      - .offset:         0
        .size:           4
        .value_kind:     by_value
      - .offset:         4
        .size:           4
        .value_kind:     by_value
      - .offset:         8
        .size:           8
        .value_kind:     by_value
      - .actual_access:  read_only
        .address_space:  global
        .offset:         16
        .size:           8
        .value_kind:     global_buffer
      - .actual_access:  read_only
        .address_space:  global
        .offset:         24
        .size:           8
        .value_kind:     global_buffer
      - .actual_access:  read_only
        .address_space:  global
        .offset:         32
        .size:           8
        .value_kind:     global_buffer
      - .actual_access:  read_only
        .address_space:  global
        .offset:         40
        .size:           8
        .value_kind:     global_buffer
      - .offset:         48
        .size:           8
        .value_kind:     by_value
      - .address_space:  global
        .offset:         56
        .size:           8
        .value_kind:     global_buffer
      - .offset:         64
        .size:           4
        .value_kind:     by_value
      - .offset:         68
        .size:           1
        .value_kind:     by_value
    .group_segment_fixed_size: 0
    .kernarg_segment_align: 8
    .kernarg_segment_size: 72
    .language:       OpenCL C
    .language_version:
      - 2
      - 0
    .max_flat_workgroup_size: 128
    .name:           _ZN9rocsparseL19gebsrmvn_2xn_kernelILj128ELj13ELj8E21rocsparse_complex_numIfEEEvi20rocsparse_direction_NS_24const_host_device_scalarIT2_EEPKiS8_PKS5_SA_S6_PS5_21rocsparse_index_base_b
    .private_segment_fixed_size: 0
    .sgpr_count:     20
    .sgpr_spill_count: 0
    .symbol:         _ZN9rocsparseL19gebsrmvn_2xn_kernelILj128ELj13ELj8E21rocsparse_complex_numIfEEEvi20rocsparse_direction_NS_24const_host_device_scalarIT2_EEPKiS8_PKS5_SA_S6_PS5_21rocsparse_index_base_b.kd
    .uniform_work_group_size: 1
    .uses_dynamic_stack: false
    .vgpr_count:     52
    .vgpr_spill_count: 0
    .wavefront_size: 64
  - .args:
      - .offset:         0
        .size:           4
        .value_kind:     by_value
      - .offset:         4
        .size:           4
        .value_kind:     by_value
      - .offset:         8
        .size:           8
        .value_kind:     by_value
      - .actual_access:  read_only
        .address_space:  global
        .offset:         16
        .size:           8
        .value_kind:     global_buffer
      - .actual_access:  read_only
        .address_space:  global
        .offset:         24
        .size:           8
        .value_kind:     global_buffer
      - .actual_access:  read_only
        .address_space:  global
        .offset:         32
        .size:           8
        .value_kind:     global_buffer
      - .actual_access:  read_only
        .address_space:  global
        .offset:         40
        .size:           8
        .value_kind:     global_buffer
      - .offset:         48
        .size:           8
        .value_kind:     by_value
      - .address_space:  global
        .offset:         56
        .size:           8
        .value_kind:     global_buffer
      - .offset:         64
        .size:           4
        .value_kind:     by_value
      - .offset:         68
        .size:           1
        .value_kind:     by_value
    .group_segment_fixed_size: 0
    .kernarg_segment_align: 8
    .kernarg_segment_size: 72
    .language:       OpenCL C
    .language_version:
      - 2
      - 0
    .max_flat_workgroup_size: 128
    .name:           _ZN9rocsparseL19gebsrmvn_2xn_kernelILj128ELj13ELj16E21rocsparse_complex_numIfEEEvi20rocsparse_direction_NS_24const_host_device_scalarIT2_EEPKiS8_PKS5_SA_S6_PS5_21rocsparse_index_base_b
    .private_segment_fixed_size: 0
    .sgpr_count:     20
    .sgpr_spill_count: 0
    .symbol:         _ZN9rocsparseL19gebsrmvn_2xn_kernelILj128ELj13ELj16E21rocsparse_complex_numIfEEEvi20rocsparse_direction_NS_24const_host_device_scalarIT2_EEPKiS8_PKS5_SA_S6_PS5_21rocsparse_index_base_b.kd
    .uniform_work_group_size: 1
    .uses_dynamic_stack: false
    .vgpr_count:     52
    .vgpr_spill_count: 0
    .wavefront_size: 64
  - .args:
      - .offset:         0
        .size:           4
        .value_kind:     by_value
      - .offset:         4
        .size:           4
        .value_kind:     by_value
      - .offset:         8
        .size:           8
        .value_kind:     by_value
      - .actual_access:  read_only
        .address_space:  global
        .offset:         16
        .size:           8
        .value_kind:     global_buffer
      - .actual_access:  read_only
        .address_space:  global
        .offset:         24
        .size:           8
        .value_kind:     global_buffer
      - .actual_access:  read_only
        .address_space:  global
        .offset:         32
        .size:           8
        .value_kind:     global_buffer
      - .actual_access:  read_only
        .address_space:  global
        .offset:         40
        .size:           8
        .value_kind:     global_buffer
      - .offset:         48
        .size:           8
        .value_kind:     by_value
      - .address_space:  global
        .offset:         56
        .size:           8
        .value_kind:     global_buffer
      - .offset:         64
        .size:           4
        .value_kind:     by_value
      - .offset:         68
        .size:           1
        .value_kind:     by_value
    .group_segment_fixed_size: 0
    .kernarg_segment_align: 8
    .kernarg_segment_size: 72
    .language:       OpenCL C
    .language_version:
      - 2
      - 0
    .max_flat_workgroup_size: 128
    .name:           _ZN9rocsparseL19gebsrmvn_2xn_kernelILj128ELj13ELj32E21rocsparse_complex_numIfEEEvi20rocsparse_direction_NS_24const_host_device_scalarIT2_EEPKiS8_PKS5_SA_S6_PS5_21rocsparse_index_base_b
    .private_segment_fixed_size: 0
    .sgpr_count:     20
    .sgpr_spill_count: 0
    .symbol:         _ZN9rocsparseL19gebsrmvn_2xn_kernelILj128ELj13ELj32E21rocsparse_complex_numIfEEEvi20rocsparse_direction_NS_24const_host_device_scalarIT2_EEPKiS8_PKS5_SA_S6_PS5_21rocsparse_index_base_b.kd
    .uniform_work_group_size: 1
    .uses_dynamic_stack: false
    .vgpr_count:     52
    .vgpr_spill_count: 0
    .wavefront_size: 64
  - .args:
      - .offset:         0
        .size:           4
        .value_kind:     by_value
      - .offset:         4
        .size:           4
        .value_kind:     by_value
      - .offset:         8
        .size:           8
        .value_kind:     by_value
      - .actual_access:  read_only
        .address_space:  global
        .offset:         16
        .size:           8
        .value_kind:     global_buffer
      - .actual_access:  read_only
        .address_space:  global
        .offset:         24
        .size:           8
        .value_kind:     global_buffer
      - .actual_access:  read_only
        .address_space:  global
        .offset:         32
        .size:           8
        .value_kind:     global_buffer
      - .actual_access:  read_only
        .address_space:  global
        .offset:         40
        .size:           8
        .value_kind:     global_buffer
      - .offset:         48
        .size:           8
        .value_kind:     by_value
      - .address_space:  global
        .offset:         56
        .size:           8
        .value_kind:     global_buffer
      - .offset:         64
        .size:           4
        .value_kind:     by_value
      - .offset:         68
        .size:           1
        .value_kind:     by_value
    .group_segment_fixed_size: 0
    .kernarg_segment_align: 8
    .kernarg_segment_size: 72
    .language:       OpenCL C
    .language_version:
      - 2
      - 0
    .max_flat_workgroup_size: 128
    .name:           _ZN9rocsparseL19gebsrmvn_2xn_kernelILj128ELj13ELj64E21rocsparse_complex_numIfEEEvi20rocsparse_direction_NS_24const_host_device_scalarIT2_EEPKiS8_PKS5_SA_S6_PS5_21rocsparse_index_base_b
    .private_segment_fixed_size: 0
    .sgpr_count:     20
    .sgpr_spill_count: 0
    .symbol:         _ZN9rocsparseL19gebsrmvn_2xn_kernelILj128ELj13ELj64E21rocsparse_complex_numIfEEEvi20rocsparse_direction_NS_24const_host_device_scalarIT2_EEPKiS8_PKS5_SA_S6_PS5_21rocsparse_index_base_b.kd
    .uniform_work_group_size: 1
    .uses_dynamic_stack: false
    .vgpr_count:     52
    .vgpr_spill_count: 0
    .wavefront_size: 64
  - .args:
      - .offset:         0
        .size:           4
        .value_kind:     by_value
      - .offset:         4
        .size:           4
        .value_kind:     by_value
      - .offset:         8
        .size:           8
        .value_kind:     by_value
      - .actual_access:  read_only
        .address_space:  global
        .offset:         16
        .size:           8
        .value_kind:     global_buffer
      - .actual_access:  read_only
        .address_space:  global
        .offset:         24
        .size:           8
        .value_kind:     global_buffer
      - .actual_access:  read_only
        .address_space:  global
        .offset:         32
        .size:           8
        .value_kind:     global_buffer
      - .actual_access:  read_only
        .address_space:  global
        .offset:         40
        .size:           8
        .value_kind:     global_buffer
      - .offset:         48
        .size:           8
        .value_kind:     by_value
      - .address_space:  global
        .offset:         56
        .size:           8
        .value_kind:     global_buffer
      - .offset:         64
        .size:           4
        .value_kind:     by_value
      - .offset:         68
        .size:           1
        .value_kind:     by_value
    .group_segment_fixed_size: 0
    .kernarg_segment_align: 8
    .kernarg_segment_size: 72
    .language:       OpenCL C
    .language_version:
      - 2
      - 0
    .max_flat_workgroup_size: 128
    .name:           _ZN9rocsparseL19gebsrmvn_2xn_kernelILj128ELj14ELj4E21rocsparse_complex_numIfEEEvi20rocsparse_direction_NS_24const_host_device_scalarIT2_EEPKiS8_PKS5_SA_S6_PS5_21rocsparse_index_base_b
    .private_segment_fixed_size: 0
    .sgpr_count:     20
    .sgpr_spill_count: 0
    .symbol:         _ZN9rocsparseL19gebsrmvn_2xn_kernelILj128ELj14ELj4E21rocsparse_complex_numIfEEEvi20rocsparse_direction_NS_24const_host_device_scalarIT2_EEPKiS8_PKS5_SA_S6_PS5_21rocsparse_index_base_b.kd
    .uniform_work_group_size: 1
    .uses_dynamic_stack: false
    .vgpr_count:     37
    .vgpr_spill_count: 0
    .wavefront_size: 64
  - .args:
      - .offset:         0
        .size:           4
        .value_kind:     by_value
      - .offset:         4
        .size:           4
        .value_kind:     by_value
      - .offset:         8
        .size:           8
        .value_kind:     by_value
      - .actual_access:  read_only
        .address_space:  global
        .offset:         16
        .size:           8
        .value_kind:     global_buffer
      - .actual_access:  read_only
        .address_space:  global
        .offset:         24
        .size:           8
        .value_kind:     global_buffer
      - .actual_access:  read_only
        .address_space:  global
        .offset:         32
        .size:           8
        .value_kind:     global_buffer
      - .actual_access:  read_only
        .address_space:  global
        .offset:         40
        .size:           8
        .value_kind:     global_buffer
      - .offset:         48
        .size:           8
        .value_kind:     by_value
      - .address_space:  global
        .offset:         56
        .size:           8
        .value_kind:     global_buffer
      - .offset:         64
        .size:           4
        .value_kind:     by_value
      - .offset:         68
        .size:           1
        .value_kind:     by_value
    .group_segment_fixed_size: 0
    .kernarg_segment_align: 8
    .kernarg_segment_size: 72
    .language:       OpenCL C
    .language_version:
      - 2
      - 0
    .max_flat_workgroup_size: 128
    .name:           _ZN9rocsparseL19gebsrmvn_2xn_kernelILj128ELj14ELj8E21rocsparse_complex_numIfEEEvi20rocsparse_direction_NS_24const_host_device_scalarIT2_EEPKiS8_PKS5_SA_S6_PS5_21rocsparse_index_base_b
    .private_segment_fixed_size: 0
    .sgpr_count:     20
    .sgpr_spill_count: 0
    .symbol:         _ZN9rocsparseL19gebsrmvn_2xn_kernelILj128ELj14ELj8E21rocsparse_complex_numIfEEEvi20rocsparse_direction_NS_24const_host_device_scalarIT2_EEPKiS8_PKS5_SA_S6_PS5_21rocsparse_index_base_b.kd
    .uniform_work_group_size: 1
    .uses_dynamic_stack: false
    .vgpr_count:     37
    .vgpr_spill_count: 0
    .wavefront_size: 64
  - .args:
      - .offset:         0
        .size:           4
        .value_kind:     by_value
      - .offset:         4
        .size:           4
        .value_kind:     by_value
      - .offset:         8
        .size:           8
        .value_kind:     by_value
      - .actual_access:  read_only
        .address_space:  global
        .offset:         16
        .size:           8
        .value_kind:     global_buffer
      - .actual_access:  read_only
        .address_space:  global
        .offset:         24
        .size:           8
        .value_kind:     global_buffer
      - .actual_access:  read_only
        .address_space:  global
        .offset:         32
        .size:           8
        .value_kind:     global_buffer
      - .actual_access:  read_only
        .address_space:  global
        .offset:         40
        .size:           8
        .value_kind:     global_buffer
      - .offset:         48
        .size:           8
        .value_kind:     by_value
      - .address_space:  global
        .offset:         56
        .size:           8
        .value_kind:     global_buffer
      - .offset:         64
        .size:           4
        .value_kind:     by_value
      - .offset:         68
        .size:           1
        .value_kind:     by_value
    .group_segment_fixed_size: 0
    .kernarg_segment_align: 8
    .kernarg_segment_size: 72
    .language:       OpenCL C
    .language_version:
      - 2
      - 0
    .max_flat_workgroup_size: 128
    .name:           _ZN9rocsparseL19gebsrmvn_2xn_kernelILj128ELj14ELj16E21rocsparse_complex_numIfEEEvi20rocsparse_direction_NS_24const_host_device_scalarIT2_EEPKiS8_PKS5_SA_S6_PS5_21rocsparse_index_base_b
    .private_segment_fixed_size: 0
    .sgpr_count:     20
    .sgpr_spill_count: 0
    .symbol:         _ZN9rocsparseL19gebsrmvn_2xn_kernelILj128ELj14ELj16E21rocsparse_complex_numIfEEEvi20rocsparse_direction_NS_24const_host_device_scalarIT2_EEPKiS8_PKS5_SA_S6_PS5_21rocsparse_index_base_b.kd
    .uniform_work_group_size: 1
    .uses_dynamic_stack: false
    .vgpr_count:     37
    .vgpr_spill_count: 0
    .wavefront_size: 64
  - .args:
      - .offset:         0
        .size:           4
        .value_kind:     by_value
      - .offset:         4
        .size:           4
        .value_kind:     by_value
      - .offset:         8
        .size:           8
        .value_kind:     by_value
      - .actual_access:  read_only
        .address_space:  global
        .offset:         16
        .size:           8
        .value_kind:     global_buffer
      - .actual_access:  read_only
        .address_space:  global
        .offset:         24
        .size:           8
        .value_kind:     global_buffer
      - .actual_access:  read_only
        .address_space:  global
        .offset:         32
        .size:           8
        .value_kind:     global_buffer
      - .actual_access:  read_only
        .address_space:  global
        .offset:         40
        .size:           8
        .value_kind:     global_buffer
      - .offset:         48
        .size:           8
        .value_kind:     by_value
      - .address_space:  global
        .offset:         56
        .size:           8
        .value_kind:     global_buffer
      - .offset:         64
        .size:           4
        .value_kind:     by_value
      - .offset:         68
        .size:           1
        .value_kind:     by_value
    .group_segment_fixed_size: 0
    .kernarg_segment_align: 8
    .kernarg_segment_size: 72
    .language:       OpenCL C
    .language_version:
      - 2
      - 0
    .max_flat_workgroup_size: 128
    .name:           _ZN9rocsparseL19gebsrmvn_2xn_kernelILj128ELj14ELj32E21rocsparse_complex_numIfEEEvi20rocsparse_direction_NS_24const_host_device_scalarIT2_EEPKiS8_PKS5_SA_S6_PS5_21rocsparse_index_base_b
    .private_segment_fixed_size: 0
    .sgpr_count:     20
    .sgpr_spill_count: 0
    .symbol:         _ZN9rocsparseL19gebsrmvn_2xn_kernelILj128ELj14ELj32E21rocsparse_complex_numIfEEEvi20rocsparse_direction_NS_24const_host_device_scalarIT2_EEPKiS8_PKS5_SA_S6_PS5_21rocsparse_index_base_b.kd
    .uniform_work_group_size: 1
    .uses_dynamic_stack: false
    .vgpr_count:     37
    .vgpr_spill_count: 0
    .wavefront_size: 64
  - .args:
      - .offset:         0
        .size:           4
        .value_kind:     by_value
      - .offset:         4
        .size:           4
        .value_kind:     by_value
      - .offset:         8
        .size:           8
        .value_kind:     by_value
      - .actual_access:  read_only
        .address_space:  global
        .offset:         16
        .size:           8
        .value_kind:     global_buffer
      - .actual_access:  read_only
        .address_space:  global
        .offset:         24
        .size:           8
        .value_kind:     global_buffer
      - .actual_access:  read_only
        .address_space:  global
        .offset:         32
        .size:           8
        .value_kind:     global_buffer
      - .actual_access:  read_only
        .address_space:  global
        .offset:         40
        .size:           8
        .value_kind:     global_buffer
      - .offset:         48
        .size:           8
        .value_kind:     by_value
      - .address_space:  global
        .offset:         56
        .size:           8
        .value_kind:     global_buffer
      - .offset:         64
        .size:           4
        .value_kind:     by_value
      - .offset:         68
        .size:           1
        .value_kind:     by_value
    .group_segment_fixed_size: 0
    .kernarg_segment_align: 8
    .kernarg_segment_size: 72
    .language:       OpenCL C
    .language_version:
      - 2
      - 0
    .max_flat_workgroup_size: 128
    .name:           _ZN9rocsparseL19gebsrmvn_2xn_kernelILj128ELj14ELj64E21rocsparse_complex_numIfEEEvi20rocsparse_direction_NS_24const_host_device_scalarIT2_EEPKiS8_PKS5_SA_S6_PS5_21rocsparse_index_base_b
    .private_segment_fixed_size: 0
    .sgpr_count:     20
    .sgpr_spill_count: 0
    .symbol:         _ZN9rocsparseL19gebsrmvn_2xn_kernelILj128ELj14ELj64E21rocsparse_complex_numIfEEEvi20rocsparse_direction_NS_24const_host_device_scalarIT2_EEPKiS8_PKS5_SA_S6_PS5_21rocsparse_index_base_b.kd
    .uniform_work_group_size: 1
    .uses_dynamic_stack: false
    .vgpr_count:     37
    .vgpr_spill_count: 0
    .wavefront_size: 64
  - .args:
      - .offset:         0
        .size:           4
        .value_kind:     by_value
      - .offset:         4
        .size:           4
        .value_kind:     by_value
      - .offset:         8
        .size:           8
        .value_kind:     by_value
      - .actual_access:  read_only
        .address_space:  global
        .offset:         16
        .size:           8
        .value_kind:     global_buffer
      - .actual_access:  read_only
        .address_space:  global
        .offset:         24
        .size:           8
        .value_kind:     global_buffer
      - .actual_access:  read_only
        .address_space:  global
        .offset:         32
        .size:           8
        .value_kind:     global_buffer
      - .actual_access:  read_only
        .address_space:  global
        .offset:         40
        .size:           8
        .value_kind:     global_buffer
      - .offset:         48
        .size:           8
        .value_kind:     by_value
      - .address_space:  global
        .offset:         56
        .size:           8
        .value_kind:     global_buffer
      - .offset:         64
        .size:           4
        .value_kind:     by_value
      - .offset:         68
        .size:           1
        .value_kind:     by_value
    .group_segment_fixed_size: 0
    .kernarg_segment_align: 8
    .kernarg_segment_size: 72
    .language:       OpenCL C
    .language_version:
      - 2
      - 0
    .max_flat_workgroup_size: 128
    .name:           _ZN9rocsparseL19gebsrmvn_2xn_kernelILj128ELj15ELj4E21rocsparse_complex_numIfEEEvi20rocsparse_direction_NS_24const_host_device_scalarIT2_EEPKiS8_PKS5_SA_S6_PS5_21rocsparse_index_base_b
    .private_segment_fixed_size: 0
    .sgpr_count:     20
    .sgpr_spill_count: 0
    .symbol:         _ZN9rocsparseL19gebsrmvn_2xn_kernelILj128ELj15ELj4E21rocsparse_complex_numIfEEEvi20rocsparse_direction_NS_24const_host_device_scalarIT2_EEPKiS8_PKS5_SA_S6_PS5_21rocsparse_index_base_b.kd
    .uniform_work_group_size: 1
    .uses_dynamic_stack: false
    .vgpr_count:     66
    .vgpr_spill_count: 0
    .wavefront_size: 64
  - .args:
      - .offset:         0
        .size:           4
        .value_kind:     by_value
      - .offset:         4
        .size:           4
        .value_kind:     by_value
      - .offset:         8
        .size:           8
        .value_kind:     by_value
      - .actual_access:  read_only
        .address_space:  global
        .offset:         16
        .size:           8
        .value_kind:     global_buffer
      - .actual_access:  read_only
        .address_space:  global
        .offset:         24
        .size:           8
        .value_kind:     global_buffer
      - .actual_access:  read_only
        .address_space:  global
        .offset:         32
        .size:           8
        .value_kind:     global_buffer
      - .actual_access:  read_only
        .address_space:  global
        .offset:         40
        .size:           8
        .value_kind:     global_buffer
      - .offset:         48
        .size:           8
        .value_kind:     by_value
      - .address_space:  global
        .offset:         56
        .size:           8
        .value_kind:     global_buffer
      - .offset:         64
        .size:           4
        .value_kind:     by_value
      - .offset:         68
        .size:           1
        .value_kind:     by_value
    .group_segment_fixed_size: 0
    .kernarg_segment_align: 8
    .kernarg_segment_size: 72
    .language:       OpenCL C
    .language_version:
      - 2
      - 0
    .max_flat_workgroup_size: 128
    .name:           _ZN9rocsparseL19gebsrmvn_2xn_kernelILj128ELj15ELj8E21rocsparse_complex_numIfEEEvi20rocsparse_direction_NS_24const_host_device_scalarIT2_EEPKiS8_PKS5_SA_S6_PS5_21rocsparse_index_base_b
    .private_segment_fixed_size: 0
    .sgpr_count:     20
    .sgpr_spill_count: 0
    .symbol:         _ZN9rocsparseL19gebsrmvn_2xn_kernelILj128ELj15ELj8E21rocsparse_complex_numIfEEEvi20rocsparse_direction_NS_24const_host_device_scalarIT2_EEPKiS8_PKS5_SA_S6_PS5_21rocsparse_index_base_b.kd
    .uniform_work_group_size: 1
    .uses_dynamic_stack: false
    .vgpr_count:     66
    .vgpr_spill_count: 0
    .wavefront_size: 64
  - .args:
      - .offset:         0
        .size:           4
        .value_kind:     by_value
      - .offset:         4
        .size:           4
        .value_kind:     by_value
      - .offset:         8
        .size:           8
        .value_kind:     by_value
      - .actual_access:  read_only
        .address_space:  global
        .offset:         16
        .size:           8
        .value_kind:     global_buffer
      - .actual_access:  read_only
        .address_space:  global
        .offset:         24
        .size:           8
        .value_kind:     global_buffer
      - .actual_access:  read_only
        .address_space:  global
        .offset:         32
        .size:           8
        .value_kind:     global_buffer
      - .actual_access:  read_only
        .address_space:  global
        .offset:         40
        .size:           8
        .value_kind:     global_buffer
      - .offset:         48
        .size:           8
        .value_kind:     by_value
      - .address_space:  global
        .offset:         56
        .size:           8
        .value_kind:     global_buffer
      - .offset:         64
        .size:           4
        .value_kind:     by_value
      - .offset:         68
        .size:           1
        .value_kind:     by_value
    .group_segment_fixed_size: 0
    .kernarg_segment_align: 8
    .kernarg_segment_size: 72
    .language:       OpenCL C
    .language_version:
      - 2
      - 0
    .max_flat_workgroup_size: 128
    .name:           _ZN9rocsparseL19gebsrmvn_2xn_kernelILj128ELj15ELj16E21rocsparse_complex_numIfEEEvi20rocsparse_direction_NS_24const_host_device_scalarIT2_EEPKiS8_PKS5_SA_S6_PS5_21rocsparse_index_base_b
    .private_segment_fixed_size: 0
    .sgpr_count:     20
    .sgpr_spill_count: 0
    .symbol:         _ZN9rocsparseL19gebsrmvn_2xn_kernelILj128ELj15ELj16E21rocsparse_complex_numIfEEEvi20rocsparse_direction_NS_24const_host_device_scalarIT2_EEPKiS8_PKS5_SA_S6_PS5_21rocsparse_index_base_b.kd
    .uniform_work_group_size: 1
    .uses_dynamic_stack: false
    .vgpr_count:     66
    .vgpr_spill_count: 0
    .wavefront_size: 64
  - .args:
      - .offset:         0
        .size:           4
        .value_kind:     by_value
      - .offset:         4
        .size:           4
        .value_kind:     by_value
      - .offset:         8
        .size:           8
        .value_kind:     by_value
      - .actual_access:  read_only
        .address_space:  global
        .offset:         16
        .size:           8
        .value_kind:     global_buffer
      - .actual_access:  read_only
        .address_space:  global
        .offset:         24
        .size:           8
        .value_kind:     global_buffer
      - .actual_access:  read_only
        .address_space:  global
        .offset:         32
        .size:           8
        .value_kind:     global_buffer
      - .actual_access:  read_only
        .address_space:  global
        .offset:         40
        .size:           8
        .value_kind:     global_buffer
      - .offset:         48
        .size:           8
        .value_kind:     by_value
      - .address_space:  global
        .offset:         56
        .size:           8
        .value_kind:     global_buffer
      - .offset:         64
        .size:           4
        .value_kind:     by_value
      - .offset:         68
        .size:           1
        .value_kind:     by_value
    .group_segment_fixed_size: 0
    .kernarg_segment_align: 8
    .kernarg_segment_size: 72
    .language:       OpenCL C
    .language_version:
      - 2
      - 0
    .max_flat_workgroup_size: 128
    .name:           _ZN9rocsparseL19gebsrmvn_2xn_kernelILj128ELj15ELj32E21rocsparse_complex_numIfEEEvi20rocsparse_direction_NS_24const_host_device_scalarIT2_EEPKiS8_PKS5_SA_S6_PS5_21rocsparse_index_base_b
    .private_segment_fixed_size: 0
    .sgpr_count:     20
    .sgpr_spill_count: 0
    .symbol:         _ZN9rocsparseL19gebsrmvn_2xn_kernelILj128ELj15ELj32E21rocsparse_complex_numIfEEEvi20rocsparse_direction_NS_24const_host_device_scalarIT2_EEPKiS8_PKS5_SA_S6_PS5_21rocsparse_index_base_b.kd
    .uniform_work_group_size: 1
    .uses_dynamic_stack: false
    .vgpr_count:     66
    .vgpr_spill_count: 0
    .wavefront_size: 64
  - .args:
      - .offset:         0
        .size:           4
        .value_kind:     by_value
      - .offset:         4
        .size:           4
        .value_kind:     by_value
      - .offset:         8
        .size:           8
        .value_kind:     by_value
      - .actual_access:  read_only
        .address_space:  global
        .offset:         16
        .size:           8
        .value_kind:     global_buffer
      - .actual_access:  read_only
        .address_space:  global
        .offset:         24
        .size:           8
        .value_kind:     global_buffer
      - .actual_access:  read_only
        .address_space:  global
        .offset:         32
        .size:           8
        .value_kind:     global_buffer
      - .actual_access:  read_only
        .address_space:  global
        .offset:         40
        .size:           8
        .value_kind:     global_buffer
      - .offset:         48
        .size:           8
        .value_kind:     by_value
      - .address_space:  global
        .offset:         56
        .size:           8
        .value_kind:     global_buffer
      - .offset:         64
        .size:           4
        .value_kind:     by_value
      - .offset:         68
        .size:           1
        .value_kind:     by_value
    .group_segment_fixed_size: 0
    .kernarg_segment_align: 8
    .kernarg_segment_size: 72
    .language:       OpenCL C
    .language_version:
      - 2
      - 0
    .max_flat_workgroup_size: 128
    .name:           _ZN9rocsparseL19gebsrmvn_2xn_kernelILj128ELj15ELj64E21rocsparse_complex_numIfEEEvi20rocsparse_direction_NS_24const_host_device_scalarIT2_EEPKiS8_PKS5_SA_S6_PS5_21rocsparse_index_base_b
    .private_segment_fixed_size: 0
    .sgpr_count:     20
    .sgpr_spill_count: 0
    .symbol:         _ZN9rocsparseL19gebsrmvn_2xn_kernelILj128ELj15ELj64E21rocsparse_complex_numIfEEEvi20rocsparse_direction_NS_24const_host_device_scalarIT2_EEPKiS8_PKS5_SA_S6_PS5_21rocsparse_index_base_b.kd
    .uniform_work_group_size: 1
    .uses_dynamic_stack: false
    .vgpr_count:     66
    .vgpr_spill_count: 0
    .wavefront_size: 64
  - .args:
      - .offset:         0
        .size:           4
        .value_kind:     by_value
      - .offset:         4
        .size:           4
        .value_kind:     by_value
      - .offset:         8
        .size:           8
        .value_kind:     by_value
      - .actual_access:  read_only
        .address_space:  global
        .offset:         16
        .size:           8
        .value_kind:     global_buffer
      - .actual_access:  read_only
        .address_space:  global
        .offset:         24
        .size:           8
        .value_kind:     global_buffer
      - .actual_access:  read_only
        .address_space:  global
        .offset:         32
        .size:           8
        .value_kind:     global_buffer
      - .actual_access:  read_only
        .address_space:  global
        .offset:         40
        .size:           8
        .value_kind:     global_buffer
      - .offset:         48
        .size:           8
        .value_kind:     by_value
      - .address_space:  global
        .offset:         56
        .size:           8
        .value_kind:     global_buffer
      - .offset:         64
        .size:           4
        .value_kind:     by_value
      - .offset:         68
        .size:           1
        .value_kind:     by_value
    .group_segment_fixed_size: 0
    .kernarg_segment_align: 8
    .kernarg_segment_size: 72
    .language:       OpenCL C
    .language_version:
      - 2
      - 0
    .max_flat_workgroup_size: 128
    .name:           _ZN9rocsparseL19gebsrmvn_2xn_kernelILj128ELj16ELj4E21rocsparse_complex_numIfEEEvi20rocsparse_direction_NS_24const_host_device_scalarIT2_EEPKiS8_PKS5_SA_S6_PS5_21rocsparse_index_base_b
    .private_segment_fixed_size: 0
    .sgpr_count:     22
    .sgpr_spill_count: 0
    .symbol:         _ZN9rocsparseL19gebsrmvn_2xn_kernelILj128ELj16ELj4E21rocsparse_complex_numIfEEEvi20rocsparse_direction_NS_24const_host_device_scalarIT2_EEPKiS8_PKS5_SA_S6_PS5_21rocsparse_index_base_b.kd
    .uniform_work_group_size: 1
    .uses_dynamic_stack: false
    .vgpr_count:     55
    .vgpr_spill_count: 0
    .wavefront_size: 64
  - .args:
      - .offset:         0
        .size:           4
        .value_kind:     by_value
      - .offset:         4
        .size:           4
        .value_kind:     by_value
      - .offset:         8
        .size:           8
        .value_kind:     by_value
      - .actual_access:  read_only
        .address_space:  global
        .offset:         16
        .size:           8
        .value_kind:     global_buffer
      - .actual_access:  read_only
        .address_space:  global
        .offset:         24
        .size:           8
        .value_kind:     global_buffer
      - .actual_access:  read_only
        .address_space:  global
        .offset:         32
        .size:           8
        .value_kind:     global_buffer
      - .actual_access:  read_only
        .address_space:  global
        .offset:         40
        .size:           8
        .value_kind:     global_buffer
      - .offset:         48
        .size:           8
        .value_kind:     by_value
      - .address_space:  global
        .offset:         56
        .size:           8
        .value_kind:     global_buffer
      - .offset:         64
        .size:           4
        .value_kind:     by_value
      - .offset:         68
        .size:           1
        .value_kind:     by_value
    .group_segment_fixed_size: 0
    .kernarg_segment_align: 8
    .kernarg_segment_size: 72
    .language:       OpenCL C
    .language_version:
      - 2
      - 0
    .max_flat_workgroup_size: 128
    .name:           _ZN9rocsparseL19gebsrmvn_2xn_kernelILj128ELj16ELj8E21rocsparse_complex_numIfEEEvi20rocsparse_direction_NS_24const_host_device_scalarIT2_EEPKiS8_PKS5_SA_S6_PS5_21rocsparse_index_base_b
    .private_segment_fixed_size: 0
    .sgpr_count:     22
    .sgpr_spill_count: 0
    .symbol:         _ZN9rocsparseL19gebsrmvn_2xn_kernelILj128ELj16ELj8E21rocsparse_complex_numIfEEEvi20rocsparse_direction_NS_24const_host_device_scalarIT2_EEPKiS8_PKS5_SA_S6_PS5_21rocsparse_index_base_b.kd
    .uniform_work_group_size: 1
    .uses_dynamic_stack: false
    .vgpr_count:     55
    .vgpr_spill_count: 0
    .wavefront_size: 64
  - .args:
      - .offset:         0
        .size:           4
        .value_kind:     by_value
      - .offset:         4
        .size:           4
        .value_kind:     by_value
      - .offset:         8
        .size:           8
        .value_kind:     by_value
      - .actual_access:  read_only
        .address_space:  global
        .offset:         16
        .size:           8
        .value_kind:     global_buffer
      - .actual_access:  read_only
        .address_space:  global
        .offset:         24
        .size:           8
        .value_kind:     global_buffer
      - .actual_access:  read_only
        .address_space:  global
        .offset:         32
        .size:           8
        .value_kind:     global_buffer
      - .actual_access:  read_only
        .address_space:  global
        .offset:         40
        .size:           8
        .value_kind:     global_buffer
      - .offset:         48
        .size:           8
        .value_kind:     by_value
      - .address_space:  global
        .offset:         56
        .size:           8
        .value_kind:     global_buffer
      - .offset:         64
        .size:           4
        .value_kind:     by_value
      - .offset:         68
        .size:           1
        .value_kind:     by_value
    .group_segment_fixed_size: 0
    .kernarg_segment_align: 8
    .kernarg_segment_size: 72
    .language:       OpenCL C
    .language_version:
      - 2
      - 0
    .max_flat_workgroup_size: 128
    .name:           _ZN9rocsparseL19gebsrmvn_2xn_kernelILj128ELj16ELj16E21rocsparse_complex_numIfEEEvi20rocsparse_direction_NS_24const_host_device_scalarIT2_EEPKiS8_PKS5_SA_S6_PS5_21rocsparse_index_base_b
    .private_segment_fixed_size: 0
    .sgpr_count:     22
    .sgpr_spill_count: 0
    .symbol:         _ZN9rocsparseL19gebsrmvn_2xn_kernelILj128ELj16ELj16E21rocsparse_complex_numIfEEEvi20rocsparse_direction_NS_24const_host_device_scalarIT2_EEPKiS8_PKS5_SA_S6_PS5_21rocsparse_index_base_b.kd
    .uniform_work_group_size: 1
    .uses_dynamic_stack: false
    .vgpr_count:     55
    .vgpr_spill_count: 0
    .wavefront_size: 64
  - .args:
      - .offset:         0
        .size:           4
        .value_kind:     by_value
      - .offset:         4
        .size:           4
        .value_kind:     by_value
      - .offset:         8
        .size:           8
        .value_kind:     by_value
      - .actual_access:  read_only
        .address_space:  global
        .offset:         16
        .size:           8
        .value_kind:     global_buffer
      - .actual_access:  read_only
        .address_space:  global
        .offset:         24
        .size:           8
        .value_kind:     global_buffer
      - .actual_access:  read_only
        .address_space:  global
        .offset:         32
        .size:           8
        .value_kind:     global_buffer
      - .actual_access:  read_only
        .address_space:  global
        .offset:         40
        .size:           8
        .value_kind:     global_buffer
      - .offset:         48
        .size:           8
        .value_kind:     by_value
      - .address_space:  global
        .offset:         56
        .size:           8
        .value_kind:     global_buffer
      - .offset:         64
        .size:           4
        .value_kind:     by_value
      - .offset:         68
        .size:           1
        .value_kind:     by_value
    .group_segment_fixed_size: 0
    .kernarg_segment_align: 8
    .kernarg_segment_size: 72
    .language:       OpenCL C
    .language_version:
      - 2
      - 0
    .max_flat_workgroup_size: 128
    .name:           _ZN9rocsparseL19gebsrmvn_2xn_kernelILj128ELj16ELj32E21rocsparse_complex_numIfEEEvi20rocsparse_direction_NS_24const_host_device_scalarIT2_EEPKiS8_PKS5_SA_S6_PS5_21rocsparse_index_base_b
    .private_segment_fixed_size: 0
    .sgpr_count:     22
    .sgpr_spill_count: 0
    .symbol:         _ZN9rocsparseL19gebsrmvn_2xn_kernelILj128ELj16ELj32E21rocsparse_complex_numIfEEEvi20rocsparse_direction_NS_24const_host_device_scalarIT2_EEPKiS8_PKS5_SA_S6_PS5_21rocsparse_index_base_b.kd
    .uniform_work_group_size: 1
    .uses_dynamic_stack: false
    .vgpr_count:     55
    .vgpr_spill_count: 0
    .wavefront_size: 64
  - .args:
      - .offset:         0
        .size:           4
        .value_kind:     by_value
      - .offset:         4
        .size:           4
        .value_kind:     by_value
      - .offset:         8
        .size:           8
        .value_kind:     by_value
      - .actual_access:  read_only
        .address_space:  global
        .offset:         16
        .size:           8
        .value_kind:     global_buffer
      - .actual_access:  read_only
        .address_space:  global
        .offset:         24
        .size:           8
        .value_kind:     global_buffer
      - .actual_access:  read_only
        .address_space:  global
        .offset:         32
        .size:           8
        .value_kind:     global_buffer
      - .actual_access:  read_only
        .address_space:  global
        .offset:         40
        .size:           8
        .value_kind:     global_buffer
      - .offset:         48
        .size:           8
        .value_kind:     by_value
      - .address_space:  global
        .offset:         56
        .size:           8
        .value_kind:     global_buffer
      - .offset:         64
        .size:           4
        .value_kind:     by_value
      - .offset:         68
        .size:           1
        .value_kind:     by_value
    .group_segment_fixed_size: 0
    .kernarg_segment_align: 8
    .kernarg_segment_size: 72
    .language:       OpenCL C
    .language_version:
      - 2
      - 0
    .max_flat_workgroup_size: 128
    .name:           _ZN9rocsparseL19gebsrmvn_2xn_kernelILj128ELj16ELj64E21rocsparse_complex_numIfEEEvi20rocsparse_direction_NS_24const_host_device_scalarIT2_EEPKiS8_PKS5_SA_S6_PS5_21rocsparse_index_base_b
    .private_segment_fixed_size: 0
    .sgpr_count:     22
    .sgpr_spill_count: 0
    .symbol:         _ZN9rocsparseL19gebsrmvn_2xn_kernelILj128ELj16ELj64E21rocsparse_complex_numIfEEEvi20rocsparse_direction_NS_24const_host_device_scalarIT2_EEPKiS8_PKS5_SA_S6_PS5_21rocsparse_index_base_b.kd
    .uniform_work_group_size: 1
    .uses_dynamic_stack: false
    .vgpr_count:     55
    .vgpr_spill_count: 0
    .wavefront_size: 64
  - .args:
      - .offset:         0
        .size:           4
        .value_kind:     by_value
      - .offset:         4
        .size:           4
        .value_kind:     by_value
      - .offset:         8
        .size:           8
        .value_kind:     by_value
      - .actual_access:  read_only
        .address_space:  global
        .offset:         16
        .size:           8
        .value_kind:     global_buffer
      - .actual_access:  read_only
        .address_space:  global
        .offset:         24
        .size:           8
        .value_kind:     global_buffer
      - .actual_access:  read_only
        .address_space:  global
        .offset:         32
        .size:           8
        .value_kind:     global_buffer
      - .offset:         40
        .size:           4
        .value_kind:     by_value
      - .offset:         44
        .size:           4
        .value_kind:     by_value
      - .actual_access:  read_only
        .address_space:  global
        .offset:         48
        .size:           8
        .value_kind:     global_buffer
      - .offset:         56
        .size:           8
        .value_kind:     by_value
      - .address_space:  global
        .offset:         64
        .size:           8
        .value_kind:     global_buffer
      - .offset:         72
        .size:           4
        .value_kind:     by_value
      - .offset:         76
        .size:           1
        .value_kind:     by_value
    .group_segment_fixed_size: 0
    .kernarg_segment_align: 8
    .kernarg_segment_size: 80
    .language:       OpenCL C
    .language_version:
      - 2
      - 0
    .max_flat_workgroup_size: 32
    .name:           _ZN9rocsparseL23gebsrmvn_general_kernelILj32ELj32E21rocsparse_complex_numIfEEEvi20rocsparse_direction_NS_24const_host_device_scalarIT1_EEPKiS8_PKS5_iiSA_S6_PS5_21rocsparse_index_base_b
    .private_segment_fixed_size: 0
    .sgpr_count:     41
    .sgpr_spill_count: 0
    .symbol:         _ZN9rocsparseL23gebsrmvn_general_kernelILj32ELj32E21rocsparse_complex_numIfEEEvi20rocsparse_direction_NS_24const_host_device_scalarIT1_EEPKiS8_PKS5_iiSA_S6_PS5_21rocsparse_index_base_b.kd
    .uniform_work_group_size: 1
    .uses_dynamic_stack: false
    .vgpr_count:     16
    .vgpr_spill_count: 0
    .wavefront_size: 64
  - .args:
      - .offset:         0
        .size:           4
        .value_kind:     by_value
      - .offset:         4
        .size:           4
        .value_kind:     by_value
      - .offset:         8
        .size:           16
        .value_kind:     by_value
      - .actual_access:  read_only
        .address_space:  global
        .offset:         24
        .size:           8
        .value_kind:     global_buffer
      - .actual_access:  read_only
        .address_space:  global
        .offset:         32
        .size:           8
        .value_kind:     global_buffer
      - .actual_access:  read_only
        .address_space:  global
        .offset:         40
        .size:           8
        .value_kind:     global_buffer
      - .actual_access:  read_only
        .address_space:  global
        .offset:         48
        .size:           8
        .value_kind:     global_buffer
      - .offset:         56
        .size:           16
        .value_kind:     by_value
      - .address_space:  global
        .offset:         72
        .size:           8
        .value_kind:     global_buffer
      - .offset:         80
        .size:           4
        .value_kind:     by_value
      - .offset:         84
        .size:           1
        .value_kind:     by_value
    .group_segment_fixed_size: 0
    .kernarg_segment_align: 8
    .kernarg_segment_size: 88
    .language:       OpenCL C
    .language_version:
      - 2
      - 0
    .max_flat_workgroup_size: 128
    .name:           _ZN9rocsparseL19gebsrmvn_2xn_kernelILj128ELj1ELj4E21rocsparse_complex_numIdEEEvi20rocsparse_direction_NS_24const_host_device_scalarIT2_EEPKiS8_PKS5_SA_S6_PS5_21rocsparse_index_base_b
    .private_segment_fixed_size: 0
    .sgpr_count:     20
    .sgpr_spill_count: 0
    .symbol:         _ZN9rocsparseL19gebsrmvn_2xn_kernelILj128ELj1ELj4E21rocsparse_complex_numIdEEEvi20rocsparse_direction_NS_24const_host_device_scalarIT2_EEPKiS8_PKS5_SA_S6_PS5_21rocsparse_index_base_b.kd
    .uniform_work_group_size: 1
    .uses_dynamic_stack: false
    .vgpr_count:     39
    .vgpr_spill_count: 0
    .wavefront_size: 64
  - .args:
      - .offset:         0
        .size:           4
        .value_kind:     by_value
      - .offset:         4
        .size:           4
        .value_kind:     by_value
      - .offset:         8
        .size:           16
        .value_kind:     by_value
      - .actual_access:  read_only
        .address_space:  global
        .offset:         24
        .size:           8
        .value_kind:     global_buffer
      - .actual_access:  read_only
        .address_space:  global
        .offset:         32
        .size:           8
        .value_kind:     global_buffer
      - .actual_access:  read_only
        .address_space:  global
        .offset:         40
        .size:           8
        .value_kind:     global_buffer
      - .actual_access:  read_only
        .address_space:  global
        .offset:         48
        .size:           8
        .value_kind:     global_buffer
      - .offset:         56
        .size:           16
        .value_kind:     by_value
      - .address_space:  global
        .offset:         72
        .size:           8
        .value_kind:     global_buffer
      - .offset:         80
        .size:           4
        .value_kind:     by_value
      - .offset:         84
        .size:           1
        .value_kind:     by_value
    .group_segment_fixed_size: 0
    .kernarg_segment_align: 8
    .kernarg_segment_size: 88
    .language:       OpenCL C
    .language_version:
      - 2
      - 0
    .max_flat_workgroup_size: 128
    .name:           _ZN9rocsparseL19gebsrmvn_2xn_kernelILj128ELj1ELj8E21rocsparse_complex_numIdEEEvi20rocsparse_direction_NS_24const_host_device_scalarIT2_EEPKiS8_PKS5_SA_S6_PS5_21rocsparse_index_base_b
    .private_segment_fixed_size: 0
    .sgpr_count:     20
    .sgpr_spill_count: 0
    .symbol:         _ZN9rocsparseL19gebsrmvn_2xn_kernelILj128ELj1ELj8E21rocsparse_complex_numIdEEEvi20rocsparse_direction_NS_24const_host_device_scalarIT2_EEPKiS8_PKS5_SA_S6_PS5_21rocsparse_index_base_b.kd
    .uniform_work_group_size: 1
    .uses_dynamic_stack: false
    .vgpr_count:     39
    .vgpr_spill_count: 0
    .wavefront_size: 64
  - .args:
      - .offset:         0
        .size:           4
        .value_kind:     by_value
      - .offset:         4
        .size:           4
        .value_kind:     by_value
      - .offset:         8
        .size:           16
        .value_kind:     by_value
      - .actual_access:  read_only
        .address_space:  global
        .offset:         24
        .size:           8
        .value_kind:     global_buffer
      - .actual_access:  read_only
        .address_space:  global
        .offset:         32
        .size:           8
        .value_kind:     global_buffer
      - .actual_access:  read_only
        .address_space:  global
        .offset:         40
        .size:           8
        .value_kind:     global_buffer
      - .actual_access:  read_only
        .address_space:  global
        .offset:         48
        .size:           8
        .value_kind:     global_buffer
      - .offset:         56
        .size:           16
        .value_kind:     by_value
      - .address_space:  global
        .offset:         72
        .size:           8
        .value_kind:     global_buffer
      - .offset:         80
        .size:           4
        .value_kind:     by_value
      - .offset:         84
        .size:           1
        .value_kind:     by_value
    .group_segment_fixed_size: 0
    .kernarg_segment_align: 8
    .kernarg_segment_size: 88
    .language:       OpenCL C
    .language_version:
      - 2
      - 0
    .max_flat_workgroup_size: 128
    .name:           _ZN9rocsparseL19gebsrmvn_2xn_kernelILj128ELj1ELj16E21rocsparse_complex_numIdEEEvi20rocsparse_direction_NS_24const_host_device_scalarIT2_EEPKiS8_PKS5_SA_S6_PS5_21rocsparse_index_base_b
    .private_segment_fixed_size: 0
    .sgpr_count:     20
    .sgpr_spill_count: 0
    .symbol:         _ZN9rocsparseL19gebsrmvn_2xn_kernelILj128ELj1ELj16E21rocsparse_complex_numIdEEEvi20rocsparse_direction_NS_24const_host_device_scalarIT2_EEPKiS8_PKS5_SA_S6_PS5_21rocsparse_index_base_b.kd
    .uniform_work_group_size: 1
    .uses_dynamic_stack: false
    .vgpr_count:     39
    .vgpr_spill_count: 0
    .wavefront_size: 64
  - .args:
      - .offset:         0
        .size:           4
        .value_kind:     by_value
      - .offset:         4
        .size:           4
        .value_kind:     by_value
      - .offset:         8
        .size:           16
        .value_kind:     by_value
      - .actual_access:  read_only
        .address_space:  global
        .offset:         24
        .size:           8
        .value_kind:     global_buffer
      - .actual_access:  read_only
        .address_space:  global
        .offset:         32
        .size:           8
        .value_kind:     global_buffer
      - .actual_access:  read_only
        .address_space:  global
        .offset:         40
        .size:           8
        .value_kind:     global_buffer
      - .actual_access:  read_only
        .address_space:  global
        .offset:         48
        .size:           8
        .value_kind:     global_buffer
      - .offset:         56
        .size:           16
        .value_kind:     by_value
      - .address_space:  global
        .offset:         72
        .size:           8
        .value_kind:     global_buffer
      - .offset:         80
        .size:           4
        .value_kind:     by_value
      - .offset:         84
        .size:           1
        .value_kind:     by_value
    .group_segment_fixed_size: 0
    .kernarg_segment_align: 8
    .kernarg_segment_size: 88
    .language:       OpenCL C
    .language_version:
      - 2
      - 0
    .max_flat_workgroup_size: 128
    .name:           _ZN9rocsparseL19gebsrmvn_2xn_kernelILj128ELj1ELj32E21rocsparse_complex_numIdEEEvi20rocsparse_direction_NS_24const_host_device_scalarIT2_EEPKiS8_PKS5_SA_S6_PS5_21rocsparse_index_base_b
    .private_segment_fixed_size: 0
    .sgpr_count:     20
    .sgpr_spill_count: 0
    .symbol:         _ZN9rocsparseL19gebsrmvn_2xn_kernelILj128ELj1ELj32E21rocsparse_complex_numIdEEEvi20rocsparse_direction_NS_24const_host_device_scalarIT2_EEPKiS8_PKS5_SA_S6_PS5_21rocsparse_index_base_b.kd
    .uniform_work_group_size: 1
    .uses_dynamic_stack: false
    .vgpr_count:     39
    .vgpr_spill_count: 0
    .wavefront_size: 64
  - .args:
      - .offset:         0
        .size:           4
        .value_kind:     by_value
      - .offset:         4
        .size:           4
        .value_kind:     by_value
      - .offset:         8
        .size:           16
        .value_kind:     by_value
      - .actual_access:  read_only
        .address_space:  global
        .offset:         24
        .size:           8
        .value_kind:     global_buffer
      - .actual_access:  read_only
        .address_space:  global
        .offset:         32
        .size:           8
        .value_kind:     global_buffer
      - .actual_access:  read_only
        .address_space:  global
        .offset:         40
        .size:           8
        .value_kind:     global_buffer
      - .actual_access:  read_only
        .address_space:  global
        .offset:         48
        .size:           8
        .value_kind:     global_buffer
      - .offset:         56
        .size:           16
        .value_kind:     by_value
      - .address_space:  global
        .offset:         72
        .size:           8
        .value_kind:     global_buffer
      - .offset:         80
        .size:           4
        .value_kind:     by_value
      - .offset:         84
        .size:           1
        .value_kind:     by_value
    .group_segment_fixed_size: 0
    .kernarg_segment_align: 8
    .kernarg_segment_size: 88
    .language:       OpenCL C
    .language_version:
      - 2
      - 0
    .max_flat_workgroup_size: 128
    .name:           _ZN9rocsparseL19gebsrmvn_2xn_kernelILj128ELj1ELj64E21rocsparse_complex_numIdEEEvi20rocsparse_direction_NS_24const_host_device_scalarIT2_EEPKiS8_PKS5_SA_S6_PS5_21rocsparse_index_base_b
    .private_segment_fixed_size: 0
    .sgpr_count:     20
    .sgpr_spill_count: 0
    .symbol:         _ZN9rocsparseL19gebsrmvn_2xn_kernelILj128ELj1ELj64E21rocsparse_complex_numIdEEEvi20rocsparse_direction_NS_24const_host_device_scalarIT2_EEPKiS8_PKS5_SA_S6_PS5_21rocsparse_index_base_b.kd
    .uniform_work_group_size: 1
    .uses_dynamic_stack: false
    .vgpr_count:     39
    .vgpr_spill_count: 0
    .wavefront_size: 64
  - .args:
      - .offset:         0
        .size:           4
        .value_kind:     by_value
      - .offset:         4
        .size:           4
        .value_kind:     by_value
      - .offset:         8
        .size:           16
        .value_kind:     by_value
      - .actual_access:  read_only
        .address_space:  global
        .offset:         24
        .size:           8
        .value_kind:     global_buffer
      - .actual_access:  read_only
        .address_space:  global
        .offset:         32
        .size:           8
        .value_kind:     global_buffer
      - .actual_access:  read_only
        .address_space:  global
        .offset:         40
        .size:           8
        .value_kind:     global_buffer
      - .actual_access:  read_only
        .address_space:  global
        .offset:         48
        .size:           8
        .value_kind:     global_buffer
      - .offset:         56
        .size:           16
        .value_kind:     by_value
      - .address_space:  global
        .offset:         72
        .size:           8
        .value_kind:     global_buffer
      - .offset:         80
        .size:           4
        .value_kind:     by_value
      - .offset:         84
        .size:           1
        .value_kind:     by_value
    .group_segment_fixed_size: 0
    .kernarg_segment_align: 8
    .kernarg_segment_size: 88
    .language:       OpenCL C
    .language_version:
      - 2
      - 0
    .max_flat_workgroup_size: 128
    .name:           _ZN9rocsparseL19gebsrmvn_2xn_kernelILj128ELj3ELj4E21rocsparse_complex_numIdEEEvi20rocsparse_direction_NS_24const_host_device_scalarIT2_EEPKiS8_PKS5_SA_S6_PS5_21rocsparse_index_base_b
    .private_segment_fixed_size: 0
    .sgpr_count:     20
    .sgpr_spill_count: 0
    .symbol:         _ZN9rocsparseL19gebsrmvn_2xn_kernelILj128ELj3ELj4E21rocsparse_complex_numIdEEEvi20rocsparse_direction_NS_24const_host_device_scalarIT2_EEPKiS8_PKS5_SA_S6_PS5_21rocsparse_index_base_b.kd
    .uniform_work_group_size: 1
    .uses_dynamic_stack: false
    .vgpr_count:     56
    .vgpr_spill_count: 0
    .wavefront_size: 64
  - .args:
      - .offset:         0
        .size:           4
        .value_kind:     by_value
      - .offset:         4
        .size:           4
        .value_kind:     by_value
      - .offset:         8
        .size:           16
        .value_kind:     by_value
      - .actual_access:  read_only
        .address_space:  global
        .offset:         24
        .size:           8
        .value_kind:     global_buffer
      - .actual_access:  read_only
        .address_space:  global
        .offset:         32
        .size:           8
        .value_kind:     global_buffer
      - .actual_access:  read_only
        .address_space:  global
        .offset:         40
        .size:           8
        .value_kind:     global_buffer
      - .actual_access:  read_only
        .address_space:  global
        .offset:         48
        .size:           8
        .value_kind:     global_buffer
      - .offset:         56
        .size:           16
        .value_kind:     by_value
      - .address_space:  global
        .offset:         72
        .size:           8
        .value_kind:     global_buffer
      - .offset:         80
        .size:           4
        .value_kind:     by_value
      - .offset:         84
        .size:           1
        .value_kind:     by_value
    .group_segment_fixed_size: 0
    .kernarg_segment_align: 8
    .kernarg_segment_size: 88
    .language:       OpenCL C
    .language_version:
      - 2
      - 0
    .max_flat_workgroup_size: 128
    .name:           _ZN9rocsparseL19gebsrmvn_2xn_kernelILj128ELj3ELj8E21rocsparse_complex_numIdEEEvi20rocsparse_direction_NS_24const_host_device_scalarIT2_EEPKiS8_PKS5_SA_S6_PS5_21rocsparse_index_base_b
    .private_segment_fixed_size: 0
    .sgpr_count:     20
    .sgpr_spill_count: 0
    .symbol:         _ZN9rocsparseL19gebsrmvn_2xn_kernelILj128ELj3ELj8E21rocsparse_complex_numIdEEEvi20rocsparse_direction_NS_24const_host_device_scalarIT2_EEPKiS8_PKS5_SA_S6_PS5_21rocsparse_index_base_b.kd
    .uniform_work_group_size: 1
    .uses_dynamic_stack: false
    .vgpr_count:     56
    .vgpr_spill_count: 0
    .wavefront_size: 64
  - .args:
      - .offset:         0
        .size:           4
        .value_kind:     by_value
      - .offset:         4
        .size:           4
        .value_kind:     by_value
      - .offset:         8
        .size:           16
        .value_kind:     by_value
      - .actual_access:  read_only
        .address_space:  global
        .offset:         24
        .size:           8
        .value_kind:     global_buffer
      - .actual_access:  read_only
        .address_space:  global
        .offset:         32
        .size:           8
        .value_kind:     global_buffer
      - .actual_access:  read_only
        .address_space:  global
        .offset:         40
        .size:           8
        .value_kind:     global_buffer
      - .actual_access:  read_only
        .address_space:  global
        .offset:         48
        .size:           8
        .value_kind:     global_buffer
      - .offset:         56
        .size:           16
        .value_kind:     by_value
      - .address_space:  global
        .offset:         72
        .size:           8
        .value_kind:     global_buffer
      - .offset:         80
        .size:           4
        .value_kind:     by_value
      - .offset:         84
        .size:           1
        .value_kind:     by_value
    .group_segment_fixed_size: 0
    .kernarg_segment_align: 8
    .kernarg_segment_size: 88
    .language:       OpenCL C
    .language_version:
      - 2
      - 0
    .max_flat_workgroup_size: 128
    .name:           _ZN9rocsparseL19gebsrmvn_2xn_kernelILj128ELj3ELj16E21rocsparse_complex_numIdEEEvi20rocsparse_direction_NS_24const_host_device_scalarIT2_EEPKiS8_PKS5_SA_S6_PS5_21rocsparse_index_base_b
    .private_segment_fixed_size: 0
    .sgpr_count:     20
    .sgpr_spill_count: 0
    .symbol:         _ZN9rocsparseL19gebsrmvn_2xn_kernelILj128ELj3ELj16E21rocsparse_complex_numIdEEEvi20rocsparse_direction_NS_24const_host_device_scalarIT2_EEPKiS8_PKS5_SA_S6_PS5_21rocsparse_index_base_b.kd
    .uniform_work_group_size: 1
    .uses_dynamic_stack: false
    .vgpr_count:     58
    .vgpr_spill_count: 0
    .wavefront_size: 64
  - .args:
      - .offset:         0
        .size:           4
        .value_kind:     by_value
      - .offset:         4
        .size:           4
        .value_kind:     by_value
      - .offset:         8
        .size:           16
        .value_kind:     by_value
      - .actual_access:  read_only
        .address_space:  global
        .offset:         24
        .size:           8
        .value_kind:     global_buffer
      - .actual_access:  read_only
        .address_space:  global
        .offset:         32
        .size:           8
        .value_kind:     global_buffer
      - .actual_access:  read_only
        .address_space:  global
        .offset:         40
        .size:           8
        .value_kind:     global_buffer
      - .actual_access:  read_only
        .address_space:  global
        .offset:         48
        .size:           8
        .value_kind:     global_buffer
      - .offset:         56
        .size:           16
        .value_kind:     by_value
      - .address_space:  global
        .offset:         72
        .size:           8
        .value_kind:     global_buffer
      - .offset:         80
        .size:           4
        .value_kind:     by_value
      - .offset:         84
        .size:           1
        .value_kind:     by_value
    .group_segment_fixed_size: 0
    .kernarg_segment_align: 8
    .kernarg_segment_size: 88
    .language:       OpenCL C
    .language_version:
      - 2
      - 0
    .max_flat_workgroup_size: 128
    .name:           _ZN9rocsparseL19gebsrmvn_2xn_kernelILj128ELj3ELj32E21rocsparse_complex_numIdEEEvi20rocsparse_direction_NS_24const_host_device_scalarIT2_EEPKiS8_PKS5_SA_S6_PS5_21rocsparse_index_base_b
    .private_segment_fixed_size: 0
    .sgpr_count:     20
    .sgpr_spill_count: 0
    .symbol:         _ZN9rocsparseL19gebsrmvn_2xn_kernelILj128ELj3ELj32E21rocsparse_complex_numIdEEEvi20rocsparse_direction_NS_24const_host_device_scalarIT2_EEPKiS8_PKS5_SA_S6_PS5_21rocsparse_index_base_b.kd
    .uniform_work_group_size: 1
    .uses_dynamic_stack: false
    .vgpr_count:     58
    .vgpr_spill_count: 0
    .wavefront_size: 64
  - .args:
      - .offset:         0
        .size:           4
        .value_kind:     by_value
      - .offset:         4
        .size:           4
        .value_kind:     by_value
      - .offset:         8
        .size:           16
        .value_kind:     by_value
      - .actual_access:  read_only
        .address_space:  global
        .offset:         24
        .size:           8
        .value_kind:     global_buffer
      - .actual_access:  read_only
        .address_space:  global
        .offset:         32
        .size:           8
        .value_kind:     global_buffer
      - .actual_access:  read_only
        .address_space:  global
        .offset:         40
        .size:           8
        .value_kind:     global_buffer
      - .actual_access:  read_only
        .address_space:  global
        .offset:         48
        .size:           8
        .value_kind:     global_buffer
      - .offset:         56
        .size:           16
        .value_kind:     by_value
      - .address_space:  global
        .offset:         72
        .size:           8
        .value_kind:     global_buffer
      - .offset:         80
        .size:           4
        .value_kind:     by_value
      - .offset:         84
        .size:           1
        .value_kind:     by_value
    .group_segment_fixed_size: 0
    .kernarg_segment_align: 8
    .kernarg_segment_size: 88
    .language:       OpenCL C
    .language_version:
      - 2
      - 0
    .max_flat_workgroup_size: 128
    .name:           _ZN9rocsparseL19gebsrmvn_2xn_kernelILj128ELj3ELj64E21rocsparse_complex_numIdEEEvi20rocsparse_direction_NS_24const_host_device_scalarIT2_EEPKiS8_PKS5_SA_S6_PS5_21rocsparse_index_base_b
    .private_segment_fixed_size: 0
    .sgpr_count:     20
    .sgpr_spill_count: 0
    .symbol:         _ZN9rocsparseL19gebsrmvn_2xn_kernelILj128ELj3ELj64E21rocsparse_complex_numIdEEEvi20rocsparse_direction_NS_24const_host_device_scalarIT2_EEPKiS8_PKS5_SA_S6_PS5_21rocsparse_index_base_b.kd
    .uniform_work_group_size: 1
    .uses_dynamic_stack: false
    .vgpr_count:     58
    .vgpr_spill_count: 0
    .wavefront_size: 64
  - .args:
      - .offset:         0
        .size:           4
        .value_kind:     by_value
      - .offset:         4
        .size:           4
        .value_kind:     by_value
      - .offset:         8
        .size:           16
        .value_kind:     by_value
      - .actual_access:  read_only
        .address_space:  global
        .offset:         24
        .size:           8
        .value_kind:     global_buffer
      - .actual_access:  read_only
        .address_space:  global
        .offset:         32
        .size:           8
        .value_kind:     global_buffer
      - .actual_access:  read_only
        .address_space:  global
        .offset:         40
        .size:           8
        .value_kind:     global_buffer
      - .actual_access:  read_only
        .address_space:  global
        .offset:         48
        .size:           8
        .value_kind:     global_buffer
      - .offset:         56
        .size:           16
        .value_kind:     by_value
      - .address_space:  global
        .offset:         72
        .size:           8
        .value_kind:     global_buffer
      - .offset:         80
        .size:           4
        .value_kind:     by_value
      - .offset:         84
        .size:           1
        .value_kind:     by_value
    .group_segment_fixed_size: 0
    .kernarg_segment_align: 8
    .kernarg_segment_size: 88
    .language:       OpenCL C
    .language_version:
      - 2
      - 0
    .max_flat_workgroup_size: 128
    .name:           _ZN9rocsparseL19gebsrmvn_2xn_kernelILj128ELj4ELj4E21rocsparse_complex_numIdEEEvi20rocsparse_direction_NS_24const_host_device_scalarIT2_EEPKiS8_PKS5_SA_S6_PS5_21rocsparse_index_base_b
    .private_segment_fixed_size: 0
    .sgpr_count:     20
    .sgpr_spill_count: 0
    .symbol:         _ZN9rocsparseL19gebsrmvn_2xn_kernelILj128ELj4ELj4E21rocsparse_complex_numIdEEEvi20rocsparse_direction_NS_24const_host_device_scalarIT2_EEPKiS8_PKS5_SA_S6_PS5_21rocsparse_index_base_b.kd
    .uniform_work_group_size: 1
    .uses_dynamic_stack: false
    .vgpr_count:     50
    .vgpr_spill_count: 0
    .wavefront_size: 64
  - .args:
      - .offset:         0
        .size:           4
        .value_kind:     by_value
      - .offset:         4
        .size:           4
        .value_kind:     by_value
      - .offset:         8
        .size:           16
        .value_kind:     by_value
      - .actual_access:  read_only
        .address_space:  global
        .offset:         24
        .size:           8
        .value_kind:     global_buffer
      - .actual_access:  read_only
        .address_space:  global
        .offset:         32
        .size:           8
        .value_kind:     global_buffer
      - .actual_access:  read_only
        .address_space:  global
        .offset:         40
        .size:           8
        .value_kind:     global_buffer
      - .actual_access:  read_only
        .address_space:  global
        .offset:         48
        .size:           8
        .value_kind:     global_buffer
      - .offset:         56
        .size:           16
        .value_kind:     by_value
      - .address_space:  global
        .offset:         72
        .size:           8
        .value_kind:     global_buffer
      - .offset:         80
        .size:           4
        .value_kind:     by_value
      - .offset:         84
        .size:           1
        .value_kind:     by_value
    .group_segment_fixed_size: 0
    .kernarg_segment_align: 8
    .kernarg_segment_size: 88
    .language:       OpenCL C
    .language_version:
      - 2
      - 0
    .max_flat_workgroup_size: 128
    .name:           _ZN9rocsparseL19gebsrmvn_2xn_kernelILj128ELj4ELj8E21rocsparse_complex_numIdEEEvi20rocsparse_direction_NS_24const_host_device_scalarIT2_EEPKiS8_PKS5_SA_S6_PS5_21rocsparse_index_base_b
    .private_segment_fixed_size: 0
    .sgpr_count:     20
    .sgpr_spill_count: 0
    .symbol:         _ZN9rocsparseL19gebsrmvn_2xn_kernelILj128ELj4ELj8E21rocsparse_complex_numIdEEEvi20rocsparse_direction_NS_24const_host_device_scalarIT2_EEPKiS8_PKS5_SA_S6_PS5_21rocsparse_index_base_b.kd
    .uniform_work_group_size: 1
    .uses_dynamic_stack: false
    .vgpr_count:     50
    .vgpr_spill_count: 0
    .wavefront_size: 64
  - .args:
      - .offset:         0
        .size:           4
        .value_kind:     by_value
      - .offset:         4
        .size:           4
        .value_kind:     by_value
      - .offset:         8
        .size:           16
        .value_kind:     by_value
      - .actual_access:  read_only
        .address_space:  global
        .offset:         24
        .size:           8
        .value_kind:     global_buffer
      - .actual_access:  read_only
        .address_space:  global
        .offset:         32
        .size:           8
        .value_kind:     global_buffer
      - .actual_access:  read_only
        .address_space:  global
        .offset:         40
        .size:           8
        .value_kind:     global_buffer
      - .actual_access:  read_only
        .address_space:  global
        .offset:         48
        .size:           8
        .value_kind:     global_buffer
      - .offset:         56
        .size:           16
        .value_kind:     by_value
      - .address_space:  global
        .offset:         72
        .size:           8
        .value_kind:     global_buffer
      - .offset:         80
        .size:           4
        .value_kind:     by_value
      - .offset:         84
        .size:           1
        .value_kind:     by_value
    .group_segment_fixed_size: 0
    .kernarg_segment_align: 8
    .kernarg_segment_size: 88
    .language:       OpenCL C
    .language_version:
      - 2
      - 0
    .max_flat_workgroup_size: 128
    .name:           _ZN9rocsparseL19gebsrmvn_2xn_kernelILj128ELj4ELj16E21rocsparse_complex_numIdEEEvi20rocsparse_direction_NS_24const_host_device_scalarIT2_EEPKiS8_PKS5_SA_S6_PS5_21rocsparse_index_base_b
    .private_segment_fixed_size: 0
    .sgpr_count:     20
    .sgpr_spill_count: 0
    .symbol:         _ZN9rocsparseL19gebsrmvn_2xn_kernelILj128ELj4ELj16E21rocsparse_complex_numIdEEEvi20rocsparse_direction_NS_24const_host_device_scalarIT2_EEPKiS8_PKS5_SA_S6_PS5_21rocsparse_index_base_b.kd
    .uniform_work_group_size: 1
    .uses_dynamic_stack: false
    .vgpr_count:     50
    .vgpr_spill_count: 0
    .wavefront_size: 64
  - .args:
      - .offset:         0
        .size:           4
        .value_kind:     by_value
      - .offset:         4
        .size:           4
        .value_kind:     by_value
      - .offset:         8
        .size:           16
        .value_kind:     by_value
      - .actual_access:  read_only
        .address_space:  global
        .offset:         24
        .size:           8
        .value_kind:     global_buffer
      - .actual_access:  read_only
        .address_space:  global
        .offset:         32
        .size:           8
        .value_kind:     global_buffer
      - .actual_access:  read_only
        .address_space:  global
        .offset:         40
        .size:           8
        .value_kind:     global_buffer
      - .actual_access:  read_only
        .address_space:  global
        .offset:         48
        .size:           8
        .value_kind:     global_buffer
      - .offset:         56
        .size:           16
        .value_kind:     by_value
      - .address_space:  global
        .offset:         72
        .size:           8
        .value_kind:     global_buffer
      - .offset:         80
        .size:           4
        .value_kind:     by_value
      - .offset:         84
        .size:           1
        .value_kind:     by_value
    .group_segment_fixed_size: 0
    .kernarg_segment_align: 8
    .kernarg_segment_size: 88
    .language:       OpenCL C
    .language_version:
      - 2
      - 0
    .max_flat_workgroup_size: 128
    .name:           _ZN9rocsparseL19gebsrmvn_2xn_kernelILj128ELj4ELj32E21rocsparse_complex_numIdEEEvi20rocsparse_direction_NS_24const_host_device_scalarIT2_EEPKiS8_PKS5_SA_S6_PS5_21rocsparse_index_base_b
    .private_segment_fixed_size: 0
    .sgpr_count:     20
    .sgpr_spill_count: 0
    .symbol:         _ZN9rocsparseL19gebsrmvn_2xn_kernelILj128ELj4ELj32E21rocsparse_complex_numIdEEEvi20rocsparse_direction_NS_24const_host_device_scalarIT2_EEPKiS8_PKS5_SA_S6_PS5_21rocsparse_index_base_b.kd
    .uniform_work_group_size: 1
    .uses_dynamic_stack: false
    .vgpr_count:     50
    .vgpr_spill_count: 0
    .wavefront_size: 64
  - .args:
      - .offset:         0
        .size:           4
        .value_kind:     by_value
      - .offset:         4
        .size:           4
        .value_kind:     by_value
      - .offset:         8
        .size:           16
        .value_kind:     by_value
      - .actual_access:  read_only
        .address_space:  global
        .offset:         24
        .size:           8
        .value_kind:     global_buffer
      - .actual_access:  read_only
        .address_space:  global
        .offset:         32
        .size:           8
        .value_kind:     global_buffer
      - .actual_access:  read_only
        .address_space:  global
        .offset:         40
        .size:           8
        .value_kind:     global_buffer
      - .actual_access:  read_only
        .address_space:  global
        .offset:         48
        .size:           8
        .value_kind:     global_buffer
      - .offset:         56
        .size:           16
        .value_kind:     by_value
      - .address_space:  global
        .offset:         72
        .size:           8
        .value_kind:     global_buffer
      - .offset:         80
        .size:           4
        .value_kind:     by_value
      - .offset:         84
        .size:           1
        .value_kind:     by_value
    .group_segment_fixed_size: 0
    .kernarg_segment_align: 8
    .kernarg_segment_size: 88
    .language:       OpenCL C
    .language_version:
      - 2
      - 0
    .max_flat_workgroup_size: 128
    .name:           _ZN9rocsparseL19gebsrmvn_2xn_kernelILj128ELj4ELj64E21rocsparse_complex_numIdEEEvi20rocsparse_direction_NS_24const_host_device_scalarIT2_EEPKiS8_PKS5_SA_S6_PS5_21rocsparse_index_base_b
    .private_segment_fixed_size: 0
    .sgpr_count:     20
    .sgpr_spill_count: 0
    .symbol:         _ZN9rocsparseL19gebsrmvn_2xn_kernelILj128ELj4ELj64E21rocsparse_complex_numIdEEEvi20rocsparse_direction_NS_24const_host_device_scalarIT2_EEPKiS8_PKS5_SA_S6_PS5_21rocsparse_index_base_b.kd
    .uniform_work_group_size: 1
    .uses_dynamic_stack: false
    .vgpr_count:     50
    .vgpr_spill_count: 0
    .wavefront_size: 64
  - .args:
      - .offset:         0
        .size:           4
        .value_kind:     by_value
      - .offset:         4
        .size:           4
        .value_kind:     by_value
      - .offset:         8
        .size:           16
        .value_kind:     by_value
      - .actual_access:  read_only
        .address_space:  global
        .offset:         24
        .size:           8
        .value_kind:     global_buffer
      - .actual_access:  read_only
        .address_space:  global
        .offset:         32
        .size:           8
        .value_kind:     global_buffer
      - .actual_access:  read_only
        .address_space:  global
        .offset:         40
        .size:           8
        .value_kind:     global_buffer
      - .actual_access:  read_only
        .address_space:  global
        .offset:         48
        .size:           8
        .value_kind:     global_buffer
      - .offset:         56
        .size:           16
        .value_kind:     by_value
      - .address_space:  global
        .offset:         72
        .size:           8
        .value_kind:     global_buffer
      - .offset:         80
        .size:           4
        .value_kind:     by_value
      - .offset:         84
        .size:           1
        .value_kind:     by_value
    .group_segment_fixed_size: 0
    .kernarg_segment_align: 8
    .kernarg_segment_size: 88
    .language:       OpenCL C
    .language_version:
      - 2
      - 0
    .max_flat_workgroup_size: 128
    .name:           _ZN9rocsparseL19gebsrmvn_2xn_kernelILj128ELj5ELj4E21rocsparse_complex_numIdEEEvi20rocsparse_direction_NS_24const_host_device_scalarIT2_EEPKiS8_PKS5_SA_S6_PS5_21rocsparse_index_base_b
    .private_segment_fixed_size: 0
    .sgpr_count:     20
    .sgpr_spill_count: 0
    .symbol:         _ZN9rocsparseL19gebsrmvn_2xn_kernelILj128ELj5ELj4E21rocsparse_complex_numIdEEEvi20rocsparse_direction_NS_24const_host_device_scalarIT2_EEPKiS8_PKS5_SA_S6_PS5_21rocsparse_index_base_b.kd
    .uniform_work_group_size: 1
    .uses_dynamic_stack: false
    .vgpr_count:     59
    .vgpr_spill_count: 0
    .wavefront_size: 64
  - .args:
      - .offset:         0
        .size:           4
        .value_kind:     by_value
      - .offset:         4
        .size:           4
        .value_kind:     by_value
      - .offset:         8
        .size:           16
        .value_kind:     by_value
      - .actual_access:  read_only
        .address_space:  global
        .offset:         24
        .size:           8
        .value_kind:     global_buffer
      - .actual_access:  read_only
        .address_space:  global
        .offset:         32
        .size:           8
        .value_kind:     global_buffer
      - .actual_access:  read_only
        .address_space:  global
        .offset:         40
        .size:           8
        .value_kind:     global_buffer
      - .actual_access:  read_only
        .address_space:  global
        .offset:         48
        .size:           8
        .value_kind:     global_buffer
      - .offset:         56
        .size:           16
        .value_kind:     by_value
      - .address_space:  global
        .offset:         72
        .size:           8
        .value_kind:     global_buffer
      - .offset:         80
        .size:           4
        .value_kind:     by_value
      - .offset:         84
        .size:           1
        .value_kind:     by_value
    .group_segment_fixed_size: 0
    .kernarg_segment_align: 8
    .kernarg_segment_size: 88
    .language:       OpenCL C
    .language_version:
      - 2
      - 0
    .max_flat_workgroup_size: 128
    .name:           _ZN9rocsparseL19gebsrmvn_2xn_kernelILj128ELj5ELj8E21rocsparse_complex_numIdEEEvi20rocsparse_direction_NS_24const_host_device_scalarIT2_EEPKiS8_PKS5_SA_S6_PS5_21rocsparse_index_base_b
    .private_segment_fixed_size: 0
    .sgpr_count:     20
    .sgpr_spill_count: 0
    .symbol:         _ZN9rocsparseL19gebsrmvn_2xn_kernelILj128ELj5ELj8E21rocsparse_complex_numIdEEEvi20rocsparse_direction_NS_24const_host_device_scalarIT2_EEPKiS8_PKS5_SA_S6_PS5_21rocsparse_index_base_b.kd
    .uniform_work_group_size: 1
    .uses_dynamic_stack: false
    .vgpr_count:     59
    .vgpr_spill_count: 0
    .wavefront_size: 64
  - .args:
      - .offset:         0
        .size:           4
        .value_kind:     by_value
      - .offset:         4
        .size:           4
        .value_kind:     by_value
      - .offset:         8
        .size:           16
        .value_kind:     by_value
      - .actual_access:  read_only
        .address_space:  global
        .offset:         24
        .size:           8
        .value_kind:     global_buffer
      - .actual_access:  read_only
        .address_space:  global
        .offset:         32
        .size:           8
        .value_kind:     global_buffer
      - .actual_access:  read_only
        .address_space:  global
        .offset:         40
        .size:           8
        .value_kind:     global_buffer
      - .actual_access:  read_only
        .address_space:  global
        .offset:         48
        .size:           8
        .value_kind:     global_buffer
      - .offset:         56
        .size:           16
        .value_kind:     by_value
      - .address_space:  global
        .offset:         72
        .size:           8
        .value_kind:     global_buffer
      - .offset:         80
        .size:           4
        .value_kind:     by_value
      - .offset:         84
        .size:           1
        .value_kind:     by_value
    .group_segment_fixed_size: 0
    .kernarg_segment_align: 8
    .kernarg_segment_size: 88
    .language:       OpenCL C
    .language_version:
      - 2
      - 0
    .max_flat_workgroup_size: 128
    .name:           _ZN9rocsparseL19gebsrmvn_2xn_kernelILj128ELj5ELj16E21rocsparse_complex_numIdEEEvi20rocsparse_direction_NS_24const_host_device_scalarIT2_EEPKiS8_PKS5_SA_S6_PS5_21rocsparse_index_base_b
    .private_segment_fixed_size: 0
    .sgpr_count:     20
    .sgpr_spill_count: 0
    .symbol:         _ZN9rocsparseL19gebsrmvn_2xn_kernelILj128ELj5ELj16E21rocsparse_complex_numIdEEEvi20rocsparse_direction_NS_24const_host_device_scalarIT2_EEPKiS8_PKS5_SA_S6_PS5_21rocsparse_index_base_b.kd
    .uniform_work_group_size: 1
    .uses_dynamic_stack: false
    .vgpr_count:     59
    .vgpr_spill_count: 0
    .wavefront_size: 64
  - .args:
      - .offset:         0
        .size:           4
        .value_kind:     by_value
      - .offset:         4
        .size:           4
        .value_kind:     by_value
      - .offset:         8
        .size:           16
        .value_kind:     by_value
      - .actual_access:  read_only
        .address_space:  global
        .offset:         24
        .size:           8
        .value_kind:     global_buffer
      - .actual_access:  read_only
        .address_space:  global
        .offset:         32
        .size:           8
        .value_kind:     global_buffer
      - .actual_access:  read_only
        .address_space:  global
        .offset:         40
        .size:           8
        .value_kind:     global_buffer
      - .actual_access:  read_only
        .address_space:  global
        .offset:         48
        .size:           8
        .value_kind:     global_buffer
      - .offset:         56
        .size:           16
        .value_kind:     by_value
      - .address_space:  global
        .offset:         72
        .size:           8
        .value_kind:     global_buffer
      - .offset:         80
        .size:           4
        .value_kind:     by_value
      - .offset:         84
        .size:           1
        .value_kind:     by_value
    .group_segment_fixed_size: 0
    .kernarg_segment_align: 8
    .kernarg_segment_size: 88
    .language:       OpenCL C
    .language_version:
      - 2
      - 0
    .max_flat_workgroup_size: 128
    .name:           _ZN9rocsparseL19gebsrmvn_2xn_kernelILj128ELj5ELj32E21rocsparse_complex_numIdEEEvi20rocsparse_direction_NS_24const_host_device_scalarIT2_EEPKiS8_PKS5_SA_S6_PS5_21rocsparse_index_base_b
    .private_segment_fixed_size: 0
    .sgpr_count:     20
    .sgpr_spill_count: 0
    .symbol:         _ZN9rocsparseL19gebsrmvn_2xn_kernelILj128ELj5ELj32E21rocsparse_complex_numIdEEEvi20rocsparse_direction_NS_24const_host_device_scalarIT2_EEPKiS8_PKS5_SA_S6_PS5_21rocsparse_index_base_b.kd
    .uniform_work_group_size: 1
    .uses_dynamic_stack: false
    .vgpr_count:     59
    .vgpr_spill_count: 0
    .wavefront_size: 64
  - .args:
      - .offset:         0
        .size:           4
        .value_kind:     by_value
      - .offset:         4
        .size:           4
        .value_kind:     by_value
      - .offset:         8
        .size:           16
        .value_kind:     by_value
      - .actual_access:  read_only
        .address_space:  global
        .offset:         24
        .size:           8
        .value_kind:     global_buffer
      - .actual_access:  read_only
        .address_space:  global
        .offset:         32
        .size:           8
        .value_kind:     global_buffer
      - .actual_access:  read_only
        .address_space:  global
        .offset:         40
        .size:           8
        .value_kind:     global_buffer
      - .actual_access:  read_only
        .address_space:  global
        .offset:         48
        .size:           8
        .value_kind:     global_buffer
      - .offset:         56
        .size:           16
        .value_kind:     by_value
      - .address_space:  global
        .offset:         72
        .size:           8
        .value_kind:     global_buffer
      - .offset:         80
        .size:           4
        .value_kind:     by_value
      - .offset:         84
        .size:           1
        .value_kind:     by_value
    .group_segment_fixed_size: 0
    .kernarg_segment_align: 8
    .kernarg_segment_size: 88
    .language:       OpenCL C
    .language_version:
      - 2
      - 0
    .max_flat_workgroup_size: 128
    .name:           _ZN9rocsparseL19gebsrmvn_2xn_kernelILj128ELj5ELj64E21rocsparse_complex_numIdEEEvi20rocsparse_direction_NS_24const_host_device_scalarIT2_EEPKiS8_PKS5_SA_S6_PS5_21rocsparse_index_base_b
    .private_segment_fixed_size: 0
    .sgpr_count:     20
    .sgpr_spill_count: 0
    .symbol:         _ZN9rocsparseL19gebsrmvn_2xn_kernelILj128ELj5ELj64E21rocsparse_complex_numIdEEEvi20rocsparse_direction_NS_24const_host_device_scalarIT2_EEPKiS8_PKS5_SA_S6_PS5_21rocsparse_index_base_b.kd
    .uniform_work_group_size: 1
    .uses_dynamic_stack: false
    .vgpr_count:     59
    .vgpr_spill_count: 0
    .wavefront_size: 64
  - .args:
      - .offset:         0
        .size:           4
        .value_kind:     by_value
      - .offset:         4
        .size:           4
        .value_kind:     by_value
      - .offset:         8
        .size:           16
        .value_kind:     by_value
      - .actual_access:  read_only
        .address_space:  global
        .offset:         24
        .size:           8
        .value_kind:     global_buffer
      - .actual_access:  read_only
        .address_space:  global
        .offset:         32
        .size:           8
        .value_kind:     global_buffer
      - .actual_access:  read_only
        .address_space:  global
        .offset:         40
        .size:           8
        .value_kind:     global_buffer
      - .actual_access:  read_only
        .address_space:  global
        .offset:         48
        .size:           8
        .value_kind:     global_buffer
      - .offset:         56
        .size:           16
        .value_kind:     by_value
      - .address_space:  global
        .offset:         72
        .size:           8
        .value_kind:     global_buffer
      - .offset:         80
        .size:           4
        .value_kind:     by_value
      - .offset:         84
        .size:           1
        .value_kind:     by_value
    .group_segment_fixed_size: 0
    .kernarg_segment_align: 8
    .kernarg_segment_size: 88
    .language:       OpenCL C
    .language_version:
      - 2
      - 0
    .max_flat_workgroup_size: 128
    .name:           _ZN9rocsparseL19gebsrmvn_2xn_kernelILj128ELj6ELj4E21rocsparse_complex_numIdEEEvi20rocsparse_direction_NS_24const_host_device_scalarIT2_EEPKiS8_PKS5_SA_S6_PS5_21rocsparse_index_base_b
    .private_segment_fixed_size: 0
    .sgpr_count:     24
    .sgpr_spill_count: 0
    .symbol:         _ZN9rocsparseL19gebsrmvn_2xn_kernelILj128ELj6ELj4E21rocsparse_complex_numIdEEEvi20rocsparse_direction_NS_24const_host_device_scalarIT2_EEPKiS8_PKS5_SA_S6_PS5_21rocsparse_index_base_b.kd
    .uniform_work_group_size: 1
    .uses_dynamic_stack: false
    .vgpr_count:     58
    .vgpr_spill_count: 0
    .wavefront_size: 64
  - .args:
      - .offset:         0
        .size:           4
        .value_kind:     by_value
      - .offset:         4
        .size:           4
        .value_kind:     by_value
      - .offset:         8
        .size:           16
        .value_kind:     by_value
      - .actual_access:  read_only
        .address_space:  global
        .offset:         24
        .size:           8
        .value_kind:     global_buffer
      - .actual_access:  read_only
        .address_space:  global
        .offset:         32
        .size:           8
        .value_kind:     global_buffer
      - .actual_access:  read_only
        .address_space:  global
        .offset:         40
        .size:           8
        .value_kind:     global_buffer
      - .actual_access:  read_only
        .address_space:  global
        .offset:         48
        .size:           8
        .value_kind:     global_buffer
      - .offset:         56
        .size:           16
        .value_kind:     by_value
      - .address_space:  global
        .offset:         72
        .size:           8
        .value_kind:     global_buffer
      - .offset:         80
        .size:           4
        .value_kind:     by_value
      - .offset:         84
        .size:           1
        .value_kind:     by_value
    .group_segment_fixed_size: 0
    .kernarg_segment_align: 8
    .kernarg_segment_size: 88
    .language:       OpenCL C
    .language_version:
      - 2
      - 0
    .max_flat_workgroup_size: 128
    .name:           _ZN9rocsparseL19gebsrmvn_2xn_kernelILj128ELj6ELj8E21rocsparse_complex_numIdEEEvi20rocsparse_direction_NS_24const_host_device_scalarIT2_EEPKiS8_PKS5_SA_S6_PS5_21rocsparse_index_base_b
    .private_segment_fixed_size: 0
    .sgpr_count:     24
    .sgpr_spill_count: 0
    .symbol:         _ZN9rocsparseL19gebsrmvn_2xn_kernelILj128ELj6ELj8E21rocsparse_complex_numIdEEEvi20rocsparse_direction_NS_24const_host_device_scalarIT2_EEPKiS8_PKS5_SA_S6_PS5_21rocsparse_index_base_b.kd
    .uniform_work_group_size: 1
    .uses_dynamic_stack: false
    .vgpr_count:     58
    .vgpr_spill_count: 0
    .wavefront_size: 64
  - .args:
      - .offset:         0
        .size:           4
        .value_kind:     by_value
      - .offset:         4
        .size:           4
        .value_kind:     by_value
      - .offset:         8
        .size:           16
        .value_kind:     by_value
      - .actual_access:  read_only
        .address_space:  global
        .offset:         24
        .size:           8
        .value_kind:     global_buffer
      - .actual_access:  read_only
        .address_space:  global
        .offset:         32
        .size:           8
        .value_kind:     global_buffer
      - .actual_access:  read_only
        .address_space:  global
        .offset:         40
        .size:           8
        .value_kind:     global_buffer
      - .actual_access:  read_only
        .address_space:  global
        .offset:         48
        .size:           8
        .value_kind:     global_buffer
      - .offset:         56
        .size:           16
        .value_kind:     by_value
      - .address_space:  global
        .offset:         72
        .size:           8
        .value_kind:     global_buffer
      - .offset:         80
        .size:           4
        .value_kind:     by_value
      - .offset:         84
        .size:           1
        .value_kind:     by_value
    .group_segment_fixed_size: 0
    .kernarg_segment_align: 8
    .kernarg_segment_size: 88
    .language:       OpenCL C
    .language_version:
      - 2
      - 0
    .max_flat_workgroup_size: 128
    .name:           _ZN9rocsparseL19gebsrmvn_2xn_kernelILj128ELj6ELj16E21rocsparse_complex_numIdEEEvi20rocsparse_direction_NS_24const_host_device_scalarIT2_EEPKiS8_PKS5_SA_S6_PS5_21rocsparse_index_base_b
    .private_segment_fixed_size: 0
    .sgpr_count:     24
    .sgpr_spill_count: 0
    .symbol:         _ZN9rocsparseL19gebsrmvn_2xn_kernelILj128ELj6ELj16E21rocsparse_complex_numIdEEEvi20rocsparse_direction_NS_24const_host_device_scalarIT2_EEPKiS8_PKS5_SA_S6_PS5_21rocsparse_index_base_b.kd
    .uniform_work_group_size: 1
    .uses_dynamic_stack: false
    .vgpr_count:     58
    .vgpr_spill_count: 0
    .wavefront_size: 64
  - .args:
      - .offset:         0
        .size:           4
        .value_kind:     by_value
      - .offset:         4
        .size:           4
        .value_kind:     by_value
      - .offset:         8
        .size:           16
        .value_kind:     by_value
      - .actual_access:  read_only
        .address_space:  global
        .offset:         24
        .size:           8
        .value_kind:     global_buffer
      - .actual_access:  read_only
        .address_space:  global
        .offset:         32
        .size:           8
        .value_kind:     global_buffer
      - .actual_access:  read_only
        .address_space:  global
        .offset:         40
        .size:           8
        .value_kind:     global_buffer
      - .actual_access:  read_only
        .address_space:  global
        .offset:         48
        .size:           8
        .value_kind:     global_buffer
      - .offset:         56
        .size:           16
        .value_kind:     by_value
      - .address_space:  global
        .offset:         72
        .size:           8
        .value_kind:     global_buffer
      - .offset:         80
        .size:           4
        .value_kind:     by_value
      - .offset:         84
        .size:           1
        .value_kind:     by_value
    .group_segment_fixed_size: 0
    .kernarg_segment_align: 8
    .kernarg_segment_size: 88
    .language:       OpenCL C
    .language_version:
      - 2
      - 0
    .max_flat_workgroup_size: 128
    .name:           _ZN9rocsparseL19gebsrmvn_2xn_kernelILj128ELj6ELj32E21rocsparse_complex_numIdEEEvi20rocsparse_direction_NS_24const_host_device_scalarIT2_EEPKiS8_PKS5_SA_S6_PS5_21rocsparse_index_base_b
    .private_segment_fixed_size: 0
    .sgpr_count:     24
    .sgpr_spill_count: 0
    .symbol:         _ZN9rocsparseL19gebsrmvn_2xn_kernelILj128ELj6ELj32E21rocsparse_complex_numIdEEEvi20rocsparse_direction_NS_24const_host_device_scalarIT2_EEPKiS8_PKS5_SA_S6_PS5_21rocsparse_index_base_b.kd
    .uniform_work_group_size: 1
    .uses_dynamic_stack: false
    .vgpr_count:     58
    .vgpr_spill_count: 0
    .wavefront_size: 64
  - .args:
      - .offset:         0
        .size:           4
        .value_kind:     by_value
      - .offset:         4
        .size:           4
        .value_kind:     by_value
      - .offset:         8
        .size:           16
        .value_kind:     by_value
      - .actual_access:  read_only
        .address_space:  global
        .offset:         24
        .size:           8
        .value_kind:     global_buffer
      - .actual_access:  read_only
        .address_space:  global
        .offset:         32
        .size:           8
        .value_kind:     global_buffer
      - .actual_access:  read_only
        .address_space:  global
        .offset:         40
        .size:           8
        .value_kind:     global_buffer
      - .actual_access:  read_only
        .address_space:  global
        .offset:         48
        .size:           8
        .value_kind:     global_buffer
      - .offset:         56
        .size:           16
        .value_kind:     by_value
      - .address_space:  global
        .offset:         72
        .size:           8
        .value_kind:     global_buffer
      - .offset:         80
        .size:           4
        .value_kind:     by_value
      - .offset:         84
        .size:           1
        .value_kind:     by_value
    .group_segment_fixed_size: 0
    .kernarg_segment_align: 8
    .kernarg_segment_size: 88
    .language:       OpenCL C
    .language_version:
      - 2
      - 0
    .max_flat_workgroup_size: 128
    .name:           _ZN9rocsparseL19gebsrmvn_2xn_kernelILj128ELj6ELj64E21rocsparse_complex_numIdEEEvi20rocsparse_direction_NS_24const_host_device_scalarIT2_EEPKiS8_PKS5_SA_S6_PS5_21rocsparse_index_base_b
    .private_segment_fixed_size: 0
    .sgpr_count:     24
    .sgpr_spill_count: 0
    .symbol:         _ZN9rocsparseL19gebsrmvn_2xn_kernelILj128ELj6ELj64E21rocsparse_complex_numIdEEEvi20rocsparse_direction_NS_24const_host_device_scalarIT2_EEPKiS8_PKS5_SA_S6_PS5_21rocsparse_index_base_b.kd
    .uniform_work_group_size: 1
    .uses_dynamic_stack: false
    .vgpr_count:     58
    .vgpr_spill_count: 0
    .wavefront_size: 64
  - .args:
      - .offset:         0
        .size:           4
        .value_kind:     by_value
      - .offset:         4
        .size:           4
        .value_kind:     by_value
      - .offset:         8
        .size:           16
        .value_kind:     by_value
      - .actual_access:  read_only
        .address_space:  global
        .offset:         24
        .size:           8
        .value_kind:     global_buffer
      - .actual_access:  read_only
        .address_space:  global
        .offset:         32
        .size:           8
        .value_kind:     global_buffer
      - .actual_access:  read_only
        .address_space:  global
        .offset:         40
        .size:           8
        .value_kind:     global_buffer
      - .actual_access:  read_only
        .address_space:  global
        .offset:         48
        .size:           8
        .value_kind:     global_buffer
      - .offset:         56
        .size:           16
        .value_kind:     by_value
      - .address_space:  global
        .offset:         72
        .size:           8
        .value_kind:     global_buffer
      - .offset:         80
        .size:           4
        .value_kind:     by_value
      - .offset:         84
        .size:           1
        .value_kind:     by_value
    .group_segment_fixed_size: 0
    .kernarg_segment_align: 8
    .kernarg_segment_size: 88
    .language:       OpenCL C
    .language_version:
      - 2
      - 0
    .max_flat_workgroup_size: 128
    .name:           _ZN9rocsparseL19gebsrmvn_2xn_kernelILj128ELj7ELj4E21rocsparse_complex_numIdEEEvi20rocsparse_direction_NS_24const_host_device_scalarIT2_EEPKiS8_PKS5_SA_S6_PS5_21rocsparse_index_base_b
    .private_segment_fixed_size: 0
    .sgpr_count:     20
    .sgpr_spill_count: 0
    .symbol:         _ZN9rocsparseL19gebsrmvn_2xn_kernelILj128ELj7ELj4E21rocsparse_complex_numIdEEEvi20rocsparse_direction_NS_24const_host_device_scalarIT2_EEPKiS8_PKS5_SA_S6_PS5_21rocsparse_index_base_b.kd
    .uniform_work_group_size: 1
    .uses_dynamic_stack: false
    .vgpr_count:     58
    .vgpr_spill_count: 0
    .wavefront_size: 64
  - .args:
      - .offset:         0
        .size:           4
        .value_kind:     by_value
      - .offset:         4
        .size:           4
        .value_kind:     by_value
      - .offset:         8
        .size:           16
        .value_kind:     by_value
      - .actual_access:  read_only
        .address_space:  global
        .offset:         24
        .size:           8
        .value_kind:     global_buffer
      - .actual_access:  read_only
        .address_space:  global
        .offset:         32
        .size:           8
        .value_kind:     global_buffer
      - .actual_access:  read_only
        .address_space:  global
        .offset:         40
        .size:           8
        .value_kind:     global_buffer
      - .actual_access:  read_only
        .address_space:  global
        .offset:         48
        .size:           8
        .value_kind:     global_buffer
      - .offset:         56
        .size:           16
        .value_kind:     by_value
      - .address_space:  global
        .offset:         72
        .size:           8
        .value_kind:     global_buffer
      - .offset:         80
        .size:           4
        .value_kind:     by_value
      - .offset:         84
        .size:           1
        .value_kind:     by_value
    .group_segment_fixed_size: 0
    .kernarg_segment_align: 8
    .kernarg_segment_size: 88
    .language:       OpenCL C
    .language_version:
      - 2
      - 0
    .max_flat_workgroup_size: 128
    .name:           _ZN9rocsparseL19gebsrmvn_2xn_kernelILj128ELj7ELj8E21rocsparse_complex_numIdEEEvi20rocsparse_direction_NS_24const_host_device_scalarIT2_EEPKiS8_PKS5_SA_S6_PS5_21rocsparse_index_base_b
    .private_segment_fixed_size: 0
    .sgpr_count:     20
    .sgpr_spill_count: 0
    .symbol:         _ZN9rocsparseL19gebsrmvn_2xn_kernelILj128ELj7ELj8E21rocsparse_complex_numIdEEEvi20rocsparse_direction_NS_24const_host_device_scalarIT2_EEPKiS8_PKS5_SA_S6_PS5_21rocsparse_index_base_b.kd
    .uniform_work_group_size: 1
    .uses_dynamic_stack: false
    .vgpr_count:     58
    .vgpr_spill_count: 0
    .wavefront_size: 64
  - .args:
      - .offset:         0
        .size:           4
        .value_kind:     by_value
      - .offset:         4
        .size:           4
        .value_kind:     by_value
      - .offset:         8
        .size:           16
        .value_kind:     by_value
      - .actual_access:  read_only
        .address_space:  global
        .offset:         24
        .size:           8
        .value_kind:     global_buffer
      - .actual_access:  read_only
        .address_space:  global
        .offset:         32
        .size:           8
        .value_kind:     global_buffer
      - .actual_access:  read_only
        .address_space:  global
        .offset:         40
        .size:           8
        .value_kind:     global_buffer
      - .actual_access:  read_only
        .address_space:  global
        .offset:         48
        .size:           8
        .value_kind:     global_buffer
      - .offset:         56
        .size:           16
        .value_kind:     by_value
      - .address_space:  global
        .offset:         72
        .size:           8
        .value_kind:     global_buffer
      - .offset:         80
        .size:           4
        .value_kind:     by_value
      - .offset:         84
        .size:           1
        .value_kind:     by_value
    .group_segment_fixed_size: 0
    .kernarg_segment_align: 8
    .kernarg_segment_size: 88
    .language:       OpenCL C
    .language_version:
      - 2
      - 0
    .max_flat_workgroup_size: 128
    .name:           _ZN9rocsparseL19gebsrmvn_2xn_kernelILj128ELj7ELj16E21rocsparse_complex_numIdEEEvi20rocsparse_direction_NS_24const_host_device_scalarIT2_EEPKiS8_PKS5_SA_S6_PS5_21rocsparse_index_base_b
    .private_segment_fixed_size: 0
    .sgpr_count:     20
    .sgpr_spill_count: 0
    .symbol:         _ZN9rocsparseL19gebsrmvn_2xn_kernelILj128ELj7ELj16E21rocsparse_complex_numIdEEEvi20rocsparse_direction_NS_24const_host_device_scalarIT2_EEPKiS8_PKS5_SA_S6_PS5_21rocsparse_index_base_b.kd
    .uniform_work_group_size: 1
    .uses_dynamic_stack: false
    .vgpr_count:     58
    .vgpr_spill_count: 0
    .wavefront_size: 64
  - .args:
      - .offset:         0
        .size:           4
        .value_kind:     by_value
      - .offset:         4
        .size:           4
        .value_kind:     by_value
      - .offset:         8
        .size:           16
        .value_kind:     by_value
      - .actual_access:  read_only
        .address_space:  global
        .offset:         24
        .size:           8
        .value_kind:     global_buffer
      - .actual_access:  read_only
        .address_space:  global
        .offset:         32
        .size:           8
        .value_kind:     global_buffer
      - .actual_access:  read_only
        .address_space:  global
        .offset:         40
        .size:           8
        .value_kind:     global_buffer
      - .actual_access:  read_only
        .address_space:  global
        .offset:         48
        .size:           8
        .value_kind:     global_buffer
      - .offset:         56
        .size:           16
        .value_kind:     by_value
      - .address_space:  global
        .offset:         72
        .size:           8
        .value_kind:     global_buffer
      - .offset:         80
        .size:           4
        .value_kind:     by_value
      - .offset:         84
        .size:           1
        .value_kind:     by_value
    .group_segment_fixed_size: 0
    .kernarg_segment_align: 8
    .kernarg_segment_size: 88
    .language:       OpenCL C
    .language_version:
      - 2
      - 0
    .max_flat_workgroup_size: 128
    .name:           _ZN9rocsparseL19gebsrmvn_2xn_kernelILj128ELj7ELj32E21rocsparse_complex_numIdEEEvi20rocsparse_direction_NS_24const_host_device_scalarIT2_EEPKiS8_PKS5_SA_S6_PS5_21rocsparse_index_base_b
    .private_segment_fixed_size: 0
    .sgpr_count:     20
    .sgpr_spill_count: 0
    .symbol:         _ZN9rocsparseL19gebsrmvn_2xn_kernelILj128ELj7ELj32E21rocsparse_complex_numIdEEEvi20rocsparse_direction_NS_24const_host_device_scalarIT2_EEPKiS8_PKS5_SA_S6_PS5_21rocsparse_index_base_b.kd
    .uniform_work_group_size: 1
    .uses_dynamic_stack: false
    .vgpr_count:     58
    .vgpr_spill_count: 0
    .wavefront_size: 64
  - .args:
      - .offset:         0
        .size:           4
        .value_kind:     by_value
      - .offset:         4
        .size:           4
        .value_kind:     by_value
      - .offset:         8
        .size:           16
        .value_kind:     by_value
      - .actual_access:  read_only
        .address_space:  global
        .offset:         24
        .size:           8
        .value_kind:     global_buffer
      - .actual_access:  read_only
        .address_space:  global
        .offset:         32
        .size:           8
        .value_kind:     global_buffer
      - .actual_access:  read_only
        .address_space:  global
        .offset:         40
        .size:           8
        .value_kind:     global_buffer
      - .actual_access:  read_only
        .address_space:  global
        .offset:         48
        .size:           8
        .value_kind:     global_buffer
      - .offset:         56
        .size:           16
        .value_kind:     by_value
      - .address_space:  global
        .offset:         72
        .size:           8
        .value_kind:     global_buffer
      - .offset:         80
        .size:           4
        .value_kind:     by_value
      - .offset:         84
        .size:           1
        .value_kind:     by_value
    .group_segment_fixed_size: 0
    .kernarg_segment_align: 8
    .kernarg_segment_size: 88
    .language:       OpenCL C
    .language_version:
      - 2
      - 0
    .max_flat_workgroup_size: 128
    .name:           _ZN9rocsparseL19gebsrmvn_2xn_kernelILj128ELj7ELj64E21rocsparse_complex_numIdEEEvi20rocsparse_direction_NS_24const_host_device_scalarIT2_EEPKiS8_PKS5_SA_S6_PS5_21rocsparse_index_base_b
    .private_segment_fixed_size: 0
    .sgpr_count:     20
    .sgpr_spill_count: 0
    .symbol:         _ZN9rocsparseL19gebsrmvn_2xn_kernelILj128ELj7ELj64E21rocsparse_complex_numIdEEEvi20rocsparse_direction_NS_24const_host_device_scalarIT2_EEPKiS8_PKS5_SA_S6_PS5_21rocsparse_index_base_b.kd
    .uniform_work_group_size: 1
    .uses_dynamic_stack: false
    .vgpr_count:     58
    .vgpr_spill_count: 0
    .wavefront_size: 64
  - .args:
      - .offset:         0
        .size:           4
        .value_kind:     by_value
      - .offset:         4
        .size:           4
        .value_kind:     by_value
      - .offset:         8
        .size:           16
        .value_kind:     by_value
      - .actual_access:  read_only
        .address_space:  global
        .offset:         24
        .size:           8
        .value_kind:     global_buffer
      - .actual_access:  read_only
        .address_space:  global
        .offset:         32
        .size:           8
        .value_kind:     global_buffer
      - .actual_access:  read_only
        .address_space:  global
        .offset:         40
        .size:           8
        .value_kind:     global_buffer
      - .actual_access:  read_only
        .address_space:  global
        .offset:         48
        .size:           8
        .value_kind:     global_buffer
      - .offset:         56
        .size:           16
        .value_kind:     by_value
      - .address_space:  global
        .offset:         72
        .size:           8
        .value_kind:     global_buffer
      - .offset:         80
        .size:           4
        .value_kind:     by_value
      - .offset:         84
        .size:           1
        .value_kind:     by_value
    .group_segment_fixed_size: 0
    .kernarg_segment_align: 8
    .kernarg_segment_size: 88
    .language:       OpenCL C
    .language_version:
      - 2
      - 0
    .max_flat_workgroup_size: 128
    .name:           _ZN9rocsparseL19gebsrmvn_2xn_kernelILj128ELj8ELj4E21rocsparse_complex_numIdEEEvi20rocsparse_direction_NS_24const_host_device_scalarIT2_EEPKiS8_PKS5_SA_S6_PS5_21rocsparse_index_base_b
    .private_segment_fixed_size: 0
    .sgpr_count:     20
    .sgpr_spill_count: 0
    .symbol:         _ZN9rocsparseL19gebsrmvn_2xn_kernelILj128ELj8ELj4E21rocsparse_complex_numIdEEEvi20rocsparse_direction_NS_24const_host_device_scalarIT2_EEPKiS8_PKS5_SA_S6_PS5_21rocsparse_index_base_b.kd
    .uniform_work_group_size: 1
    .uses_dynamic_stack: false
    .vgpr_count:     50
    .vgpr_spill_count: 0
    .wavefront_size: 64
  - .args:
      - .offset:         0
        .size:           4
        .value_kind:     by_value
      - .offset:         4
        .size:           4
        .value_kind:     by_value
      - .offset:         8
        .size:           16
        .value_kind:     by_value
      - .actual_access:  read_only
        .address_space:  global
        .offset:         24
        .size:           8
        .value_kind:     global_buffer
      - .actual_access:  read_only
        .address_space:  global
        .offset:         32
        .size:           8
        .value_kind:     global_buffer
      - .actual_access:  read_only
        .address_space:  global
        .offset:         40
        .size:           8
        .value_kind:     global_buffer
      - .actual_access:  read_only
        .address_space:  global
        .offset:         48
        .size:           8
        .value_kind:     global_buffer
      - .offset:         56
        .size:           16
        .value_kind:     by_value
      - .address_space:  global
        .offset:         72
        .size:           8
        .value_kind:     global_buffer
      - .offset:         80
        .size:           4
        .value_kind:     by_value
      - .offset:         84
        .size:           1
        .value_kind:     by_value
    .group_segment_fixed_size: 0
    .kernarg_segment_align: 8
    .kernarg_segment_size: 88
    .language:       OpenCL C
    .language_version:
      - 2
      - 0
    .max_flat_workgroup_size: 128
    .name:           _ZN9rocsparseL19gebsrmvn_2xn_kernelILj128ELj8ELj8E21rocsparse_complex_numIdEEEvi20rocsparse_direction_NS_24const_host_device_scalarIT2_EEPKiS8_PKS5_SA_S6_PS5_21rocsparse_index_base_b
    .private_segment_fixed_size: 0
    .sgpr_count:     20
    .sgpr_spill_count: 0
    .symbol:         _ZN9rocsparseL19gebsrmvn_2xn_kernelILj128ELj8ELj8E21rocsparse_complex_numIdEEEvi20rocsparse_direction_NS_24const_host_device_scalarIT2_EEPKiS8_PKS5_SA_S6_PS5_21rocsparse_index_base_b.kd
    .uniform_work_group_size: 1
    .uses_dynamic_stack: false
    .vgpr_count:     50
    .vgpr_spill_count: 0
    .wavefront_size: 64
  - .args:
      - .offset:         0
        .size:           4
        .value_kind:     by_value
      - .offset:         4
        .size:           4
        .value_kind:     by_value
      - .offset:         8
        .size:           16
        .value_kind:     by_value
      - .actual_access:  read_only
        .address_space:  global
        .offset:         24
        .size:           8
        .value_kind:     global_buffer
      - .actual_access:  read_only
        .address_space:  global
        .offset:         32
        .size:           8
        .value_kind:     global_buffer
      - .actual_access:  read_only
        .address_space:  global
        .offset:         40
        .size:           8
        .value_kind:     global_buffer
      - .actual_access:  read_only
        .address_space:  global
        .offset:         48
        .size:           8
        .value_kind:     global_buffer
      - .offset:         56
        .size:           16
        .value_kind:     by_value
      - .address_space:  global
        .offset:         72
        .size:           8
        .value_kind:     global_buffer
      - .offset:         80
        .size:           4
        .value_kind:     by_value
      - .offset:         84
        .size:           1
        .value_kind:     by_value
    .group_segment_fixed_size: 0
    .kernarg_segment_align: 8
    .kernarg_segment_size: 88
    .language:       OpenCL C
    .language_version:
      - 2
      - 0
    .max_flat_workgroup_size: 128
    .name:           _ZN9rocsparseL19gebsrmvn_2xn_kernelILj128ELj8ELj16E21rocsparse_complex_numIdEEEvi20rocsparse_direction_NS_24const_host_device_scalarIT2_EEPKiS8_PKS5_SA_S6_PS5_21rocsparse_index_base_b
    .private_segment_fixed_size: 0
    .sgpr_count:     20
    .sgpr_spill_count: 0
    .symbol:         _ZN9rocsparseL19gebsrmvn_2xn_kernelILj128ELj8ELj16E21rocsparse_complex_numIdEEEvi20rocsparse_direction_NS_24const_host_device_scalarIT2_EEPKiS8_PKS5_SA_S6_PS5_21rocsparse_index_base_b.kd
    .uniform_work_group_size: 1
    .uses_dynamic_stack: false
    .vgpr_count:     50
    .vgpr_spill_count: 0
    .wavefront_size: 64
  - .args:
      - .offset:         0
        .size:           4
        .value_kind:     by_value
      - .offset:         4
        .size:           4
        .value_kind:     by_value
      - .offset:         8
        .size:           16
        .value_kind:     by_value
      - .actual_access:  read_only
        .address_space:  global
        .offset:         24
        .size:           8
        .value_kind:     global_buffer
      - .actual_access:  read_only
        .address_space:  global
        .offset:         32
        .size:           8
        .value_kind:     global_buffer
      - .actual_access:  read_only
        .address_space:  global
        .offset:         40
        .size:           8
        .value_kind:     global_buffer
      - .actual_access:  read_only
        .address_space:  global
        .offset:         48
        .size:           8
        .value_kind:     global_buffer
      - .offset:         56
        .size:           16
        .value_kind:     by_value
      - .address_space:  global
        .offset:         72
        .size:           8
        .value_kind:     global_buffer
      - .offset:         80
        .size:           4
        .value_kind:     by_value
      - .offset:         84
        .size:           1
        .value_kind:     by_value
    .group_segment_fixed_size: 0
    .kernarg_segment_align: 8
    .kernarg_segment_size: 88
    .language:       OpenCL C
    .language_version:
      - 2
      - 0
    .max_flat_workgroup_size: 128
    .name:           _ZN9rocsparseL19gebsrmvn_2xn_kernelILj128ELj8ELj32E21rocsparse_complex_numIdEEEvi20rocsparse_direction_NS_24const_host_device_scalarIT2_EEPKiS8_PKS5_SA_S6_PS5_21rocsparse_index_base_b
    .private_segment_fixed_size: 0
    .sgpr_count:     20
    .sgpr_spill_count: 0
    .symbol:         _ZN9rocsparseL19gebsrmvn_2xn_kernelILj128ELj8ELj32E21rocsparse_complex_numIdEEEvi20rocsparse_direction_NS_24const_host_device_scalarIT2_EEPKiS8_PKS5_SA_S6_PS5_21rocsparse_index_base_b.kd
    .uniform_work_group_size: 1
    .uses_dynamic_stack: false
    .vgpr_count:     50
    .vgpr_spill_count: 0
    .wavefront_size: 64
  - .args:
      - .offset:         0
        .size:           4
        .value_kind:     by_value
      - .offset:         4
        .size:           4
        .value_kind:     by_value
      - .offset:         8
        .size:           16
        .value_kind:     by_value
      - .actual_access:  read_only
        .address_space:  global
        .offset:         24
        .size:           8
        .value_kind:     global_buffer
      - .actual_access:  read_only
        .address_space:  global
        .offset:         32
        .size:           8
        .value_kind:     global_buffer
      - .actual_access:  read_only
        .address_space:  global
        .offset:         40
        .size:           8
        .value_kind:     global_buffer
      - .actual_access:  read_only
        .address_space:  global
        .offset:         48
        .size:           8
        .value_kind:     global_buffer
      - .offset:         56
        .size:           16
        .value_kind:     by_value
      - .address_space:  global
        .offset:         72
        .size:           8
        .value_kind:     global_buffer
      - .offset:         80
        .size:           4
        .value_kind:     by_value
      - .offset:         84
        .size:           1
        .value_kind:     by_value
    .group_segment_fixed_size: 0
    .kernarg_segment_align: 8
    .kernarg_segment_size: 88
    .language:       OpenCL C
    .language_version:
      - 2
      - 0
    .max_flat_workgroup_size: 128
    .name:           _ZN9rocsparseL19gebsrmvn_2xn_kernelILj128ELj8ELj64E21rocsparse_complex_numIdEEEvi20rocsparse_direction_NS_24const_host_device_scalarIT2_EEPKiS8_PKS5_SA_S6_PS5_21rocsparse_index_base_b
    .private_segment_fixed_size: 0
    .sgpr_count:     20
    .sgpr_spill_count: 0
    .symbol:         _ZN9rocsparseL19gebsrmvn_2xn_kernelILj128ELj8ELj64E21rocsparse_complex_numIdEEEvi20rocsparse_direction_NS_24const_host_device_scalarIT2_EEPKiS8_PKS5_SA_S6_PS5_21rocsparse_index_base_b.kd
    .uniform_work_group_size: 1
    .uses_dynamic_stack: false
    .vgpr_count:     50
    .vgpr_spill_count: 0
    .wavefront_size: 64
  - .args:
      - .offset:         0
        .size:           4
        .value_kind:     by_value
      - .offset:         4
        .size:           4
        .value_kind:     by_value
      - .offset:         8
        .size:           16
        .value_kind:     by_value
      - .actual_access:  read_only
        .address_space:  global
        .offset:         24
        .size:           8
        .value_kind:     global_buffer
      - .actual_access:  read_only
        .address_space:  global
        .offset:         32
        .size:           8
        .value_kind:     global_buffer
      - .actual_access:  read_only
        .address_space:  global
        .offset:         40
        .size:           8
        .value_kind:     global_buffer
      - .actual_access:  read_only
        .address_space:  global
        .offset:         48
        .size:           8
        .value_kind:     global_buffer
      - .offset:         56
        .size:           16
        .value_kind:     by_value
      - .address_space:  global
        .offset:         72
        .size:           8
        .value_kind:     global_buffer
      - .offset:         80
        .size:           4
        .value_kind:     by_value
      - .offset:         84
        .size:           1
        .value_kind:     by_value
    .group_segment_fixed_size: 0
    .kernarg_segment_align: 8
    .kernarg_segment_size: 88
    .language:       OpenCL C
    .language_version:
      - 2
      - 0
    .max_flat_workgroup_size: 128
    .name:           _ZN9rocsparseL19gebsrmvn_2xn_kernelILj128ELj9ELj4E21rocsparse_complex_numIdEEEvi20rocsparse_direction_NS_24const_host_device_scalarIT2_EEPKiS8_PKS5_SA_S6_PS5_21rocsparse_index_base_b
    .private_segment_fixed_size: 0
    .sgpr_count:     20
    .sgpr_spill_count: 0
    .symbol:         _ZN9rocsparseL19gebsrmvn_2xn_kernelILj128ELj9ELj4E21rocsparse_complex_numIdEEEvi20rocsparse_direction_NS_24const_host_device_scalarIT2_EEPKiS8_PKS5_SA_S6_PS5_21rocsparse_index_base_b.kd
    .uniform_work_group_size: 1
    .uses_dynamic_stack: false
    .vgpr_count:     58
    .vgpr_spill_count: 0
    .wavefront_size: 64
  - .args:
      - .offset:         0
        .size:           4
        .value_kind:     by_value
      - .offset:         4
        .size:           4
        .value_kind:     by_value
      - .offset:         8
        .size:           16
        .value_kind:     by_value
      - .actual_access:  read_only
        .address_space:  global
        .offset:         24
        .size:           8
        .value_kind:     global_buffer
      - .actual_access:  read_only
        .address_space:  global
        .offset:         32
        .size:           8
        .value_kind:     global_buffer
      - .actual_access:  read_only
        .address_space:  global
        .offset:         40
        .size:           8
        .value_kind:     global_buffer
      - .actual_access:  read_only
        .address_space:  global
        .offset:         48
        .size:           8
        .value_kind:     global_buffer
      - .offset:         56
        .size:           16
        .value_kind:     by_value
      - .address_space:  global
        .offset:         72
        .size:           8
        .value_kind:     global_buffer
      - .offset:         80
        .size:           4
        .value_kind:     by_value
      - .offset:         84
        .size:           1
        .value_kind:     by_value
    .group_segment_fixed_size: 0
    .kernarg_segment_align: 8
    .kernarg_segment_size: 88
    .language:       OpenCL C
    .language_version:
      - 2
      - 0
    .max_flat_workgroup_size: 128
    .name:           _ZN9rocsparseL19gebsrmvn_2xn_kernelILj128ELj9ELj8E21rocsparse_complex_numIdEEEvi20rocsparse_direction_NS_24const_host_device_scalarIT2_EEPKiS8_PKS5_SA_S6_PS5_21rocsparse_index_base_b
    .private_segment_fixed_size: 0
    .sgpr_count:     20
    .sgpr_spill_count: 0
    .symbol:         _ZN9rocsparseL19gebsrmvn_2xn_kernelILj128ELj9ELj8E21rocsparse_complex_numIdEEEvi20rocsparse_direction_NS_24const_host_device_scalarIT2_EEPKiS8_PKS5_SA_S6_PS5_21rocsparse_index_base_b.kd
    .uniform_work_group_size: 1
    .uses_dynamic_stack: false
    .vgpr_count:     58
    .vgpr_spill_count: 0
    .wavefront_size: 64
  - .args:
      - .offset:         0
        .size:           4
        .value_kind:     by_value
      - .offset:         4
        .size:           4
        .value_kind:     by_value
      - .offset:         8
        .size:           16
        .value_kind:     by_value
      - .actual_access:  read_only
        .address_space:  global
        .offset:         24
        .size:           8
        .value_kind:     global_buffer
      - .actual_access:  read_only
        .address_space:  global
        .offset:         32
        .size:           8
        .value_kind:     global_buffer
      - .actual_access:  read_only
        .address_space:  global
        .offset:         40
        .size:           8
        .value_kind:     global_buffer
      - .actual_access:  read_only
        .address_space:  global
        .offset:         48
        .size:           8
        .value_kind:     global_buffer
      - .offset:         56
        .size:           16
        .value_kind:     by_value
      - .address_space:  global
        .offset:         72
        .size:           8
        .value_kind:     global_buffer
      - .offset:         80
        .size:           4
        .value_kind:     by_value
      - .offset:         84
        .size:           1
        .value_kind:     by_value
    .group_segment_fixed_size: 0
    .kernarg_segment_align: 8
    .kernarg_segment_size: 88
    .language:       OpenCL C
    .language_version:
      - 2
      - 0
    .max_flat_workgroup_size: 128
    .name:           _ZN9rocsparseL19gebsrmvn_2xn_kernelILj128ELj9ELj16E21rocsparse_complex_numIdEEEvi20rocsparse_direction_NS_24const_host_device_scalarIT2_EEPKiS8_PKS5_SA_S6_PS5_21rocsparse_index_base_b
    .private_segment_fixed_size: 0
    .sgpr_count:     20
    .sgpr_spill_count: 0
    .symbol:         _ZN9rocsparseL19gebsrmvn_2xn_kernelILj128ELj9ELj16E21rocsparse_complex_numIdEEEvi20rocsparse_direction_NS_24const_host_device_scalarIT2_EEPKiS8_PKS5_SA_S6_PS5_21rocsparse_index_base_b.kd
    .uniform_work_group_size: 1
    .uses_dynamic_stack: false
    .vgpr_count:     58
    .vgpr_spill_count: 0
    .wavefront_size: 64
  - .args:
      - .offset:         0
        .size:           4
        .value_kind:     by_value
      - .offset:         4
        .size:           4
        .value_kind:     by_value
      - .offset:         8
        .size:           16
        .value_kind:     by_value
      - .actual_access:  read_only
        .address_space:  global
        .offset:         24
        .size:           8
        .value_kind:     global_buffer
      - .actual_access:  read_only
        .address_space:  global
        .offset:         32
        .size:           8
        .value_kind:     global_buffer
      - .actual_access:  read_only
        .address_space:  global
        .offset:         40
        .size:           8
        .value_kind:     global_buffer
      - .actual_access:  read_only
        .address_space:  global
        .offset:         48
        .size:           8
        .value_kind:     global_buffer
      - .offset:         56
        .size:           16
        .value_kind:     by_value
      - .address_space:  global
        .offset:         72
        .size:           8
        .value_kind:     global_buffer
      - .offset:         80
        .size:           4
        .value_kind:     by_value
      - .offset:         84
        .size:           1
        .value_kind:     by_value
    .group_segment_fixed_size: 0
    .kernarg_segment_align: 8
    .kernarg_segment_size: 88
    .language:       OpenCL C
    .language_version:
      - 2
      - 0
    .max_flat_workgroup_size: 128
    .name:           _ZN9rocsparseL19gebsrmvn_2xn_kernelILj128ELj9ELj32E21rocsparse_complex_numIdEEEvi20rocsparse_direction_NS_24const_host_device_scalarIT2_EEPKiS8_PKS5_SA_S6_PS5_21rocsparse_index_base_b
    .private_segment_fixed_size: 0
    .sgpr_count:     20
    .sgpr_spill_count: 0
    .symbol:         _ZN9rocsparseL19gebsrmvn_2xn_kernelILj128ELj9ELj32E21rocsparse_complex_numIdEEEvi20rocsparse_direction_NS_24const_host_device_scalarIT2_EEPKiS8_PKS5_SA_S6_PS5_21rocsparse_index_base_b.kd
    .uniform_work_group_size: 1
    .uses_dynamic_stack: false
    .vgpr_count:     58
    .vgpr_spill_count: 0
    .wavefront_size: 64
  - .args:
      - .offset:         0
        .size:           4
        .value_kind:     by_value
      - .offset:         4
        .size:           4
        .value_kind:     by_value
      - .offset:         8
        .size:           16
        .value_kind:     by_value
      - .actual_access:  read_only
        .address_space:  global
        .offset:         24
        .size:           8
        .value_kind:     global_buffer
      - .actual_access:  read_only
        .address_space:  global
        .offset:         32
        .size:           8
        .value_kind:     global_buffer
      - .actual_access:  read_only
        .address_space:  global
        .offset:         40
        .size:           8
        .value_kind:     global_buffer
      - .actual_access:  read_only
        .address_space:  global
        .offset:         48
        .size:           8
        .value_kind:     global_buffer
      - .offset:         56
        .size:           16
        .value_kind:     by_value
      - .address_space:  global
        .offset:         72
        .size:           8
        .value_kind:     global_buffer
      - .offset:         80
        .size:           4
        .value_kind:     by_value
      - .offset:         84
        .size:           1
        .value_kind:     by_value
    .group_segment_fixed_size: 0
    .kernarg_segment_align: 8
    .kernarg_segment_size: 88
    .language:       OpenCL C
    .language_version:
      - 2
      - 0
    .max_flat_workgroup_size: 128
    .name:           _ZN9rocsparseL19gebsrmvn_2xn_kernelILj128ELj9ELj64E21rocsparse_complex_numIdEEEvi20rocsparse_direction_NS_24const_host_device_scalarIT2_EEPKiS8_PKS5_SA_S6_PS5_21rocsparse_index_base_b
    .private_segment_fixed_size: 0
    .sgpr_count:     20
    .sgpr_spill_count: 0
    .symbol:         _ZN9rocsparseL19gebsrmvn_2xn_kernelILj128ELj9ELj64E21rocsparse_complex_numIdEEEvi20rocsparse_direction_NS_24const_host_device_scalarIT2_EEPKiS8_PKS5_SA_S6_PS5_21rocsparse_index_base_b.kd
    .uniform_work_group_size: 1
    .uses_dynamic_stack: false
    .vgpr_count:     58
    .vgpr_spill_count: 0
    .wavefront_size: 64
  - .args:
      - .offset:         0
        .size:           4
        .value_kind:     by_value
      - .offset:         4
        .size:           4
        .value_kind:     by_value
      - .offset:         8
        .size:           16
        .value_kind:     by_value
      - .actual_access:  read_only
        .address_space:  global
        .offset:         24
        .size:           8
        .value_kind:     global_buffer
      - .actual_access:  read_only
        .address_space:  global
        .offset:         32
        .size:           8
        .value_kind:     global_buffer
      - .actual_access:  read_only
        .address_space:  global
        .offset:         40
        .size:           8
        .value_kind:     global_buffer
      - .actual_access:  read_only
        .address_space:  global
        .offset:         48
        .size:           8
        .value_kind:     global_buffer
      - .offset:         56
        .size:           16
        .value_kind:     by_value
      - .address_space:  global
        .offset:         72
        .size:           8
        .value_kind:     global_buffer
      - .offset:         80
        .size:           4
        .value_kind:     by_value
      - .offset:         84
        .size:           1
        .value_kind:     by_value
    .group_segment_fixed_size: 0
    .kernarg_segment_align: 8
    .kernarg_segment_size: 88
    .language:       OpenCL C
    .language_version:
      - 2
      - 0
    .max_flat_workgroup_size: 128
    .name:           _ZN9rocsparseL19gebsrmvn_2xn_kernelILj128ELj10ELj4E21rocsparse_complex_numIdEEEvi20rocsparse_direction_NS_24const_host_device_scalarIT2_EEPKiS8_PKS5_SA_S6_PS5_21rocsparse_index_base_b
    .private_segment_fixed_size: 0
    .sgpr_count:     24
    .sgpr_spill_count: 0
    .symbol:         _ZN9rocsparseL19gebsrmvn_2xn_kernelILj128ELj10ELj4E21rocsparse_complex_numIdEEEvi20rocsparse_direction_NS_24const_host_device_scalarIT2_EEPKiS8_PKS5_SA_S6_PS5_21rocsparse_index_base_b.kd
    .uniform_work_group_size: 1
    .uses_dynamic_stack: false
    .vgpr_count:     58
    .vgpr_spill_count: 0
    .wavefront_size: 64
  - .args:
      - .offset:         0
        .size:           4
        .value_kind:     by_value
      - .offset:         4
        .size:           4
        .value_kind:     by_value
      - .offset:         8
        .size:           16
        .value_kind:     by_value
      - .actual_access:  read_only
        .address_space:  global
        .offset:         24
        .size:           8
        .value_kind:     global_buffer
      - .actual_access:  read_only
        .address_space:  global
        .offset:         32
        .size:           8
        .value_kind:     global_buffer
      - .actual_access:  read_only
        .address_space:  global
        .offset:         40
        .size:           8
        .value_kind:     global_buffer
      - .actual_access:  read_only
        .address_space:  global
        .offset:         48
        .size:           8
        .value_kind:     global_buffer
      - .offset:         56
        .size:           16
        .value_kind:     by_value
      - .address_space:  global
        .offset:         72
        .size:           8
        .value_kind:     global_buffer
      - .offset:         80
        .size:           4
        .value_kind:     by_value
      - .offset:         84
        .size:           1
        .value_kind:     by_value
    .group_segment_fixed_size: 0
    .kernarg_segment_align: 8
    .kernarg_segment_size: 88
    .language:       OpenCL C
    .language_version:
      - 2
      - 0
    .max_flat_workgroup_size: 128
    .name:           _ZN9rocsparseL19gebsrmvn_2xn_kernelILj128ELj10ELj8E21rocsparse_complex_numIdEEEvi20rocsparse_direction_NS_24const_host_device_scalarIT2_EEPKiS8_PKS5_SA_S6_PS5_21rocsparse_index_base_b
    .private_segment_fixed_size: 0
    .sgpr_count:     24
    .sgpr_spill_count: 0
    .symbol:         _ZN9rocsparseL19gebsrmvn_2xn_kernelILj128ELj10ELj8E21rocsparse_complex_numIdEEEvi20rocsparse_direction_NS_24const_host_device_scalarIT2_EEPKiS8_PKS5_SA_S6_PS5_21rocsparse_index_base_b.kd
    .uniform_work_group_size: 1
    .uses_dynamic_stack: false
    .vgpr_count:     58
    .vgpr_spill_count: 0
    .wavefront_size: 64
  - .args:
      - .offset:         0
        .size:           4
        .value_kind:     by_value
      - .offset:         4
        .size:           4
        .value_kind:     by_value
      - .offset:         8
        .size:           16
        .value_kind:     by_value
      - .actual_access:  read_only
        .address_space:  global
        .offset:         24
        .size:           8
        .value_kind:     global_buffer
      - .actual_access:  read_only
        .address_space:  global
        .offset:         32
        .size:           8
        .value_kind:     global_buffer
      - .actual_access:  read_only
        .address_space:  global
        .offset:         40
        .size:           8
        .value_kind:     global_buffer
      - .actual_access:  read_only
        .address_space:  global
        .offset:         48
        .size:           8
        .value_kind:     global_buffer
      - .offset:         56
        .size:           16
        .value_kind:     by_value
      - .address_space:  global
        .offset:         72
        .size:           8
        .value_kind:     global_buffer
      - .offset:         80
        .size:           4
        .value_kind:     by_value
      - .offset:         84
        .size:           1
        .value_kind:     by_value
    .group_segment_fixed_size: 0
    .kernarg_segment_align: 8
    .kernarg_segment_size: 88
    .language:       OpenCL C
    .language_version:
      - 2
      - 0
    .max_flat_workgroup_size: 128
    .name:           _ZN9rocsparseL19gebsrmvn_2xn_kernelILj128ELj10ELj16E21rocsparse_complex_numIdEEEvi20rocsparse_direction_NS_24const_host_device_scalarIT2_EEPKiS8_PKS5_SA_S6_PS5_21rocsparse_index_base_b
    .private_segment_fixed_size: 0
    .sgpr_count:     24
    .sgpr_spill_count: 0
    .symbol:         _ZN9rocsparseL19gebsrmvn_2xn_kernelILj128ELj10ELj16E21rocsparse_complex_numIdEEEvi20rocsparse_direction_NS_24const_host_device_scalarIT2_EEPKiS8_PKS5_SA_S6_PS5_21rocsparse_index_base_b.kd
    .uniform_work_group_size: 1
    .uses_dynamic_stack: false
    .vgpr_count:     58
    .vgpr_spill_count: 0
    .wavefront_size: 64
  - .args:
      - .offset:         0
        .size:           4
        .value_kind:     by_value
      - .offset:         4
        .size:           4
        .value_kind:     by_value
      - .offset:         8
        .size:           16
        .value_kind:     by_value
      - .actual_access:  read_only
        .address_space:  global
        .offset:         24
        .size:           8
        .value_kind:     global_buffer
      - .actual_access:  read_only
        .address_space:  global
        .offset:         32
        .size:           8
        .value_kind:     global_buffer
      - .actual_access:  read_only
        .address_space:  global
        .offset:         40
        .size:           8
        .value_kind:     global_buffer
      - .actual_access:  read_only
        .address_space:  global
        .offset:         48
        .size:           8
        .value_kind:     global_buffer
      - .offset:         56
        .size:           16
        .value_kind:     by_value
      - .address_space:  global
        .offset:         72
        .size:           8
        .value_kind:     global_buffer
      - .offset:         80
        .size:           4
        .value_kind:     by_value
      - .offset:         84
        .size:           1
        .value_kind:     by_value
    .group_segment_fixed_size: 0
    .kernarg_segment_align: 8
    .kernarg_segment_size: 88
    .language:       OpenCL C
    .language_version:
      - 2
      - 0
    .max_flat_workgroup_size: 128
    .name:           _ZN9rocsparseL19gebsrmvn_2xn_kernelILj128ELj10ELj32E21rocsparse_complex_numIdEEEvi20rocsparse_direction_NS_24const_host_device_scalarIT2_EEPKiS8_PKS5_SA_S6_PS5_21rocsparse_index_base_b
    .private_segment_fixed_size: 0
    .sgpr_count:     24
    .sgpr_spill_count: 0
    .symbol:         _ZN9rocsparseL19gebsrmvn_2xn_kernelILj128ELj10ELj32E21rocsparse_complex_numIdEEEvi20rocsparse_direction_NS_24const_host_device_scalarIT2_EEPKiS8_PKS5_SA_S6_PS5_21rocsparse_index_base_b.kd
    .uniform_work_group_size: 1
    .uses_dynamic_stack: false
    .vgpr_count:     58
    .vgpr_spill_count: 0
    .wavefront_size: 64
  - .args:
      - .offset:         0
        .size:           4
        .value_kind:     by_value
      - .offset:         4
        .size:           4
        .value_kind:     by_value
      - .offset:         8
        .size:           16
        .value_kind:     by_value
      - .actual_access:  read_only
        .address_space:  global
        .offset:         24
        .size:           8
        .value_kind:     global_buffer
      - .actual_access:  read_only
        .address_space:  global
        .offset:         32
        .size:           8
        .value_kind:     global_buffer
      - .actual_access:  read_only
        .address_space:  global
        .offset:         40
        .size:           8
        .value_kind:     global_buffer
      - .actual_access:  read_only
        .address_space:  global
        .offset:         48
        .size:           8
        .value_kind:     global_buffer
      - .offset:         56
        .size:           16
        .value_kind:     by_value
      - .address_space:  global
        .offset:         72
        .size:           8
        .value_kind:     global_buffer
      - .offset:         80
        .size:           4
        .value_kind:     by_value
      - .offset:         84
        .size:           1
        .value_kind:     by_value
    .group_segment_fixed_size: 0
    .kernarg_segment_align: 8
    .kernarg_segment_size: 88
    .language:       OpenCL C
    .language_version:
      - 2
      - 0
    .max_flat_workgroup_size: 128
    .name:           _ZN9rocsparseL19gebsrmvn_2xn_kernelILj128ELj10ELj64E21rocsparse_complex_numIdEEEvi20rocsparse_direction_NS_24const_host_device_scalarIT2_EEPKiS8_PKS5_SA_S6_PS5_21rocsparse_index_base_b
    .private_segment_fixed_size: 0
    .sgpr_count:     24
    .sgpr_spill_count: 0
    .symbol:         _ZN9rocsparseL19gebsrmvn_2xn_kernelILj128ELj10ELj64E21rocsparse_complex_numIdEEEvi20rocsparse_direction_NS_24const_host_device_scalarIT2_EEPKiS8_PKS5_SA_S6_PS5_21rocsparse_index_base_b.kd
    .uniform_work_group_size: 1
    .uses_dynamic_stack: false
    .vgpr_count:     58
    .vgpr_spill_count: 0
    .wavefront_size: 64
  - .args:
      - .offset:         0
        .size:           4
        .value_kind:     by_value
      - .offset:         4
        .size:           4
        .value_kind:     by_value
      - .offset:         8
        .size:           16
        .value_kind:     by_value
      - .actual_access:  read_only
        .address_space:  global
        .offset:         24
        .size:           8
        .value_kind:     global_buffer
      - .actual_access:  read_only
        .address_space:  global
        .offset:         32
        .size:           8
        .value_kind:     global_buffer
      - .actual_access:  read_only
        .address_space:  global
        .offset:         40
        .size:           8
        .value_kind:     global_buffer
      - .actual_access:  read_only
        .address_space:  global
        .offset:         48
        .size:           8
        .value_kind:     global_buffer
      - .offset:         56
        .size:           16
        .value_kind:     by_value
      - .address_space:  global
        .offset:         72
        .size:           8
        .value_kind:     global_buffer
      - .offset:         80
        .size:           4
        .value_kind:     by_value
      - .offset:         84
        .size:           1
        .value_kind:     by_value
    .group_segment_fixed_size: 0
    .kernarg_segment_align: 8
    .kernarg_segment_size: 88
    .language:       OpenCL C
    .language_version:
      - 2
      - 0
    .max_flat_workgroup_size: 128
    .name:           _ZN9rocsparseL19gebsrmvn_2xn_kernelILj128ELj11ELj4E21rocsparse_complex_numIdEEEvi20rocsparse_direction_NS_24const_host_device_scalarIT2_EEPKiS8_PKS5_SA_S6_PS5_21rocsparse_index_base_b
    .private_segment_fixed_size: 0
    .sgpr_count:     20
    .sgpr_spill_count: 0
    .symbol:         _ZN9rocsparseL19gebsrmvn_2xn_kernelILj128ELj11ELj4E21rocsparse_complex_numIdEEEvi20rocsparse_direction_NS_24const_host_device_scalarIT2_EEPKiS8_PKS5_SA_S6_PS5_21rocsparse_index_base_b.kd
    .uniform_work_group_size: 1
    .uses_dynamic_stack: false
    .vgpr_count:     55
    .vgpr_spill_count: 0
    .wavefront_size: 64
  - .args:
      - .offset:         0
        .size:           4
        .value_kind:     by_value
      - .offset:         4
        .size:           4
        .value_kind:     by_value
      - .offset:         8
        .size:           16
        .value_kind:     by_value
      - .actual_access:  read_only
        .address_space:  global
        .offset:         24
        .size:           8
        .value_kind:     global_buffer
      - .actual_access:  read_only
        .address_space:  global
        .offset:         32
        .size:           8
        .value_kind:     global_buffer
      - .actual_access:  read_only
        .address_space:  global
        .offset:         40
        .size:           8
        .value_kind:     global_buffer
      - .actual_access:  read_only
        .address_space:  global
        .offset:         48
        .size:           8
        .value_kind:     global_buffer
      - .offset:         56
        .size:           16
        .value_kind:     by_value
      - .address_space:  global
        .offset:         72
        .size:           8
        .value_kind:     global_buffer
      - .offset:         80
        .size:           4
        .value_kind:     by_value
      - .offset:         84
        .size:           1
        .value_kind:     by_value
    .group_segment_fixed_size: 0
    .kernarg_segment_align: 8
    .kernarg_segment_size: 88
    .language:       OpenCL C
    .language_version:
      - 2
      - 0
    .max_flat_workgroup_size: 128
    .name:           _ZN9rocsparseL19gebsrmvn_2xn_kernelILj128ELj11ELj8E21rocsparse_complex_numIdEEEvi20rocsparse_direction_NS_24const_host_device_scalarIT2_EEPKiS8_PKS5_SA_S6_PS5_21rocsparse_index_base_b
    .private_segment_fixed_size: 0
    .sgpr_count:     20
    .sgpr_spill_count: 0
    .symbol:         _ZN9rocsparseL19gebsrmvn_2xn_kernelILj128ELj11ELj8E21rocsparse_complex_numIdEEEvi20rocsparse_direction_NS_24const_host_device_scalarIT2_EEPKiS8_PKS5_SA_S6_PS5_21rocsparse_index_base_b.kd
    .uniform_work_group_size: 1
    .uses_dynamic_stack: false
    .vgpr_count:     55
    .vgpr_spill_count: 0
    .wavefront_size: 64
  - .args:
      - .offset:         0
        .size:           4
        .value_kind:     by_value
      - .offset:         4
        .size:           4
        .value_kind:     by_value
      - .offset:         8
        .size:           16
        .value_kind:     by_value
      - .actual_access:  read_only
        .address_space:  global
        .offset:         24
        .size:           8
        .value_kind:     global_buffer
      - .actual_access:  read_only
        .address_space:  global
        .offset:         32
        .size:           8
        .value_kind:     global_buffer
      - .actual_access:  read_only
        .address_space:  global
        .offset:         40
        .size:           8
        .value_kind:     global_buffer
      - .actual_access:  read_only
        .address_space:  global
        .offset:         48
        .size:           8
        .value_kind:     global_buffer
      - .offset:         56
        .size:           16
        .value_kind:     by_value
      - .address_space:  global
        .offset:         72
        .size:           8
        .value_kind:     global_buffer
      - .offset:         80
        .size:           4
        .value_kind:     by_value
      - .offset:         84
        .size:           1
        .value_kind:     by_value
    .group_segment_fixed_size: 0
    .kernarg_segment_align: 8
    .kernarg_segment_size: 88
    .language:       OpenCL C
    .language_version:
      - 2
      - 0
    .max_flat_workgroup_size: 128
    .name:           _ZN9rocsparseL19gebsrmvn_2xn_kernelILj128ELj11ELj16E21rocsparse_complex_numIdEEEvi20rocsparse_direction_NS_24const_host_device_scalarIT2_EEPKiS8_PKS5_SA_S6_PS5_21rocsparse_index_base_b
    .private_segment_fixed_size: 0
    .sgpr_count:     20
    .sgpr_spill_count: 0
    .symbol:         _ZN9rocsparseL19gebsrmvn_2xn_kernelILj128ELj11ELj16E21rocsparse_complex_numIdEEEvi20rocsparse_direction_NS_24const_host_device_scalarIT2_EEPKiS8_PKS5_SA_S6_PS5_21rocsparse_index_base_b.kd
    .uniform_work_group_size: 1
    .uses_dynamic_stack: false
    .vgpr_count:     55
    .vgpr_spill_count: 0
    .wavefront_size: 64
  - .args:
      - .offset:         0
        .size:           4
        .value_kind:     by_value
      - .offset:         4
        .size:           4
        .value_kind:     by_value
      - .offset:         8
        .size:           16
        .value_kind:     by_value
      - .actual_access:  read_only
        .address_space:  global
        .offset:         24
        .size:           8
        .value_kind:     global_buffer
      - .actual_access:  read_only
        .address_space:  global
        .offset:         32
        .size:           8
        .value_kind:     global_buffer
      - .actual_access:  read_only
        .address_space:  global
        .offset:         40
        .size:           8
        .value_kind:     global_buffer
      - .actual_access:  read_only
        .address_space:  global
        .offset:         48
        .size:           8
        .value_kind:     global_buffer
      - .offset:         56
        .size:           16
        .value_kind:     by_value
      - .address_space:  global
        .offset:         72
        .size:           8
        .value_kind:     global_buffer
      - .offset:         80
        .size:           4
        .value_kind:     by_value
      - .offset:         84
        .size:           1
        .value_kind:     by_value
    .group_segment_fixed_size: 0
    .kernarg_segment_align: 8
    .kernarg_segment_size: 88
    .language:       OpenCL C
    .language_version:
      - 2
      - 0
    .max_flat_workgroup_size: 128
    .name:           _ZN9rocsparseL19gebsrmvn_2xn_kernelILj128ELj11ELj32E21rocsparse_complex_numIdEEEvi20rocsparse_direction_NS_24const_host_device_scalarIT2_EEPKiS8_PKS5_SA_S6_PS5_21rocsparse_index_base_b
    .private_segment_fixed_size: 0
    .sgpr_count:     20
    .sgpr_spill_count: 0
    .symbol:         _ZN9rocsparseL19gebsrmvn_2xn_kernelILj128ELj11ELj32E21rocsparse_complex_numIdEEEvi20rocsparse_direction_NS_24const_host_device_scalarIT2_EEPKiS8_PKS5_SA_S6_PS5_21rocsparse_index_base_b.kd
    .uniform_work_group_size: 1
    .uses_dynamic_stack: false
    .vgpr_count:     55
    .vgpr_spill_count: 0
    .wavefront_size: 64
  - .args:
      - .offset:         0
        .size:           4
        .value_kind:     by_value
      - .offset:         4
        .size:           4
        .value_kind:     by_value
      - .offset:         8
        .size:           16
        .value_kind:     by_value
      - .actual_access:  read_only
        .address_space:  global
        .offset:         24
        .size:           8
        .value_kind:     global_buffer
      - .actual_access:  read_only
        .address_space:  global
        .offset:         32
        .size:           8
        .value_kind:     global_buffer
      - .actual_access:  read_only
        .address_space:  global
        .offset:         40
        .size:           8
        .value_kind:     global_buffer
      - .actual_access:  read_only
        .address_space:  global
        .offset:         48
        .size:           8
        .value_kind:     global_buffer
      - .offset:         56
        .size:           16
        .value_kind:     by_value
      - .address_space:  global
        .offset:         72
        .size:           8
        .value_kind:     global_buffer
      - .offset:         80
        .size:           4
        .value_kind:     by_value
      - .offset:         84
        .size:           1
        .value_kind:     by_value
    .group_segment_fixed_size: 0
    .kernarg_segment_align: 8
    .kernarg_segment_size: 88
    .language:       OpenCL C
    .language_version:
      - 2
      - 0
    .max_flat_workgroup_size: 128
    .name:           _ZN9rocsparseL19gebsrmvn_2xn_kernelILj128ELj11ELj64E21rocsparse_complex_numIdEEEvi20rocsparse_direction_NS_24const_host_device_scalarIT2_EEPKiS8_PKS5_SA_S6_PS5_21rocsparse_index_base_b
    .private_segment_fixed_size: 0
    .sgpr_count:     20
    .sgpr_spill_count: 0
    .symbol:         _ZN9rocsparseL19gebsrmvn_2xn_kernelILj128ELj11ELj64E21rocsparse_complex_numIdEEEvi20rocsparse_direction_NS_24const_host_device_scalarIT2_EEPKiS8_PKS5_SA_S6_PS5_21rocsparse_index_base_b.kd
    .uniform_work_group_size: 1
    .uses_dynamic_stack: false
    .vgpr_count:     55
    .vgpr_spill_count: 0
    .wavefront_size: 64
  - .args:
      - .offset:         0
        .size:           4
        .value_kind:     by_value
      - .offset:         4
        .size:           4
        .value_kind:     by_value
      - .offset:         8
        .size:           16
        .value_kind:     by_value
      - .actual_access:  read_only
        .address_space:  global
        .offset:         24
        .size:           8
        .value_kind:     global_buffer
      - .actual_access:  read_only
        .address_space:  global
        .offset:         32
        .size:           8
        .value_kind:     global_buffer
      - .actual_access:  read_only
        .address_space:  global
        .offset:         40
        .size:           8
        .value_kind:     global_buffer
      - .actual_access:  read_only
        .address_space:  global
        .offset:         48
        .size:           8
        .value_kind:     global_buffer
      - .offset:         56
        .size:           16
        .value_kind:     by_value
      - .address_space:  global
        .offset:         72
        .size:           8
        .value_kind:     global_buffer
      - .offset:         80
        .size:           4
        .value_kind:     by_value
      - .offset:         84
        .size:           1
        .value_kind:     by_value
    .group_segment_fixed_size: 0
    .kernarg_segment_align: 8
    .kernarg_segment_size: 88
    .language:       OpenCL C
    .language_version:
      - 2
      - 0
    .max_flat_workgroup_size: 128
    .name:           _ZN9rocsparseL19gebsrmvn_2xn_kernelILj128ELj12ELj4E21rocsparse_complex_numIdEEEvi20rocsparse_direction_NS_24const_host_device_scalarIT2_EEPKiS8_PKS5_SA_S6_PS5_21rocsparse_index_base_b
    .private_segment_fixed_size: 0
    .sgpr_count:     22
    .sgpr_spill_count: 0
    .symbol:         _ZN9rocsparseL19gebsrmvn_2xn_kernelILj128ELj12ELj4E21rocsparse_complex_numIdEEEvi20rocsparse_direction_NS_24const_host_device_scalarIT2_EEPKiS8_PKS5_SA_S6_PS5_21rocsparse_index_base_b.kd
    .uniform_work_group_size: 1
    .uses_dynamic_stack: false
    .vgpr_count:     56
    .vgpr_spill_count: 0
    .wavefront_size: 64
  - .args:
      - .offset:         0
        .size:           4
        .value_kind:     by_value
      - .offset:         4
        .size:           4
        .value_kind:     by_value
      - .offset:         8
        .size:           16
        .value_kind:     by_value
      - .actual_access:  read_only
        .address_space:  global
        .offset:         24
        .size:           8
        .value_kind:     global_buffer
      - .actual_access:  read_only
        .address_space:  global
        .offset:         32
        .size:           8
        .value_kind:     global_buffer
      - .actual_access:  read_only
        .address_space:  global
        .offset:         40
        .size:           8
        .value_kind:     global_buffer
      - .actual_access:  read_only
        .address_space:  global
        .offset:         48
        .size:           8
        .value_kind:     global_buffer
      - .offset:         56
        .size:           16
        .value_kind:     by_value
      - .address_space:  global
        .offset:         72
        .size:           8
        .value_kind:     global_buffer
      - .offset:         80
        .size:           4
        .value_kind:     by_value
      - .offset:         84
        .size:           1
        .value_kind:     by_value
    .group_segment_fixed_size: 0
    .kernarg_segment_align: 8
    .kernarg_segment_size: 88
    .language:       OpenCL C
    .language_version:
      - 2
      - 0
    .max_flat_workgroup_size: 128
    .name:           _ZN9rocsparseL19gebsrmvn_2xn_kernelILj128ELj12ELj8E21rocsparse_complex_numIdEEEvi20rocsparse_direction_NS_24const_host_device_scalarIT2_EEPKiS8_PKS5_SA_S6_PS5_21rocsparse_index_base_b
    .private_segment_fixed_size: 0
    .sgpr_count:     22
    .sgpr_spill_count: 0
    .symbol:         _ZN9rocsparseL19gebsrmvn_2xn_kernelILj128ELj12ELj8E21rocsparse_complex_numIdEEEvi20rocsparse_direction_NS_24const_host_device_scalarIT2_EEPKiS8_PKS5_SA_S6_PS5_21rocsparse_index_base_b.kd
    .uniform_work_group_size: 1
    .uses_dynamic_stack: false
    .vgpr_count:     56
    .vgpr_spill_count: 0
    .wavefront_size: 64
  - .args:
      - .offset:         0
        .size:           4
        .value_kind:     by_value
      - .offset:         4
        .size:           4
        .value_kind:     by_value
      - .offset:         8
        .size:           16
        .value_kind:     by_value
      - .actual_access:  read_only
        .address_space:  global
        .offset:         24
        .size:           8
        .value_kind:     global_buffer
      - .actual_access:  read_only
        .address_space:  global
        .offset:         32
        .size:           8
        .value_kind:     global_buffer
      - .actual_access:  read_only
        .address_space:  global
        .offset:         40
        .size:           8
        .value_kind:     global_buffer
      - .actual_access:  read_only
        .address_space:  global
        .offset:         48
        .size:           8
        .value_kind:     global_buffer
      - .offset:         56
        .size:           16
        .value_kind:     by_value
      - .address_space:  global
        .offset:         72
        .size:           8
        .value_kind:     global_buffer
      - .offset:         80
        .size:           4
        .value_kind:     by_value
      - .offset:         84
        .size:           1
        .value_kind:     by_value
    .group_segment_fixed_size: 0
    .kernarg_segment_align: 8
    .kernarg_segment_size: 88
    .language:       OpenCL C
    .language_version:
      - 2
      - 0
    .max_flat_workgroup_size: 128
    .name:           _ZN9rocsparseL19gebsrmvn_2xn_kernelILj128ELj12ELj16E21rocsparse_complex_numIdEEEvi20rocsparse_direction_NS_24const_host_device_scalarIT2_EEPKiS8_PKS5_SA_S6_PS5_21rocsparse_index_base_b
    .private_segment_fixed_size: 0
    .sgpr_count:     22
    .sgpr_spill_count: 0
    .symbol:         _ZN9rocsparseL19gebsrmvn_2xn_kernelILj128ELj12ELj16E21rocsparse_complex_numIdEEEvi20rocsparse_direction_NS_24const_host_device_scalarIT2_EEPKiS8_PKS5_SA_S6_PS5_21rocsparse_index_base_b.kd
    .uniform_work_group_size: 1
    .uses_dynamic_stack: false
    .vgpr_count:     56
    .vgpr_spill_count: 0
    .wavefront_size: 64
  - .args:
      - .offset:         0
        .size:           4
        .value_kind:     by_value
      - .offset:         4
        .size:           4
        .value_kind:     by_value
      - .offset:         8
        .size:           16
        .value_kind:     by_value
      - .actual_access:  read_only
        .address_space:  global
        .offset:         24
        .size:           8
        .value_kind:     global_buffer
      - .actual_access:  read_only
        .address_space:  global
        .offset:         32
        .size:           8
        .value_kind:     global_buffer
      - .actual_access:  read_only
        .address_space:  global
        .offset:         40
        .size:           8
        .value_kind:     global_buffer
      - .actual_access:  read_only
        .address_space:  global
        .offset:         48
        .size:           8
        .value_kind:     global_buffer
      - .offset:         56
        .size:           16
        .value_kind:     by_value
      - .address_space:  global
        .offset:         72
        .size:           8
        .value_kind:     global_buffer
      - .offset:         80
        .size:           4
        .value_kind:     by_value
      - .offset:         84
        .size:           1
        .value_kind:     by_value
    .group_segment_fixed_size: 0
    .kernarg_segment_align: 8
    .kernarg_segment_size: 88
    .language:       OpenCL C
    .language_version:
      - 2
      - 0
    .max_flat_workgroup_size: 128
    .name:           _ZN9rocsparseL19gebsrmvn_2xn_kernelILj128ELj12ELj32E21rocsparse_complex_numIdEEEvi20rocsparse_direction_NS_24const_host_device_scalarIT2_EEPKiS8_PKS5_SA_S6_PS5_21rocsparse_index_base_b
    .private_segment_fixed_size: 0
    .sgpr_count:     22
    .sgpr_spill_count: 0
    .symbol:         _ZN9rocsparseL19gebsrmvn_2xn_kernelILj128ELj12ELj32E21rocsparse_complex_numIdEEEvi20rocsparse_direction_NS_24const_host_device_scalarIT2_EEPKiS8_PKS5_SA_S6_PS5_21rocsparse_index_base_b.kd
    .uniform_work_group_size: 1
    .uses_dynamic_stack: false
    .vgpr_count:     56
    .vgpr_spill_count: 0
    .wavefront_size: 64
  - .args:
      - .offset:         0
        .size:           4
        .value_kind:     by_value
      - .offset:         4
        .size:           4
        .value_kind:     by_value
      - .offset:         8
        .size:           16
        .value_kind:     by_value
      - .actual_access:  read_only
        .address_space:  global
        .offset:         24
        .size:           8
        .value_kind:     global_buffer
      - .actual_access:  read_only
        .address_space:  global
        .offset:         32
        .size:           8
        .value_kind:     global_buffer
      - .actual_access:  read_only
        .address_space:  global
        .offset:         40
        .size:           8
        .value_kind:     global_buffer
      - .actual_access:  read_only
        .address_space:  global
        .offset:         48
        .size:           8
        .value_kind:     global_buffer
      - .offset:         56
        .size:           16
        .value_kind:     by_value
      - .address_space:  global
        .offset:         72
        .size:           8
        .value_kind:     global_buffer
      - .offset:         80
        .size:           4
        .value_kind:     by_value
      - .offset:         84
        .size:           1
        .value_kind:     by_value
    .group_segment_fixed_size: 0
    .kernarg_segment_align: 8
    .kernarg_segment_size: 88
    .language:       OpenCL C
    .language_version:
      - 2
      - 0
    .max_flat_workgroup_size: 128
    .name:           _ZN9rocsparseL19gebsrmvn_2xn_kernelILj128ELj12ELj64E21rocsparse_complex_numIdEEEvi20rocsparse_direction_NS_24const_host_device_scalarIT2_EEPKiS8_PKS5_SA_S6_PS5_21rocsparse_index_base_b
    .private_segment_fixed_size: 0
    .sgpr_count:     22
    .sgpr_spill_count: 0
    .symbol:         _ZN9rocsparseL19gebsrmvn_2xn_kernelILj128ELj12ELj64E21rocsparse_complex_numIdEEEvi20rocsparse_direction_NS_24const_host_device_scalarIT2_EEPKiS8_PKS5_SA_S6_PS5_21rocsparse_index_base_b.kd
    .uniform_work_group_size: 1
    .uses_dynamic_stack: false
    .vgpr_count:     56
    .vgpr_spill_count: 0
    .wavefront_size: 64
  - .args:
      - .offset:         0
        .size:           4
        .value_kind:     by_value
      - .offset:         4
        .size:           4
        .value_kind:     by_value
      - .offset:         8
        .size:           16
        .value_kind:     by_value
      - .actual_access:  read_only
        .address_space:  global
        .offset:         24
        .size:           8
        .value_kind:     global_buffer
      - .actual_access:  read_only
        .address_space:  global
        .offset:         32
        .size:           8
        .value_kind:     global_buffer
      - .actual_access:  read_only
        .address_space:  global
        .offset:         40
        .size:           8
        .value_kind:     global_buffer
      - .actual_access:  read_only
        .address_space:  global
        .offset:         48
        .size:           8
        .value_kind:     global_buffer
      - .offset:         56
        .size:           16
        .value_kind:     by_value
      - .address_space:  global
        .offset:         72
        .size:           8
        .value_kind:     global_buffer
      - .offset:         80
        .size:           4
        .value_kind:     by_value
      - .offset:         84
        .size:           1
        .value_kind:     by_value
    .group_segment_fixed_size: 0
    .kernarg_segment_align: 8
    .kernarg_segment_size: 88
    .language:       OpenCL C
    .language_version:
      - 2
      - 0
    .max_flat_workgroup_size: 128
    .name:           _ZN9rocsparseL19gebsrmvn_2xn_kernelILj128ELj13ELj4E21rocsparse_complex_numIdEEEvi20rocsparse_direction_NS_24const_host_device_scalarIT2_EEPKiS8_PKS5_SA_S6_PS5_21rocsparse_index_base_b
    .private_segment_fixed_size: 0
    .sgpr_count:     20
    .sgpr_spill_count: 0
    .symbol:         _ZN9rocsparseL19gebsrmvn_2xn_kernelILj128ELj13ELj4E21rocsparse_complex_numIdEEEvi20rocsparse_direction_NS_24const_host_device_scalarIT2_EEPKiS8_PKS5_SA_S6_PS5_21rocsparse_index_base_b.kd
    .uniform_work_group_size: 1
    .uses_dynamic_stack: false
    .vgpr_count:     57
    .vgpr_spill_count: 0
    .wavefront_size: 64
  - .args:
      - .offset:         0
        .size:           4
        .value_kind:     by_value
      - .offset:         4
        .size:           4
        .value_kind:     by_value
      - .offset:         8
        .size:           16
        .value_kind:     by_value
      - .actual_access:  read_only
        .address_space:  global
        .offset:         24
        .size:           8
        .value_kind:     global_buffer
      - .actual_access:  read_only
        .address_space:  global
        .offset:         32
        .size:           8
        .value_kind:     global_buffer
      - .actual_access:  read_only
        .address_space:  global
        .offset:         40
        .size:           8
        .value_kind:     global_buffer
      - .actual_access:  read_only
        .address_space:  global
        .offset:         48
        .size:           8
        .value_kind:     global_buffer
      - .offset:         56
        .size:           16
        .value_kind:     by_value
      - .address_space:  global
        .offset:         72
        .size:           8
        .value_kind:     global_buffer
      - .offset:         80
        .size:           4
        .value_kind:     by_value
      - .offset:         84
        .size:           1
        .value_kind:     by_value
    .group_segment_fixed_size: 0
    .kernarg_segment_align: 8
    .kernarg_segment_size: 88
    .language:       OpenCL C
    .language_version:
      - 2
      - 0
    .max_flat_workgroup_size: 128
    .name:           _ZN9rocsparseL19gebsrmvn_2xn_kernelILj128ELj13ELj8E21rocsparse_complex_numIdEEEvi20rocsparse_direction_NS_24const_host_device_scalarIT2_EEPKiS8_PKS5_SA_S6_PS5_21rocsparse_index_base_b
    .private_segment_fixed_size: 0
    .sgpr_count:     20
    .sgpr_spill_count: 0
    .symbol:         _ZN9rocsparseL19gebsrmvn_2xn_kernelILj128ELj13ELj8E21rocsparse_complex_numIdEEEvi20rocsparse_direction_NS_24const_host_device_scalarIT2_EEPKiS8_PKS5_SA_S6_PS5_21rocsparse_index_base_b.kd
    .uniform_work_group_size: 1
    .uses_dynamic_stack: false
    .vgpr_count:     57
    .vgpr_spill_count: 0
    .wavefront_size: 64
  - .args:
      - .offset:         0
        .size:           4
        .value_kind:     by_value
      - .offset:         4
        .size:           4
        .value_kind:     by_value
      - .offset:         8
        .size:           16
        .value_kind:     by_value
      - .actual_access:  read_only
        .address_space:  global
        .offset:         24
        .size:           8
        .value_kind:     global_buffer
      - .actual_access:  read_only
        .address_space:  global
        .offset:         32
        .size:           8
        .value_kind:     global_buffer
      - .actual_access:  read_only
        .address_space:  global
        .offset:         40
        .size:           8
        .value_kind:     global_buffer
      - .actual_access:  read_only
        .address_space:  global
        .offset:         48
        .size:           8
        .value_kind:     global_buffer
      - .offset:         56
        .size:           16
        .value_kind:     by_value
      - .address_space:  global
        .offset:         72
        .size:           8
        .value_kind:     global_buffer
      - .offset:         80
        .size:           4
        .value_kind:     by_value
      - .offset:         84
        .size:           1
        .value_kind:     by_value
    .group_segment_fixed_size: 0
    .kernarg_segment_align: 8
    .kernarg_segment_size: 88
    .language:       OpenCL C
    .language_version:
      - 2
      - 0
    .max_flat_workgroup_size: 128
    .name:           _ZN9rocsparseL19gebsrmvn_2xn_kernelILj128ELj13ELj16E21rocsparse_complex_numIdEEEvi20rocsparse_direction_NS_24const_host_device_scalarIT2_EEPKiS8_PKS5_SA_S6_PS5_21rocsparse_index_base_b
    .private_segment_fixed_size: 0
    .sgpr_count:     20
    .sgpr_spill_count: 0
    .symbol:         _ZN9rocsparseL19gebsrmvn_2xn_kernelILj128ELj13ELj16E21rocsparse_complex_numIdEEEvi20rocsparse_direction_NS_24const_host_device_scalarIT2_EEPKiS8_PKS5_SA_S6_PS5_21rocsparse_index_base_b.kd
    .uniform_work_group_size: 1
    .uses_dynamic_stack: false
    .vgpr_count:     57
    .vgpr_spill_count: 0
    .wavefront_size: 64
  - .args:
      - .offset:         0
        .size:           4
        .value_kind:     by_value
      - .offset:         4
        .size:           4
        .value_kind:     by_value
      - .offset:         8
        .size:           16
        .value_kind:     by_value
      - .actual_access:  read_only
        .address_space:  global
        .offset:         24
        .size:           8
        .value_kind:     global_buffer
      - .actual_access:  read_only
        .address_space:  global
        .offset:         32
        .size:           8
        .value_kind:     global_buffer
      - .actual_access:  read_only
        .address_space:  global
        .offset:         40
        .size:           8
        .value_kind:     global_buffer
      - .actual_access:  read_only
        .address_space:  global
        .offset:         48
        .size:           8
        .value_kind:     global_buffer
      - .offset:         56
        .size:           16
        .value_kind:     by_value
      - .address_space:  global
        .offset:         72
        .size:           8
        .value_kind:     global_buffer
      - .offset:         80
        .size:           4
        .value_kind:     by_value
      - .offset:         84
        .size:           1
        .value_kind:     by_value
    .group_segment_fixed_size: 0
    .kernarg_segment_align: 8
    .kernarg_segment_size: 88
    .language:       OpenCL C
    .language_version:
      - 2
      - 0
    .max_flat_workgroup_size: 128
    .name:           _ZN9rocsparseL19gebsrmvn_2xn_kernelILj128ELj13ELj32E21rocsparse_complex_numIdEEEvi20rocsparse_direction_NS_24const_host_device_scalarIT2_EEPKiS8_PKS5_SA_S6_PS5_21rocsparse_index_base_b
    .private_segment_fixed_size: 0
    .sgpr_count:     20
    .sgpr_spill_count: 0
    .symbol:         _ZN9rocsparseL19gebsrmvn_2xn_kernelILj128ELj13ELj32E21rocsparse_complex_numIdEEEvi20rocsparse_direction_NS_24const_host_device_scalarIT2_EEPKiS8_PKS5_SA_S6_PS5_21rocsparse_index_base_b.kd
    .uniform_work_group_size: 1
    .uses_dynamic_stack: false
    .vgpr_count:     57
    .vgpr_spill_count: 0
    .wavefront_size: 64
  - .args:
      - .offset:         0
        .size:           4
        .value_kind:     by_value
      - .offset:         4
        .size:           4
        .value_kind:     by_value
      - .offset:         8
        .size:           16
        .value_kind:     by_value
      - .actual_access:  read_only
        .address_space:  global
        .offset:         24
        .size:           8
        .value_kind:     global_buffer
      - .actual_access:  read_only
        .address_space:  global
        .offset:         32
        .size:           8
        .value_kind:     global_buffer
      - .actual_access:  read_only
        .address_space:  global
        .offset:         40
        .size:           8
        .value_kind:     global_buffer
      - .actual_access:  read_only
        .address_space:  global
        .offset:         48
        .size:           8
        .value_kind:     global_buffer
      - .offset:         56
        .size:           16
        .value_kind:     by_value
      - .address_space:  global
        .offset:         72
        .size:           8
        .value_kind:     global_buffer
      - .offset:         80
        .size:           4
        .value_kind:     by_value
      - .offset:         84
        .size:           1
        .value_kind:     by_value
    .group_segment_fixed_size: 0
    .kernarg_segment_align: 8
    .kernarg_segment_size: 88
    .language:       OpenCL C
    .language_version:
      - 2
      - 0
    .max_flat_workgroup_size: 128
    .name:           _ZN9rocsparseL19gebsrmvn_2xn_kernelILj128ELj13ELj64E21rocsparse_complex_numIdEEEvi20rocsparse_direction_NS_24const_host_device_scalarIT2_EEPKiS8_PKS5_SA_S6_PS5_21rocsparse_index_base_b
    .private_segment_fixed_size: 0
    .sgpr_count:     20
    .sgpr_spill_count: 0
    .symbol:         _ZN9rocsparseL19gebsrmvn_2xn_kernelILj128ELj13ELj64E21rocsparse_complex_numIdEEEvi20rocsparse_direction_NS_24const_host_device_scalarIT2_EEPKiS8_PKS5_SA_S6_PS5_21rocsparse_index_base_b.kd
    .uniform_work_group_size: 1
    .uses_dynamic_stack: false
    .vgpr_count:     57
    .vgpr_spill_count: 0
    .wavefront_size: 64
  - .args:
      - .offset:         0
        .size:           4
        .value_kind:     by_value
      - .offset:         4
        .size:           4
        .value_kind:     by_value
      - .offset:         8
        .size:           16
        .value_kind:     by_value
      - .actual_access:  read_only
        .address_space:  global
        .offset:         24
        .size:           8
        .value_kind:     global_buffer
      - .actual_access:  read_only
        .address_space:  global
        .offset:         32
        .size:           8
        .value_kind:     global_buffer
      - .actual_access:  read_only
        .address_space:  global
        .offset:         40
        .size:           8
        .value_kind:     global_buffer
      - .actual_access:  read_only
        .address_space:  global
        .offset:         48
        .size:           8
        .value_kind:     global_buffer
      - .offset:         56
        .size:           16
        .value_kind:     by_value
      - .address_space:  global
        .offset:         72
        .size:           8
        .value_kind:     global_buffer
      - .offset:         80
        .size:           4
        .value_kind:     by_value
      - .offset:         84
        .size:           1
        .value_kind:     by_value
    .group_segment_fixed_size: 0
    .kernarg_segment_align: 8
    .kernarg_segment_size: 88
    .language:       OpenCL C
    .language_version:
      - 2
      - 0
    .max_flat_workgroup_size: 128
    .name:           _ZN9rocsparseL19gebsrmvn_2xn_kernelILj128ELj14ELj4E21rocsparse_complex_numIdEEEvi20rocsparse_direction_NS_24const_host_device_scalarIT2_EEPKiS8_PKS5_SA_S6_PS5_21rocsparse_index_base_b
    .private_segment_fixed_size: 0
    .sgpr_count:     20
    .sgpr_spill_count: 0
    .symbol:         _ZN9rocsparseL19gebsrmvn_2xn_kernelILj128ELj14ELj4E21rocsparse_complex_numIdEEEvi20rocsparse_direction_NS_24const_host_device_scalarIT2_EEPKiS8_PKS5_SA_S6_PS5_21rocsparse_index_base_b.kd
    .uniform_work_group_size: 1
    .uses_dynamic_stack: false
    .vgpr_count:     58
    .vgpr_spill_count: 0
    .wavefront_size: 64
  - .args:
      - .offset:         0
        .size:           4
        .value_kind:     by_value
      - .offset:         4
        .size:           4
        .value_kind:     by_value
      - .offset:         8
        .size:           16
        .value_kind:     by_value
      - .actual_access:  read_only
        .address_space:  global
        .offset:         24
        .size:           8
        .value_kind:     global_buffer
      - .actual_access:  read_only
        .address_space:  global
        .offset:         32
        .size:           8
        .value_kind:     global_buffer
      - .actual_access:  read_only
        .address_space:  global
        .offset:         40
        .size:           8
        .value_kind:     global_buffer
      - .actual_access:  read_only
        .address_space:  global
        .offset:         48
        .size:           8
        .value_kind:     global_buffer
      - .offset:         56
        .size:           16
        .value_kind:     by_value
      - .address_space:  global
        .offset:         72
        .size:           8
        .value_kind:     global_buffer
      - .offset:         80
        .size:           4
        .value_kind:     by_value
      - .offset:         84
        .size:           1
        .value_kind:     by_value
    .group_segment_fixed_size: 0
    .kernarg_segment_align: 8
    .kernarg_segment_size: 88
    .language:       OpenCL C
    .language_version:
      - 2
      - 0
    .max_flat_workgroup_size: 128
    .name:           _ZN9rocsparseL19gebsrmvn_2xn_kernelILj128ELj14ELj8E21rocsparse_complex_numIdEEEvi20rocsparse_direction_NS_24const_host_device_scalarIT2_EEPKiS8_PKS5_SA_S6_PS5_21rocsparse_index_base_b
    .private_segment_fixed_size: 0
    .sgpr_count:     20
    .sgpr_spill_count: 0
    .symbol:         _ZN9rocsparseL19gebsrmvn_2xn_kernelILj128ELj14ELj8E21rocsparse_complex_numIdEEEvi20rocsparse_direction_NS_24const_host_device_scalarIT2_EEPKiS8_PKS5_SA_S6_PS5_21rocsparse_index_base_b.kd
    .uniform_work_group_size: 1
    .uses_dynamic_stack: false
    .vgpr_count:     58
    .vgpr_spill_count: 0
    .wavefront_size: 64
  - .args:
      - .offset:         0
        .size:           4
        .value_kind:     by_value
      - .offset:         4
        .size:           4
        .value_kind:     by_value
      - .offset:         8
        .size:           16
        .value_kind:     by_value
      - .actual_access:  read_only
        .address_space:  global
        .offset:         24
        .size:           8
        .value_kind:     global_buffer
      - .actual_access:  read_only
        .address_space:  global
        .offset:         32
        .size:           8
        .value_kind:     global_buffer
      - .actual_access:  read_only
        .address_space:  global
        .offset:         40
        .size:           8
        .value_kind:     global_buffer
      - .actual_access:  read_only
        .address_space:  global
        .offset:         48
        .size:           8
        .value_kind:     global_buffer
      - .offset:         56
        .size:           16
        .value_kind:     by_value
      - .address_space:  global
        .offset:         72
        .size:           8
        .value_kind:     global_buffer
      - .offset:         80
        .size:           4
        .value_kind:     by_value
      - .offset:         84
        .size:           1
        .value_kind:     by_value
    .group_segment_fixed_size: 0
    .kernarg_segment_align: 8
    .kernarg_segment_size: 88
    .language:       OpenCL C
    .language_version:
      - 2
      - 0
    .max_flat_workgroup_size: 128
    .name:           _ZN9rocsparseL19gebsrmvn_2xn_kernelILj128ELj14ELj16E21rocsparse_complex_numIdEEEvi20rocsparse_direction_NS_24const_host_device_scalarIT2_EEPKiS8_PKS5_SA_S6_PS5_21rocsparse_index_base_b
    .private_segment_fixed_size: 0
    .sgpr_count:     20
    .sgpr_spill_count: 0
    .symbol:         _ZN9rocsparseL19gebsrmvn_2xn_kernelILj128ELj14ELj16E21rocsparse_complex_numIdEEEvi20rocsparse_direction_NS_24const_host_device_scalarIT2_EEPKiS8_PKS5_SA_S6_PS5_21rocsparse_index_base_b.kd
    .uniform_work_group_size: 1
    .uses_dynamic_stack: false
    .vgpr_count:     58
    .vgpr_spill_count: 0
    .wavefront_size: 64
  - .args:
      - .offset:         0
        .size:           4
        .value_kind:     by_value
      - .offset:         4
        .size:           4
        .value_kind:     by_value
      - .offset:         8
        .size:           16
        .value_kind:     by_value
      - .actual_access:  read_only
        .address_space:  global
        .offset:         24
        .size:           8
        .value_kind:     global_buffer
      - .actual_access:  read_only
        .address_space:  global
        .offset:         32
        .size:           8
        .value_kind:     global_buffer
      - .actual_access:  read_only
        .address_space:  global
        .offset:         40
        .size:           8
        .value_kind:     global_buffer
      - .actual_access:  read_only
        .address_space:  global
        .offset:         48
        .size:           8
        .value_kind:     global_buffer
      - .offset:         56
        .size:           16
        .value_kind:     by_value
      - .address_space:  global
        .offset:         72
        .size:           8
        .value_kind:     global_buffer
      - .offset:         80
        .size:           4
        .value_kind:     by_value
      - .offset:         84
        .size:           1
        .value_kind:     by_value
    .group_segment_fixed_size: 0
    .kernarg_segment_align: 8
    .kernarg_segment_size: 88
    .language:       OpenCL C
    .language_version:
      - 2
      - 0
    .max_flat_workgroup_size: 128
    .name:           _ZN9rocsparseL19gebsrmvn_2xn_kernelILj128ELj14ELj32E21rocsparse_complex_numIdEEEvi20rocsparse_direction_NS_24const_host_device_scalarIT2_EEPKiS8_PKS5_SA_S6_PS5_21rocsparse_index_base_b
    .private_segment_fixed_size: 0
    .sgpr_count:     20
    .sgpr_spill_count: 0
    .symbol:         _ZN9rocsparseL19gebsrmvn_2xn_kernelILj128ELj14ELj32E21rocsparse_complex_numIdEEEvi20rocsparse_direction_NS_24const_host_device_scalarIT2_EEPKiS8_PKS5_SA_S6_PS5_21rocsparse_index_base_b.kd
    .uniform_work_group_size: 1
    .uses_dynamic_stack: false
    .vgpr_count:     58
    .vgpr_spill_count: 0
    .wavefront_size: 64
  - .args:
      - .offset:         0
        .size:           4
        .value_kind:     by_value
      - .offset:         4
        .size:           4
        .value_kind:     by_value
      - .offset:         8
        .size:           16
        .value_kind:     by_value
      - .actual_access:  read_only
        .address_space:  global
        .offset:         24
        .size:           8
        .value_kind:     global_buffer
      - .actual_access:  read_only
        .address_space:  global
        .offset:         32
        .size:           8
        .value_kind:     global_buffer
      - .actual_access:  read_only
        .address_space:  global
        .offset:         40
        .size:           8
        .value_kind:     global_buffer
      - .actual_access:  read_only
        .address_space:  global
        .offset:         48
        .size:           8
        .value_kind:     global_buffer
      - .offset:         56
        .size:           16
        .value_kind:     by_value
      - .address_space:  global
        .offset:         72
        .size:           8
        .value_kind:     global_buffer
      - .offset:         80
        .size:           4
        .value_kind:     by_value
      - .offset:         84
        .size:           1
        .value_kind:     by_value
    .group_segment_fixed_size: 0
    .kernarg_segment_align: 8
    .kernarg_segment_size: 88
    .language:       OpenCL C
    .language_version:
      - 2
      - 0
    .max_flat_workgroup_size: 128
    .name:           _ZN9rocsparseL19gebsrmvn_2xn_kernelILj128ELj14ELj64E21rocsparse_complex_numIdEEEvi20rocsparse_direction_NS_24const_host_device_scalarIT2_EEPKiS8_PKS5_SA_S6_PS5_21rocsparse_index_base_b
    .private_segment_fixed_size: 0
    .sgpr_count:     20
    .sgpr_spill_count: 0
    .symbol:         _ZN9rocsparseL19gebsrmvn_2xn_kernelILj128ELj14ELj64E21rocsparse_complex_numIdEEEvi20rocsparse_direction_NS_24const_host_device_scalarIT2_EEPKiS8_PKS5_SA_S6_PS5_21rocsparse_index_base_b.kd
    .uniform_work_group_size: 1
    .uses_dynamic_stack: false
    .vgpr_count:     58
    .vgpr_spill_count: 0
    .wavefront_size: 64
  - .args:
      - .offset:         0
        .size:           4
        .value_kind:     by_value
      - .offset:         4
        .size:           4
        .value_kind:     by_value
      - .offset:         8
        .size:           16
        .value_kind:     by_value
      - .actual_access:  read_only
        .address_space:  global
        .offset:         24
        .size:           8
        .value_kind:     global_buffer
      - .actual_access:  read_only
        .address_space:  global
        .offset:         32
        .size:           8
        .value_kind:     global_buffer
      - .actual_access:  read_only
        .address_space:  global
        .offset:         40
        .size:           8
        .value_kind:     global_buffer
      - .actual_access:  read_only
        .address_space:  global
        .offset:         48
        .size:           8
        .value_kind:     global_buffer
      - .offset:         56
        .size:           16
        .value_kind:     by_value
      - .address_space:  global
        .offset:         72
        .size:           8
        .value_kind:     global_buffer
      - .offset:         80
        .size:           4
        .value_kind:     by_value
      - .offset:         84
        .size:           1
        .value_kind:     by_value
    .group_segment_fixed_size: 0
    .kernarg_segment_align: 8
    .kernarg_segment_size: 88
    .language:       OpenCL C
    .language_version:
      - 2
      - 0
    .max_flat_workgroup_size: 128
    .name:           _ZN9rocsparseL19gebsrmvn_2xn_kernelILj128ELj15ELj4E21rocsparse_complex_numIdEEEvi20rocsparse_direction_NS_24const_host_device_scalarIT2_EEPKiS8_PKS5_SA_S6_PS5_21rocsparse_index_base_b
    .private_segment_fixed_size: 0
    .sgpr_count:     24
    .sgpr_spill_count: 0
    .symbol:         _ZN9rocsparseL19gebsrmvn_2xn_kernelILj128ELj15ELj4E21rocsparse_complex_numIdEEEvi20rocsparse_direction_NS_24const_host_device_scalarIT2_EEPKiS8_PKS5_SA_S6_PS5_21rocsparse_index_base_b.kd
    .uniform_work_group_size: 1
    .uses_dynamic_stack: false
    .vgpr_count:     57
    .vgpr_spill_count: 0
    .wavefront_size: 64
  - .args:
      - .offset:         0
        .size:           4
        .value_kind:     by_value
      - .offset:         4
        .size:           4
        .value_kind:     by_value
      - .offset:         8
        .size:           16
        .value_kind:     by_value
      - .actual_access:  read_only
        .address_space:  global
        .offset:         24
        .size:           8
        .value_kind:     global_buffer
      - .actual_access:  read_only
        .address_space:  global
        .offset:         32
        .size:           8
        .value_kind:     global_buffer
      - .actual_access:  read_only
        .address_space:  global
        .offset:         40
        .size:           8
        .value_kind:     global_buffer
      - .actual_access:  read_only
        .address_space:  global
        .offset:         48
        .size:           8
        .value_kind:     global_buffer
      - .offset:         56
        .size:           16
        .value_kind:     by_value
      - .address_space:  global
        .offset:         72
        .size:           8
        .value_kind:     global_buffer
      - .offset:         80
        .size:           4
        .value_kind:     by_value
      - .offset:         84
        .size:           1
        .value_kind:     by_value
    .group_segment_fixed_size: 0
    .kernarg_segment_align: 8
    .kernarg_segment_size: 88
    .language:       OpenCL C
    .language_version:
      - 2
      - 0
    .max_flat_workgroup_size: 128
    .name:           _ZN9rocsparseL19gebsrmvn_2xn_kernelILj128ELj15ELj8E21rocsparse_complex_numIdEEEvi20rocsparse_direction_NS_24const_host_device_scalarIT2_EEPKiS8_PKS5_SA_S6_PS5_21rocsparse_index_base_b
    .private_segment_fixed_size: 0
    .sgpr_count:     24
    .sgpr_spill_count: 0
    .symbol:         _ZN9rocsparseL19gebsrmvn_2xn_kernelILj128ELj15ELj8E21rocsparse_complex_numIdEEEvi20rocsparse_direction_NS_24const_host_device_scalarIT2_EEPKiS8_PKS5_SA_S6_PS5_21rocsparse_index_base_b.kd
    .uniform_work_group_size: 1
    .uses_dynamic_stack: false
    .vgpr_count:     57
    .vgpr_spill_count: 0
    .wavefront_size: 64
  - .args:
      - .offset:         0
        .size:           4
        .value_kind:     by_value
      - .offset:         4
        .size:           4
        .value_kind:     by_value
      - .offset:         8
        .size:           16
        .value_kind:     by_value
      - .actual_access:  read_only
        .address_space:  global
        .offset:         24
        .size:           8
        .value_kind:     global_buffer
      - .actual_access:  read_only
        .address_space:  global
        .offset:         32
        .size:           8
        .value_kind:     global_buffer
      - .actual_access:  read_only
        .address_space:  global
        .offset:         40
        .size:           8
        .value_kind:     global_buffer
      - .actual_access:  read_only
        .address_space:  global
        .offset:         48
        .size:           8
        .value_kind:     global_buffer
      - .offset:         56
        .size:           16
        .value_kind:     by_value
      - .address_space:  global
        .offset:         72
        .size:           8
        .value_kind:     global_buffer
      - .offset:         80
        .size:           4
        .value_kind:     by_value
      - .offset:         84
        .size:           1
        .value_kind:     by_value
    .group_segment_fixed_size: 0
    .kernarg_segment_align: 8
    .kernarg_segment_size: 88
    .language:       OpenCL C
    .language_version:
      - 2
      - 0
    .max_flat_workgroup_size: 128
    .name:           _ZN9rocsparseL19gebsrmvn_2xn_kernelILj128ELj15ELj16E21rocsparse_complex_numIdEEEvi20rocsparse_direction_NS_24const_host_device_scalarIT2_EEPKiS8_PKS5_SA_S6_PS5_21rocsparse_index_base_b
    .private_segment_fixed_size: 0
    .sgpr_count:     24
    .sgpr_spill_count: 0
    .symbol:         _ZN9rocsparseL19gebsrmvn_2xn_kernelILj128ELj15ELj16E21rocsparse_complex_numIdEEEvi20rocsparse_direction_NS_24const_host_device_scalarIT2_EEPKiS8_PKS5_SA_S6_PS5_21rocsparse_index_base_b.kd
    .uniform_work_group_size: 1
    .uses_dynamic_stack: false
    .vgpr_count:     57
    .vgpr_spill_count: 0
    .wavefront_size: 64
  - .args:
      - .offset:         0
        .size:           4
        .value_kind:     by_value
      - .offset:         4
        .size:           4
        .value_kind:     by_value
      - .offset:         8
        .size:           16
        .value_kind:     by_value
      - .actual_access:  read_only
        .address_space:  global
        .offset:         24
        .size:           8
        .value_kind:     global_buffer
      - .actual_access:  read_only
        .address_space:  global
        .offset:         32
        .size:           8
        .value_kind:     global_buffer
      - .actual_access:  read_only
        .address_space:  global
        .offset:         40
        .size:           8
        .value_kind:     global_buffer
      - .actual_access:  read_only
        .address_space:  global
        .offset:         48
        .size:           8
        .value_kind:     global_buffer
      - .offset:         56
        .size:           16
        .value_kind:     by_value
      - .address_space:  global
        .offset:         72
        .size:           8
        .value_kind:     global_buffer
      - .offset:         80
        .size:           4
        .value_kind:     by_value
      - .offset:         84
        .size:           1
        .value_kind:     by_value
    .group_segment_fixed_size: 0
    .kernarg_segment_align: 8
    .kernarg_segment_size: 88
    .language:       OpenCL C
    .language_version:
      - 2
      - 0
    .max_flat_workgroup_size: 128
    .name:           _ZN9rocsparseL19gebsrmvn_2xn_kernelILj128ELj15ELj32E21rocsparse_complex_numIdEEEvi20rocsparse_direction_NS_24const_host_device_scalarIT2_EEPKiS8_PKS5_SA_S6_PS5_21rocsparse_index_base_b
    .private_segment_fixed_size: 0
    .sgpr_count:     24
    .sgpr_spill_count: 0
    .symbol:         _ZN9rocsparseL19gebsrmvn_2xn_kernelILj128ELj15ELj32E21rocsparse_complex_numIdEEEvi20rocsparse_direction_NS_24const_host_device_scalarIT2_EEPKiS8_PKS5_SA_S6_PS5_21rocsparse_index_base_b.kd
    .uniform_work_group_size: 1
    .uses_dynamic_stack: false
    .vgpr_count:     57
    .vgpr_spill_count: 0
    .wavefront_size: 64
  - .args:
      - .offset:         0
        .size:           4
        .value_kind:     by_value
      - .offset:         4
        .size:           4
        .value_kind:     by_value
      - .offset:         8
        .size:           16
        .value_kind:     by_value
      - .actual_access:  read_only
        .address_space:  global
        .offset:         24
        .size:           8
        .value_kind:     global_buffer
      - .actual_access:  read_only
        .address_space:  global
        .offset:         32
        .size:           8
        .value_kind:     global_buffer
      - .actual_access:  read_only
        .address_space:  global
        .offset:         40
        .size:           8
        .value_kind:     global_buffer
      - .actual_access:  read_only
        .address_space:  global
        .offset:         48
        .size:           8
        .value_kind:     global_buffer
      - .offset:         56
        .size:           16
        .value_kind:     by_value
      - .address_space:  global
        .offset:         72
        .size:           8
        .value_kind:     global_buffer
      - .offset:         80
        .size:           4
        .value_kind:     by_value
      - .offset:         84
        .size:           1
        .value_kind:     by_value
    .group_segment_fixed_size: 0
    .kernarg_segment_align: 8
    .kernarg_segment_size: 88
    .language:       OpenCL C
    .language_version:
      - 2
      - 0
    .max_flat_workgroup_size: 128
    .name:           _ZN9rocsparseL19gebsrmvn_2xn_kernelILj128ELj15ELj64E21rocsparse_complex_numIdEEEvi20rocsparse_direction_NS_24const_host_device_scalarIT2_EEPKiS8_PKS5_SA_S6_PS5_21rocsparse_index_base_b
    .private_segment_fixed_size: 0
    .sgpr_count:     24
    .sgpr_spill_count: 0
    .symbol:         _ZN9rocsparseL19gebsrmvn_2xn_kernelILj128ELj15ELj64E21rocsparse_complex_numIdEEEvi20rocsparse_direction_NS_24const_host_device_scalarIT2_EEPKiS8_PKS5_SA_S6_PS5_21rocsparse_index_base_b.kd
    .uniform_work_group_size: 1
    .uses_dynamic_stack: false
    .vgpr_count:     57
    .vgpr_spill_count: 0
    .wavefront_size: 64
  - .args:
      - .offset:         0
        .size:           4
        .value_kind:     by_value
      - .offset:         4
        .size:           4
        .value_kind:     by_value
      - .offset:         8
        .size:           16
        .value_kind:     by_value
      - .actual_access:  read_only
        .address_space:  global
        .offset:         24
        .size:           8
        .value_kind:     global_buffer
      - .actual_access:  read_only
        .address_space:  global
        .offset:         32
        .size:           8
        .value_kind:     global_buffer
      - .actual_access:  read_only
        .address_space:  global
        .offset:         40
        .size:           8
        .value_kind:     global_buffer
      - .actual_access:  read_only
        .address_space:  global
        .offset:         48
        .size:           8
        .value_kind:     global_buffer
      - .offset:         56
        .size:           16
        .value_kind:     by_value
      - .address_space:  global
        .offset:         72
        .size:           8
        .value_kind:     global_buffer
      - .offset:         80
        .size:           4
        .value_kind:     by_value
      - .offset:         84
        .size:           1
        .value_kind:     by_value
    .group_segment_fixed_size: 0
    .kernarg_segment_align: 8
    .kernarg_segment_size: 88
    .language:       OpenCL C
    .language_version:
      - 2
      - 0
    .max_flat_workgroup_size: 128
    .name:           _ZN9rocsparseL19gebsrmvn_2xn_kernelILj128ELj16ELj4E21rocsparse_complex_numIdEEEvi20rocsparse_direction_NS_24const_host_device_scalarIT2_EEPKiS8_PKS5_SA_S6_PS5_21rocsparse_index_base_b
    .private_segment_fixed_size: 0
    .sgpr_count:     24
    .sgpr_spill_count: 0
    .symbol:         _ZN9rocsparseL19gebsrmvn_2xn_kernelILj128ELj16ELj4E21rocsparse_complex_numIdEEEvi20rocsparse_direction_NS_24const_host_device_scalarIT2_EEPKiS8_PKS5_SA_S6_PS5_21rocsparse_index_base_b.kd
    .uniform_work_group_size: 1
    .uses_dynamic_stack: false
    .vgpr_count:     59
    .vgpr_spill_count: 0
    .wavefront_size: 64
  - .args:
      - .offset:         0
        .size:           4
        .value_kind:     by_value
      - .offset:         4
        .size:           4
        .value_kind:     by_value
      - .offset:         8
        .size:           16
        .value_kind:     by_value
      - .actual_access:  read_only
        .address_space:  global
        .offset:         24
        .size:           8
        .value_kind:     global_buffer
      - .actual_access:  read_only
        .address_space:  global
        .offset:         32
        .size:           8
        .value_kind:     global_buffer
      - .actual_access:  read_only
        .address_space:  global
        .offset:         40
        .size:           8
        .value_kind:     global_buffer
      - .actual_access:  read_only
        .address_space:  global
        .offset:         48
        .size:           8
        .value_kind:     global_buffer
      - .offset:         56
        .size:           16
        .value_kind:     by_value
      - .address_space:  global
        .offset:         72
        .size:           8
        .value_kind:     global_buffer
      - .offset:         80
        .size:           4
        .value_kind:     by_value
      - .offset:         84
        .size:           1
        .value_kind:     by_value
    .group_segment_fixed_size: 0
    .kernarg_segment_align: 8
    .kernarg_segment_size: 88
    .language:       OpenCL C
    .language_version:
      - 2
      - 0
    .max_flat_workgroup_size: 128
    .name:           _ZN9rocsparseL19gebsrmvn_2xn_kernelILj128ELj16ELj8E21rocsparse_complex_numIdEEEvi20rocsparse_direction_NS_24const_host_device_scalarIT2_EEPKiS8_PKS5_SA_S6_PS5_21rocsparse_index_base_b
    .private_segment_fixed_size: 0
    .sgpr_count:     24
    .sgpr_spill_count: 0
    .symbol:         _ZN9rocsparseL19gebsrmvn_2xn_kernelILj128ELj16ELj8E21rocsparse_complex_numIdEEEvi20rocsparse_direction_NS_24const_host_device_scalarIT2_EEPKiS8_PKS5_SA_S6_PS5_21rocsparse_index_base_b.kd
    .uniform_work_group_size: 1
    .uses_dynamic_stack: false
    .vgpr_count:     59
    .vgpr_spill_count: 0
    .wavefront_size: 64
  - .args:
      - .offset:         0
        .size:           4
        .value_kind:     by_value
      - .offset:         4
        .size:           4
        .value_kind:     by_value
      - .offset:         8
        .size:           16
        .value_kind:     by_value
      - .actual_access:  read_only
        .address_space:  global
        .offset:         24
        .size:           8
        .value_kind:     global_buffer
      - .actual_access:  read_only
        .address_space:  global
        .offset:         32
        .size:           8
        .value_kind:     global_buffer
      - .actual_access:  read_only
        .address_space:  global
        .offset:         40
        .size:           8
        .value_kind:     global_buffer
      - .actual_access:  read_only
        .address_space:  global
        .offset:         48
        .size:           8
        .value_kind:     global_buffer
      - .offset:         56
        .size:           16
        .value_kind:     by_value
      - .address_space:  global
        .offset:         72
        .size:           8
        .value_kind:     global_buffer
      - .offset:         80
        .size:           4
        .value_kind:     by_value
      - .offset:         84
        .size:           1
        .value_kind:     by_value
    .group_segment_fixed_size: 0
    .kernarg_segment_align: 8
    .kernarg_segment_size: 88
    .language:       OpenCL C
    .language_version:
      - 2
      - 0
    .max_flat_workgroup_size: 128
    .name:           _ZN9rocsparseL19gebsrmvn_2xn_kernelILj128ELj16ELj16E21rocsparse_complex_numIdEEEvi20rocsparse_direction_NS_24const_host_device_scalarIT2_EEPKiS8_PKS5_SA_S6_PS5_21rocsparse_index_base_b
    .private_segment_fixed_size: 0
    .sgpr_count:     24
    .sgpr_spill_count: 0
    .symbol:         _ZN9rocsparseL19gebsrmvn_2xn_kernelILj128ELj16ELj16E21rocsparse_complex_numIdEEEvi20rocsparse_direction_NS_24const_host_device_scalarIT2_EEPKiS8_PKS5_SA_S6_PS5_21rocsparse_index_base_b.kd
    .uniform_work_group_size: 1
    .uses_dynamic_stack: false
    .vgpr_count:     59
    .vgpr_spill_count: 0
    .wavefront_size: 64
  - .args:
      - .offset:         0
        .size:           4
        .value_kind:     by_value
      - .offset:         4
        .size:           4
        .value_kind:     by_value
      - .offset:         8
        .size:           16
        .value_kind:     by_value
      - .actual_access:  read_only
        .address_space:  global
        .offset:         24
        .size:           8
        .value_kind:     global_buffer
      - .actual_access:  read_only
        .address_space:  global
        .offset:         32
        .size:           8
        .value_kind:     global_buffer
      - .actual_access:  read_only
        .address_space:  global
        .offset:         40
        .size:           8
        .value_kind:     global_buffer
      - .actual_access:  read_only
        .address_space:  global
        .offset:         48
        .size:           8
        .value_kind:     global_buffer
      - .offset:         56
        .size:           16
        .value_kind:     by_value
      - .address_space:  global
        .offset:         72
        .size:           8
        .value_kind:     global_buffer
      - .offset:         80
        .size:           4
        .value_kind:     by_value
      - .offset:         84
        .size:           1
        .value_kind:     by_value
    .group_segment_fixed_size: 0
    .kernarg_segment_align: 8
    .kernarg_segment_size: 88
    .language:       OpenCL C
    .language_version:
      - 2
      - 0
    .max_flat_workgroup_size: 128
    .name:           _ZN9rocsparseL19gebsrmvn_2xn_kernelILj128ELj16ELj32E21rocsparse_complex_numIdEEEvi20rocsparse_direction_NS_24const_host_device_scalarIT2_EEPKiS8_PKS5_SA_S6_PS5_21rocsparse_index_base_b
    .private_segment_fixed_size: 0
    .sgpr_count:     24
    .sgpr_spill_count: 0
    .symbol:         _ZN9rocsparseL19gebsrmvn_2xn_kernelILj128ELj16ELj32E21rocsparse_complex_numIdEEEvi20rocsparse_direction_NS_24const_host_device_scalarIT2_EEPKiS8_PKS5_SA_S6_PS5_21rocsparse_index_base_b.kd
    .uniform_work_group_size: 1
    .uses_dynamic_stack: false
    .vgpr_count:     59
    .vgpr_spill_count: 0
    .wavefront_size: 64
  - .args:
      - .offset:         0
        .size:           4
        .value_kind:     by_value
      - .offset:         4
        .size:           4
        .value_kind:     by_value
      - .offset:         8
        .size:           16
        .value_kind:     by_value
      - .actual_access:  read_only
        .address_space:  global
        .offset:         24
        .size:           8
        .value_kind:     global_buffer
      - .actual_access:  read_only
        .address_space:  global
        .offset:         32
        .size:           8
        .value_kind:     global_buffer
      - .actual_access:  read_only
        .address_space:  global
        .offset:         40
        .size:           8
        .value_kind:     global_buffer
      - .actual_access:  read_only
        .address_space:  global
        .offset:         48
        .size:           8
        .value_kind:     global_buffer
      - .offset:         56
        .size:           16
        .value_kind:     by_value
      - .address_space:  global
        .offset:         72
        .size:           8
        .value_kind:     global_buffer
      - .offset:         80
        .size:           4
        .value_kind:     by_value
      - .offset:         84
        .size:           1
        .value_kind:     by_value
    .group_segment_fixed_size: 0
    .kernarg_segment_align: 8
    .kernarg_segment_size: 88
    .language:       OpenCL C
    .language_version:
      - 2
      - 0
    .max_flat_workgroup_size: 128
    .name:           _ZN9rocsparseL19gebsrmvn_2xn_kernelILj128ELj16ELj64E21rocsparse_complex_numIdEEEvi20rocsparse_direction_NS_24const_host_device_scalarIT2_EEPKiS8_PKS5_SA_S6_PS5_21rocsparse_index_base_b
    .private_segment_fixed_size: 0
    .sgpr_count:     24
    .sgpr_spill_count: 0
    .symbol:         _ZN9rocsparseL19gebsrmvn_2xn_kernelILj128ELj16ELj64E21rocsparse_complex_numIdEEEvi20rocsparse_direction_NS_24const_host_device_scalarIT2_EEPKiS8_PKS5_SA_S6_PS5_21rocsparse_index_base_b.kd
    .uniform_work_group_size: 1
    .uses_dynamic_stack: false
    .vgpr_count:     59
    .vgpr_spill_count: 0
    .wavefront_size: 64
  - .args:
      - .offset:         0
        .size:           4
        .value_kind:     by_value
      - .offset:         4
        .size:           4
        .value_kind:     by_value
      - .offset:         8
        .size:           16
        .value_kind:     by_value
      - .actual_access:  read_only
        .address_space:  global
        .offset:         24
        .size:           8
        .value_kind:     global_buffer
      - .actual_access:  read_only
        .address_space:  global
        .offset:         32
        .size:           8
        .value_kind:     global_buffer
      - .actual_access:  read_only
        .address_space:  global
        .offset:         40
        .size:           8
        .value_kind:     global_buffer
      - .offset:         48
        .size:           4
        .value_kind:     by_value
      - .offset:         52
        .size:           4
        .value_kind:     by_value
      - .actual_access:  read_only
        .address_space:  global
        .offset:         56
        .size:           8
        .value_kind:     global_buffer
      - .offset:         64
        .size:           16
        .value_kind:     by_value
      - .address_space:  global
        .offset:         80
        .size:           8
        .value_kind:     global_buffer
      - .offset:         88
        .size:           4
        .value_kind:     by_value
      - .offset:         92
        .size:           1
        .value_kind:     by_value
    .group_segment_fixed_size: 0
    .kernarg_segment_align: 8
    .kernarg_segment_size: 96
    .language:       OpenCL C
    .language_version:
      - 2
      - 0
    .max_flat_workgroup_size: 32
    .name:           _ZN9rocsparseL23gebsrmvn_general_kernelILj32ELj32E21rocsparse_complex_numIdEEEvi20rocsparse_direction_NS_24const_host_device_scalarIT1_EEPKiS8_PKS5_iiSA_S6_PS5_21rocsparse_index_base_b
    .private_segment_fixed_size: 0
    .sgpr_count:     41
    .sgpr_spill_count: 0
    .symbol:         _ZN9rocsparseL23gebsrmvn_general_kernelILj32ELj32E21rocsparse_complex_numIdEEEvi20rocsparse_direction_NS_24const_host_device_scalarIT1_EEPKiS8_PKS5_iiSA_S6_PS5_21rocsparse_index_base_b.kd
    .uniform_work_group_size: 1
    .uses_dynamic_stack: false
    .vgpr_count:     27
    .vgpr_spill_count: 0
    .wavefront_size: 64
amdhsa.target:   amdgcn-amd-amdhsa--gfx906
amdhsa.version:
  - 1
  - 2
...

	.end_amdgpu_metadata
